;; amdgpu-corpus repo=ggml-org/llama.cpp kind=compiled arch=gfx1030 opt=O3
	.amdgcn_target "amdgcn-amd-amdhsa--gfx1030"
	.amdhsa_code_object_version 6
	.section	.text._ZL15flash_attn_tileILi72ELi72ELi8ELi8ELb0EEvPKcS1_S1_S1_S1_PKiPfP15HIP_vector_typeIfLj2EEffffjfiS5_IjLj3EEiiiiiiiiiiiliiliiiiil,"axG",@progbits,_ZL15flash_attn_tileILi72ELi72ELi8ELi8ELb0EEvPKcS1_S1_S1_S1_PKiPfP15HIP_vector_typeIfLj2EEffffjfiS5_IjLj3EEiiiiiiiiiiiliiliiiiil,comdat
	.globl	_ZL15flash_attn_tileILi72ELi72ELi8ELi8ELb0EEvPKcS1_S1_S1_S1_PKiPfP15HIP_vector_typeIfLj2EEffffjfiS5_IjLj3EEiiiiiiiiiiiliiliiiiil ; -- Begin function _ZL15flash_attn_tileILi72ELi72ELi8ELi8ELb0EEvPKcS1_S1_S1_S1_PKiPfP15HIP_vector_typeIfLj2EEffffjfiS5_IjLj3EEiiiiiiiiiiiliiliiiiil
	.p2align	8
	.type	_ZL15flash_attn_tileILi72ELi72ELi8ELi8ELb0EEvPKcS1_S1_S1_S1_PKiPfP15HIP_vector_typeIfLj2EEffffjfiS5_IjLj3EEiiiiiiiiiiiliiliiiiil,@function
_ZL15flash_attn_tileILi72ELi72ELi8ELi8ELb0EEvPKcS1_S1_S1_S1_PKiPfP15HIP_vector_typeIfLj2EEffffjfiS5_IjLj3EEiiiiiiiiiiiliiliiiiil: ; @_ZL15flash_attn_tileILi72ELi72ELi8ELi8ELb0EEvPKcS1_S1_S1_S1_PKiPfP15HIP_vector_typeIfLj2EEffffjfiS5_IjLj3EEiiiiiiiiiiiliiliiiiil
; %bb.0:
	s_clause 0x1
	s_load_dwordx4 s[36:39], s[4:5], 0x5c
	s_load_dwordx2 s[34:35], s[4:5], 0x80
	s_mov_b64 s[40:41], 0
	s_waitcnt lgkmcnt(0)
	s_ashr_i32 s0, s39, 31
	s_lshr_b32 s0, s0, 29
	s_add_i32 s0, s39, s0
	s_ashr_i32 s0, s0, 3
	v_cvt_f32_u32_e32 v2, s0
	s_sub_i32 s2, 0, s0
	v_rcp_iflag_f32_e32 v2, v2
	v_mul_f32_e32 v2, 0x4f7ffffe, v2
	v_cvt_u32_f32_e32 v2, v2
	v_readfirstlane_b32 s1, v2
	s_mul_i32 s2, s2, s1
	s_mul_hi_u32 s2, s1, s2
	s_add_i32 s1, s1, s2
	s_mul_hi_u32 s1, s8, s1
	s_mul_i32 s2, s1, s0
	s_add_i32 s3, s1, 1
	s_sub_i32 s2, s8, s2
	s_sub_i32 s9, s2, s0
	s_cmp_ge_u32 s2, s0
	s_cselect_b32 s1, s3, s1
	s_cselect_b32 s2, s9, s2
	s_add_i32 s3, s1, 1
	s_cmp_ge_u32 s2, s0
	s_cselect_b32 s33, s3, s1
	s_abs_i32 s0, s35
	s_abs_i32 s3, s39
	v_cvt_f32_u32_e32 v2, s0
	s_sub_i32 s2, 0, s0
	v_rcp_iflag_f32_e32 v2, v2
	v_mul_f32_e32 v2, 0x4f7ffffe, v2
	v_cvt_u32_f32_e32 v2, v2
	v_readfirstlane_b32 s1, v2
	s_mul_i32 s2, s2, s1
	s_mul_hi_u32 s2, s1, s2
	s_add_i32 s1, s1, s2
	s_lshl_b32 s2, s8, 3
	s_mul_hi_u32 s1, s3, s1
	s_xor_b32 s8, s39, s35
	s_mul_i32 s9, s1, s0
	s_ashr_i32 s8, s8, 31
	s_sub_i32 s3, s3, s9
	s_add_i32 s9, s1, 1
	s_sub_i32 s10, s3, s0
	s_cmp_ge_u32 s3, s0
	s_cselect_b32 s1, s9, s1
	s_cselect_b32 s3, s10, s3
	s_add_i32 s9, s1, 1
	s_cmp_ge_u32 s3, s0
	s_mul_i32 s3, s33, s39
	s_cselect_b32 s0, s9, s1
	s_xor_b32 s0, s0, s8
	s_sub_i32 s13, s0, s8
	s_clause 0x1
	s_load_dwordx16 s[16:31], s[4:5], 0x0
	s_load_dwordx2 s[0:1], s[4:5], 0xb8
	s_abs_i32 s12, s13
	v_cvt_f32_u32_e32 v2, s12
	v_rcp_iflag_f32_e32 v2, v2
	v_mul_f32_e32 v2, 0x4f7ffffe, v2
	s_waitcnt lgkmcnt(0)
	s_cmp_eq_u64 s[22:23], 0
	v_cvt_u32_f32_e32 v2, v2
	v_readfirstlane_b32 s14, v2
	s_cbranch_scc1 .LBB0_2
; %bb.1:
	s_abs_i32 s0, s0
	s_abs_i32 s10, s33
	v_cvt_f32_u32_e32 v2, s0
	s_sub_i32 s9, 0, s0
	v_rcp_iflag_f32_e32 v2, v2
	v_mul_f32_e32 v2, 0x4f7ffffe, v2
	v_cvt_u32_f32_e32 v2, v2
	v_readfirstlane_b32 s8, v2
	s_mul_i32 s9, s9, s8
	s_mul_hi_u32 s9, s8, s9
	s_add_i32 s8, s8, s9
	s_mul_hi_u32 s11, s10, s8
	s_load_dwordx2 s[8:9], s[4:5], 0xc8
	s_mul_i32 s11, s11, s0
	s_sub_i32 s10, s10, s11
	s_ashr_i32 s11, s33, 31
	s_sub_i32 s15, s10, s0
	s_cmp_ge_u32 s10, s0
	s_cselect_b32 s10, s15, s10
	s_sub_i32 s15, s10, s0
	s_cmp_ge_u32 s10, s0
	s_cselect_b32 s0, s15, s10
	s_xor_b32 s0, s0, s11
	s_sub_i32 s0, s0, s11
	s_ashr_i32 s10, s0, 31
	s_waitcnt lgkmcnt(0)
	s_mul_hi_u32 s11, s8, s0
	s_mul_i32 s10, s8, s10
	s_mul_i32 s9, s9, s0
	s_add_i32 s10, s11, s10
	s_mul_i32 s0, s8, s0
	s_add_i32 s10, s10, s9
	s_add_u32 s40, s22, s0
	s_addc_u32 s41, s23, s10
.LBB0_2:
	v_lshl_add_u32 v26, s6, 3, v1
	v_cmp_gt_u32_e64 s0, 18, v0
	v_lshlrev_b32_e32 v25, 2, v0
	s_sub_i32 s22, s2, s3
	v_mul_hi_u32 v2, s36, v26
	v_add_nc_u32_e32 v2, v26, v2
	v_lshrrev_b32_e32 v2, s37, v2
	v_mul_lo_u32 v2, v2, s38
	v_sub_nc_u32_e32 v3, v26, v2
	v_lshlrev_b32_e32 v2, 3, v0
	s_and_saveexec_b32 s15, s0
	s_cbranch_execz .LBB0_4
; %bb.3:
	s_load_dwordx4 s[8:11], s[4:5], 0x70
	s_waitcnt lgkmcnt(0)
	s_mul_i32 s3, s33, s10
	s_mul_i32 s10, s22, s9
	s_ashr_i32 s11, s3, 31
	s_add_u32 s3, s16, s3
	s_addc_u32 s11, s17, s11
	s_ashr_i32 s16, s10, 31
	s_add_u32 s17, s3, s10
	s_mov_b32 s2, s8
	s_addc_u32 s16, s11, s16
	s_ashr_i32 s3, s8, 31
	s_and_b32 s8, s9, -4
	s_lshr_b64 s[10:11], s[2:3], 2
	s_lshr_b32 s2, s3, 2
	v_mad_u64_u32 v[4:5], null, s10, v3, 0
	s_mov_b32 s10, s9
	s_ashr_i32 s11, s9, 31
	s_and_b32 s9, s11, 0x3fffffff
	s_lshl_b64 s[36:37], s[8:9], 2
	v_mad_u64_u32 v[5:6], null, s2, v3, v[5:6]
	v_lshlrev_b32_e32 v6, 2, v25
	s_lshr_b64 s[2:3], s[10:11], 2
	v_lshlrev_b64 v[4:5], 2, v[4:5]
	v_add_co_u32 v4, vcc_lo, s17, v4
	v_add_co_ci_u32_e64 v5, null, s16, v5, vcc_lo
	s_lshl_b64 s[16:17], s[2:3], 3
	v_add_co_u32 v20, vcc_lo, v4, v6
	v_add_co_ci_u32_e64 v21, null, 0, v5, vcc_lo
	s_lshr_b32 s3, s11, 2
	v_add_co_u32 v8, vcc_lo, v20, s8
	v_mad_u64_u32 v[27:28], null, s2, 20, v[20:21]
	v_mad_u64_u32 v[31:32], null, s2, 24, v[20:21]
	v_add_co_ci_u32_e64 v9, null, s11, v21, vcc_lo
	v_add_co_u32 v12, vcc_lo, v20, s16
	v_mad_u64_u32 v[35:36], null, s2, 28, v[20:21]
	v_add_co_ci_u32_e64 v13, null, s17, v21, vcc_lo
	v_add_co_u32 v16, vcc_lo, v20, s36
	s_clause 0x1
	global_load_dwordx4 v[4:7], v[20:21], off
	global_load_dwordx4 v[8:11], v[8:9], off
	v_add_co_ci_u32_e64 v17, null, s37, v21, vcc_lo
	v_mad_u64_u32 v[22:23], null, s2, 12, v[20:21]
	v_mov_b32_e32 v20, v28
	v_mov_b32_e32 v21, v32
	s_clause 0x1
	global_load_dwordx4 v[12:15], v[12:13], off
	global_load_dwordx4 v[16:19], v[16:17], off
	s_load_dword s2, s[4:5], 0x40
	v_mad_u64_u32 v[28:29], null, s3, 20, v[20:21]
	v_mov_b32_e32 v20, v36
	v_mad_u64_u32 v[29:30], null, s3, 24, v[21:22]
	v_mad_u64_u32 v[23:24], null, s3, 12, v[23:24]
	;; [unrolled: 1-line block ×3, first 2 shown]
	v_mad_u32_u24 v24, 0x480, v1, v2
	v_mov_b32_e32 v32, v29
	s_clause 0x1
	global_load_dwordx4 v[27:30], v[27:28], off
	global_load_dwordx4 v[20:23], v[22:23], off
	v_mov_b32_e32 v36, v33
	s_clause 0x1
	global_load_dwordx4 v[31:34], v[31:32], off
	global_load_dwordx4 v[35:38], v[35:36], off
	s_waitcnt vmcnt(7) lgkmcnt(0)
	v_fma_mixlo_f16 v5, s2, v5, 0
	v_fma_mixlo_f16 v4, s2, v4, 0
	v_fma_mixlo_f16 v7, s2, v7, 0
	v_fma_mixlo_f16 v6, s2, v6, 0
	s_waitcnt vmcnt(6)
	v_fma_mixlo_f16 v8, s2, v8, 0
	v_lshlrev_b32_e32 v5, 16, v5
	v_and_b32_e32 v4, 0xffff, v4
	v_lshlrev_b32_e32 v7, 16, v7
	v_and_b32_e32 v6, 0xffff, v6
	v_fma_mixlo_f16 v9, s2, v9, 0
	v_fma_mixlo_f16 v10, s2, v10, 0
	;; [unrolled: 1-line block ×3, first 2 shown]
	s_waitcnt vmcnt(5)
	v_fma_mixlo_f16 v12, s2, v12, 0
	v_fma_mixlo_f16 v13, s2, v13, 0
	;; [unrolled: 1-line block ×4, first 2 shown]
	s_waitcnt vmcnt(4)
	v_fma_mixlo_f16 v16, s2, v16, 0
	v_fma_mixlo_f16 v17, s2, v17, 0
	;; [unrolled: 1-line block ×4, first 2 shown]
	v_or_b32_e32 v4, v5, v4
	v_or3_b32 v5, v7, v6, 0
	v_lshlrev_b32_e32 v6, 16, v9
	v_and_b32_e32 v7, 0xffff, v8
	v_lshlrev_b32_e32 v8, 16, v11
	v_and_b32_e32 v9, 0xffff, v10
	;; [unrolled: 2-line block ×6, first 2 shown]
	v_or_b32_e32 v6, v6, v7
	v_or3_b32 v7, v8, v9, 0
	v_or3_b32 v9, v12, v13, 0
	s_waitcnt vmcnt(2)
	v_fma_mixlo_f16 v12, s2, v20, 0
	v_fma_mixlo_f16 v13, s2, v21, 0
	v_or_b32_e32 v8, v10, v11
	v_or_b32_e32 v10, v14, v15
	v_or3_b32 v11, v16, v17, 0
	v_fma_mixlo_f16 v14, s2, v22, 0
	v_fma_mixlo_f16 v15, s2, v23, 0
	;; [unrolled: 1-line block ×6, first 2 shown]
	s_waitcnt vmcnt(1)
	v_fma_mixlo_f16 v20, s2, v31, 0
	v_fma_mixlo_f16 v21, s2, v32, 0
	s_waitcnt vmcnt(0)
	v_fma_mixlo_f16 v27, s2, v35, 0
	v_fma_mixlo_f16 v28, s2, v36, 0
	v_lshlrev_b32_e32 v13, 16, v13
	v_and_b32_e32 v12, 0xffff, v12
	v_lshlrev_b32_e32 v15, 16, v15
	v_and_b32_e32 v14, 0xffff, v14
	;; [unrolled: 2-line block ×3, first 2 shown]
	v_fma_mixlo_f16 v22, s2, v33, 0
	v_fma_mixlo_f16 v23, s2, v34, 0
	;; [unrolled: 1-line block ×4, first 2 shown]
	v_lshlrev_b32_e32 v19, 16, v19
	v_and_b32_e32 v18, 0xffff, v18
	v_lshlrev_b32_e32 v21, 16, v21
	v_and_b32_e32 v20, 0xffff, v20
	;; [unrolled: 2-line block ×3, first 2 shown]
	v_or_b32_e32 v12, v13, v12
	v_or3_b32 v13, v15, v14, 0
	v_or_b32_e32 v14, v17, v16
	v_lshlrev_b32_e32 v23, 16, v23
	v_and_b32_e32 v22, 0xffff, v22
	v_lshlrev_b32_e32 v30, 16, v30
	v_and_b32_e32 v29, 0xffff, v29
	v_or3_b32 v15, v19, v18, 0
	v_or_b32_e32 v16, v21, v20
	v_or_b32_e32 v18, v28, v27
	v_or3_b32 v4, 0, 0, v4
	v_or3_b32 v6, 0, 0, v6
	;; [unrolled: 1-line block ×10, first 2 shown]
	ds_write2_b64 v24, v[4:5], v[6:7] offset1:18
	ds_write2_b64 v24, v[8:9], v[12:13] offset0:36 offset1:54
	ds_write2_b64 v24, v[10:11], v[14:15] offset0:72 offset1:90
	ds_write2_b64 v24, v[16:17], v[18:19] offset0:108 offset1:126
.LBB0_4:
	s_or_b32 exec_lo, exec_lo, s15
	s_cmp_eq_u64 s[26:27], 0
	s_waitcnt lgkmcnt(0)
	s_barrier
	buffer_gl0_inv
	s_cbranch_scc1 .LBB0_6
; %bb.5:
	s_load_dword s2, s[4:5], 0xd0
	s_mov_b32 s3, 0
	s_waitcnt lgkmcnt(0)
	s_mul_i32 s2, s2, s33
	s_add_i32 s2, s2, s6
	s_lshl_b64 s[2:3], s[2:3], 2
	s_add_u32 s2, s26, s2
	s_addc_u32 s3, s27, s3
	s_load_dword s34, s[2:3], 0x0
.LBB0_6:
	v_mbcnt_lo_u32_b32 v29, -1, 0
	s_lshl_b32 s23, s7, 5
	s_waitcnt lgkmcnt(0)
	s_cmp_lt_i32 s23, s34
	s_cbranch_scc1 .LBB0_9
; %bb.7:
	v_mbcnt_lo_u32_b32 v9, -1, 0
	v_mov_b32_e32 v22, 32
	v_xor_b32_e32 v30, 16, v9
	v_xor_b32_e32 v28, 8, v9
	;; [unrolled: 1-line block ×5, first 2 shown]
	s_cbranch_execz .LBB0_10
; %bb.8:
	v_mov_b32_e32 v56, 0
	v_mov_b32_e32 v66, 0
	;; [unrolled: 1-line block ×32, first 2 shown]
	s_branch .LBB0_18
.LBB0_9:
                                        ; implicit-def: $vgpr9
                                        ; implicit-def: $vgpr22
                                        ; implicit-def: $vgpr30
                                        ; implicit-def: $vgpr28
                                        ; implicit-def: $vgpr27
                                        ; implicit-def: $vgpr24
                                        ; implicit-def: $vgpr23
.LBB0_10:
	s_clause 0x1
	s_load_dwordx4 s[8:11], s[4:5], 0x98
	s_load_dwordx2 s[2:3], s[4:5], 0x8c
	s_sub_i32 s6, 0, s12
	s_abs_i32 s15, s22
	s_mul_i32 s6, s6, s14
	s_ashr_i32 s26, s22, 31
	s_mul_hi_u32 s6, s14, s6
	s_ashr_i32 s13, s13, 31
	s_add_i32 s14, s14, s6
	s_load_dwordx2 s[16:17], s[4:5], 0xa8
	s_mul_hi_u32 s6, s15, s14
	s_ashr_i32 s14, s33, 31
	s_ashr_i32 s1, s1, 1
	s_mul_i32 s27, s6, s12
	v_lshrrev_b32_e32 v4, 3, v0
	v_lshl_add_u32 v9, v1, 5, v0
	v_and_b32_e32 v12, 28, v25
	v_mul_u32_u24_e32 v35, 0x480, v1
	v_mad_u64_u32 v[13:14], null, v3, s1, v[0:1]
	s_waitcnt lgkmcnt(0)
	s_ashr_i32 s35, s10, 2
	s_ashr_i32 s36, s2, 2
	s_mul_hi_u32 s2, s8, s33
	s_mul_i32 s10, s8, s14
	s_mul_i32 s9, s9, s33
	s_add_i32 s2, s2, s10
	s_mul_i32 s8, s8, s33
	s_add_i32 s2, s2, s9
	s_add_u32 s8, s18, s8
	s_addc_u32 s2, s19, s2
	s_sub_i32 s10, s15, s27
	s_xor_b32 s9, s26, s13
	s_add_i32 s13, s6, 1
	s_sub_i32 s15, s10, s12
	s_cmp_ge_u32 s10, s12
	v_lshl_add_u32 v8, v1, 2, v4
	s_cselect_b32 s6, s13, s6
	s_cselect_b32 s10, s15, s10
	s_add_i32 s13, s6, 1
	s_cmp_ge_u32 s10, s12
	v_mul_lo_u32 v4, s36, v8
	s_cselect_b32 s6, s13, s6
	v_mul_lo_u32 v6, s36, v9
	s_xor_b32 s6, s6, s9
	v_mul_lo_u32 v10, s35, v9
	v_mul_lo_u32 v20, s35, v8
	s_sub_i32 s6, s6, s9
	v_mul_u32_u24_e32 v5, 0xa0, v8
	s_mul_i32 s3, s6, s3
	v_lshlrev_b32_e32 v15, 2, v12
	s_mul_hi_u32 s10, s16, s33
	s_mul_i32 s12, s16, s14
	s_ashr_i32 s14, s3, 31
	s_add_u32 s37, s8, s3
	s_mul_i32 s9, s17, s33
	s_addc_u32 s42, s2, s14
	s_add_i32 s2, s10, s12
	s_mul_i32 s13, s16, s33
	v_add3_u32 v33, v5, v15, 0x2400
	v_ashrrev_i32_e32 v5, 31, v4
	v_ashrrev_i32_e32 v7, 31, v6
	v_lshl_add_u32 v37, v1, 9, 0x38e0
	v_mul_u32_u24_e32 v1, 0x90, v8
	v_ashrrev_i32_e32 v11, 31, v10
	v_ashrrev_i32_e32 v21, 31, v20
	s_mul_i32 s6, s6, s11
	s_add_i32 s2, s2, s9
	v_lshlrev_b32_e32 v3, 4, v0
	s_add_u32 s3, s20, s13
	s_addc_u32 s2, s21, s2
	s_ashr_i32 s8, s6, 31
	s_add_u32 s43, s3, s6
	s_movk_i32 s3, 0x2480
	s_movk_i32 s1, 0x90
	v_add3_u32 v40, v1, v15, 0x2400
	v_lshlrev_b64 v[14:15], 2, v[6:7]
	v_lshlrev_b64 v[16:17], 2, v[4:5]
	;; [unrolled: 1-line block ×4, first 2 shown]
	v_cmp_gt_u32_e32 vcc_lo, 32, v9
	v_mov_b32_e32 v31, 0
	v_mul_u32_u24_e32 v34, 0xa0, v0
	v_mad_u32_u24 v36, 0xa0, v9, s3
	v_mad_u32_u24 v38, v9, s1, 0x2480
	v_add_nc_u32_e32 v39, 0x2400, v2
	v_mov_b32_e32 v9, 0xfeffffff
	v_lshlrev_b32_e32 v41, 2, v12
	v_mov_b32_e32 v22, 32
	v_xor_b32_e32 v30, 16, v29
	v_xor_b32_e32 v28, 8, v29
	;; [unrolled: 1-line block ×5, first 2 shown]
	v_add_nc_u32_e32 v42, v37, v3
	v_mov_b32_e32 v43, 0x10001
	v_mov_b32_e32 v32, 0
	v_mov_b32_e32 v45, 0
	v_mov_b32_e32 v44, 0
	v_mov_b32_e32 v47, 0
	v_mov_b32_e32 v46, 0
	v_mov_b32_e32 v49, 0
	v_mov_b32_e32 v48, 0
	v_mov_b32_e32 v51, 0
	v_mov_b32_e32 v50, 0
	v_mov_b32_e32 v53, 0
	v_mov_b32_e32 v52, 0
	v_mov_b32_e32 v55, 0
	v_mov_b32_e32 v54, 0
	v_mov_b32_e32 v57, 0
	v_mov_b32_e32 v56, 0
	v_mov_b32_e32 v10, 0xfeffffff
	v_mov_b32_e32 v11, 0xfeffffff
	v_mov_b32_e32 v12, 0xfeffffff
	v_mov_b32_e32 v74, 0xfeffffff
	v_mov_b32_e32 v75, 0xfeffffff
	v_mov_b32_e32 v76, 0xfeffffff
	v_mov_b32_e32 v77, 0xfeffffff
	v_mov_b32_e32 v58, 0
	v_mov_b32_e32 v59, 0
	v_mov_b32_e32 v60, 0
	v_mov_b32_e32 v61, 0
	v_mov_b32_e32 v62, 0
	v_mov_b32_e32 v63, 0
	v_mov_b32_e32 v64, 0
	v_mov_b32_e32 v65, 0
	s_addc_u32 s44, s2, s8
	s_add_u32 s26, s4, 0xd0
	s_addc_u32 s27, s5, 0
.LBB0_11:                               ; =>This Inner Loop Header: Depth=1
	s_mul_hi_i32 s3, s23, s36
	s_mul_i32 s2, s23, s36
	s_lshl_b64 s[2:3], s[2:3], 2
	s_add_u32 s2, s37, s2
	s_addc_u32 s3, s42, s3
	s_and_saveexec_b32 s6, vcc_lo
	s_cbranch_execz .LBB0_13
; %bb.12:                               ;   in Loop: Header=BB0_11 Depth=1
	v_add_co_u32 v1, s1, s2, v14
	v_add_co_ci_u32_e64 v2, null, s3, v15, s1
	global_load_dwordx4 v[1:4], v[1:2], off offset:128
	s_waitcnt vmcnt(0)
	ds_write_b128 v36, v[1:4]
.LBB0_13:                               ;   in Loop: Header=BB0_11 Depth=1
	s_or_b32 exec_lo, exec_lo, s6
	v_add_co_u32 v1, s1, s2, v16
	v_add_co_ci_u32_e64 v2, null, s3, v17, s1
	v_mov_b32_e32 v5, 0
	v_add_co_u32 v1, s1, v1, v41
	v_add_co_ci_u32_e64 v2, null, 0, v2, s1
	v_mov_b32_e32 v6, 0
	v_mov_b32_e32 v7, 0
	;; [unrolled: 1-line block ×3, first 2 shown]
	global_load_dwordx4 v[1:4], v[1:2], off
	v_add_nc_u32_e32 v106, s23, v13
	s_mul_hi_i32 s21, s23, s35
	s_mul_i32 s20, s23, s35
	s_lshl_b64 s[46:47], s[20:21], 2
	v_ashrrev_i32_e32 v107, 31, v106
	s_add_u32 s21, s43, s46
	s_addc_u32 s45, s44, s47
	s_waitcnt vmcnt(0)
	ds_write_b128 v33, v[1:4]
	s_waitcnt lgkmcnt(0)
	s_barrier
	buffer_gl0_inv
	ds_read_b128 v[66:69], v34 offset:9216
	ds_read_b128 v[70:73], v35
	ds_read_b128 v[78:81], v35 offset:144
	ds_read_b128 v[82:85], v35 offset:288
	;; [unrolled: 1-line block ×7, first 2 shown]
	v_mov_b32_e32 v1, 0
	v_mov_b32_e32 v2, 0
	;; [unrolled: 1-line block ×4, first 2 shown]
	s_waitcnt lgkmcnt(7)
	;;#ASMSTART
	v_dot2_f32_f16 v1, v66, v70, v1
	;;#ASMEND
	;;#ASMSTART
	v_dot2_f32_f16 v1, v67, v71, v1
	;;#ASMEND
	;;#ASMSTART
	v_dot2_f32_f16 v1, v68, v72, v1
	;;#ASMEND
	;;#ASMSTART
	v_dot2_f32_f16 v1, v69, v73, v1
	;;#ASMEND
	s_waitcnt lgkmcnt(6)
	;;#ASMSTART
	v_dot2_f32_f16 v2, v66, v78, v2
	;;#ASMEND
	;;#ASMSTART
	v_dot2_f32_f16 v2, v67, v79, v2
	;;#ASMEND
	;;#ASMSTART
	v_dot2_f32_f16 v2, v68, v80, v2
	;;#ASMEND
	;;#ASMSTART
	v_dot2_f32_f16 v2, v69, v81, v2
	;;#ASMEND
	;; [unrolled: 13-line block ×8, first 2 shown]
	ds_read_b128 v[66:69], v34 offset:9232
	ds_read_b128 v[70:73], v35 offset:16
	;; [unrolled: 1-line block ×9, first 2 shown]
	s_waitcnt lgkmcnt(7)
	;;#ASMSTART
	v_dot2_f32_f16 v1, v66, v70, v1
	;;#ASMEND
	;;#ASMSTART
	v_dot2_f32_f16 v1, v67, v71, v1
	;;#ASMEND
	;;#ASMSTART
	v_dot2_f32_f16 v1, v68, v72, v1
	;;#ASMEND
	;;#ASMSTART
	v_dot2_f32_f16 v1, v69, v73, v1
	;;#ASMEND
	s_waitcnt lgkmcnt(6)
	;;#ASMSTART
	v_dot2_f32_f16 v2, v66, v78, v2
	;;#ASMEND
	;;#ASMSTART
	v_dot2_f32_f16 v2, v67, v79, v2
	;;#ASMEND
	;;#ASMSTART
	v_dot2_f32_f16 v2, v68, v80, v2
	;;#ASMEND
	;;#ASMSTART
	v_dot2_f32_f16 v2, v69, v81, v2
	;;#ASMEND
	;; [unrolled: 13-line block ×8, first 2 shown]
	ds_read_b128 v[66:69], v34 offset:9248
	ds_read_b128 v[70:73], v35 offset:32
	;; [unrolled: 1-line block ×9, first 2 shown]
	s_waitcnt lgkmcnt(7)
	;;#ASMSTART
	v_dot2_f32_f16 v1, v66, v70, v1
	;;#ASMEND
	;;#ASMSTART
	v_dot2_f32_f16 v1, v67, v71, v1
	;;#ASMEND
	;;#ASMSTART
	v_dot2_f32_f16 v1, v68, v72, v1
	;;#ASMEND
	;;#ASMSTART
	v_dot2_f32_f16 v1, v69, v73, v1
	;;#ASMEND
	s_waitcnt lgkmcnt(6)
	;;#ASMSTART
	v_dot2_f32_f16 v2, v66, v78, v2
	;;#ASMEND
	;;#ASMSTART
	v_dot2_f32_f16 v2, v67, v79, v2
	;;#ASMEND
	;;#ASMSTART
	v_dot2_f32_f16 v2, v68, v80, v2
	;;#ASMEND
	;;#ASMSTART
	v_dot2_f32_f16 v2, v69, v81, v2
	;;#ASMEND
	;; [unrolled: 13-line block ×8, first 2 shown]
	ds_read_b128 v[66:69], v34 offset:9264
	ds_read_b128 v[70:73], v35 offset:48
	;; [unrolled: 1-line block ×9, first 2 shown]
	s_waitcnt lgkmcnt(7)
	;;#ASMSTART
	v_dot2_f32_f16 v1, v66, v70, v1
	;;#ASMEND
	;;#ASMSTART
	v_dot2_f32_f16 v1, v67, v71, v1
	;;#ASMEND
	;;#ASMSTART
	v_dot2_f32_f16 v1, v68, v72, v1
	;;#ASMEND
	;;#ASMSTART
	v_dot2_f32_f16 v1, v69, v73, v1
	;;#ASMEND
	s_waitcnt lgkmcnt(6)
	;;#ASMSTART
	v_dot2_f32_f16 v2, v66, v78, v2
	;;#ASMEND
	;;#ASMSTART
	v_dot2_f32_f16 v2, v67, v79, v2
	;;#ASMEND
	;;#ASMSTART
	v_dot2_f32_f16 v2, v68, v80, v2
	;;#ASMEND
	;;#ASMSTART
	v_dot2_f32_f16 v2, v69, v81, v2
	;;#ASMEND
	;; [unrolled: 13-line block ×8, first 2 shown]
	ds_read_b128 v[66:69], v34 offset:9280
	ds_read_b128 v[70:73], v35 offset:64
	;; [unrolled: 1-line block ×9, first 2 shown]
	s_waitcnt lgkmcnt(7)
	;;#ASMSTART
	v_dot2_f32_f16 v1, v66, v70, v1
	;;#ASMEND
	;;#ASMSTART
	v_dot2_f32_f16 v1, v67, v71, v1
	;;#ASMEND
	;;#ASMSTART
	v_dot2_f32_f16 v1, v68, v72, v1
	;;#ASMEND
	;;#ASMSTART
	v_dot2_f32_f16 v1, v69, v73, v1
	;;#ASMEND
	s_waitcnt lgkmcnt(6)
	;;#ASMSTART
	v_dot2_f32_f16 v2, v66, v78, v2
	;;#ASMEND
	;;#ASMSTART
	v_dot2_f32_f16 v2, v67, v79, v2
	;;#ASMEND
	;;#ASMSTART
	v_dot2_f32_f16 v2, v68, v80, v2
	;;#ASMEND
	;;#ASMSTART
	v_dot2_f32_f16 v2, v69, v81, v2
	;;#ASMEND
	;; [unrolled: 13-line block ×8, first 2 shown]
	ds_read_b128 v[66:69], v34 offset:9296
	ds_read_b128 v[70:73], v35 offset:80
	;; [unrolled: 1-line block ×9, first 2 shown]
	s_waitcnt lgkmcnt(7)
	;;#ASMSTART
	v_dot2_f32_f16 v1, v66, v70, v1
	;;#ASMEND
	;;#ASMSTART
	v_dot2_f32_f16 v1, v67, v71, v1
	;;#ASMEND
	;;#ASMSTART
	v_dot2_f32_f16 v1, v68, v72, v1
	;;#ASMEND
	;;#ASMSTART
	v_dot2_f32_f16 v1, v69, v73, v1
	;;#ASMEND
	s_waitcnt lgkmcnt(6)
	;;#ASMSTART
	v_dot2_f32_f16 v2, v66, v78, v2
	;;#ASMEND
	;;#ASMSTART
	v_dot2_f32_f16 v2, v67, v79, v2
	;;#ASMEND
	;;#ASMSTART
	v_dot2_f32_f16 v2, v68, v80, v2
	;;#ASMEND
	;;#ASMSTART
	v_dot2_f32_f16 v2, v69, v81, v2
	;;#ASMEND
	;; [unrolled: 13-line block ×8, first 2 shown]
	ds_read_b128 v[66:69], v34 offset:9312
	ds_read_b128 v[70:73], v35 offset:96
	;; [unrolled: 1-line block ×9, first 2 shown]
	s_waitcnt lgkmcnt(7)
	;;#ASMSTART
	v_dot2_f32_f16 v1, v66, v70, v1
	;;#ASMEND
	;;#ASMSTART
	v_dot2_f32_f16 v1, v67, v71, v1
	;;#ASMEND
	;;#ASMSTART
	v_dot2_f32_f16 v1, v68, v72, v1
	;;#ASMEND
	;;#ASMSTART
	v_dot2_f32_f16 v1, v69, v73, v1
	;;#ASMEND
	s_waitcnt lgkmcnt(6)
	;;#ASMSTART
	v_dot2_f32_f16 v2, v66, v78, v2
	;;#ASMEND
	;;#ASMSTART
	v_dot2_f32_f16 v2, v67, v79, v2
	;;#ASMEND
	;;#ASMSTART
	v_dot2_f32_f16 v2, v68, v80, v2
	;;#ASMEND
	;;#ASMSTART
	v_dot2_f32_f16 v2, v69, v81, v2
	;;#ASMEND
	;; [unrolled: 13-line block ×8, first 2 shown]
	ds_read_b128 v[66:69], v34 offset:9328
	ds_read_b128 v[70:73], v35 offset:112
	;; [unrolled: 1-line block ×9, first 2 shown]
	s_waitcnt lgkmcnt(7)
	;;#ASMSTART
	v_dot2_f32_f16 v1, v66, v70, v1
	;;#ASMEND
	;;#ASMSTART
	v_dot2_f32_f16 v1, v67, v71, v1
	;;#ASMEND
	;;#ASMSTART
	v_dot2_f32_f16 v1, v68, v72, v1
	;;#ASMEND
	;;#ASMSTART
	v_dot2_f32_f16 v1, v69, v73, v1
	;;#ASMEND
	s_waitcnt lgkmcnt(6)
	;;#ASMSTART
	v_dot2_f32_f16 v2, v66, v78, v2
	;;#ASMEND
	;;#ASMSTART
	v_dot2_f32_f16 v2, v67, v79, v2
	;;#ASMEND
	;;#ASMSTART
	v_dot2_f32_f16 v2, v68, v80, v2
	;;#ASMEND
	;;#ASMSTART
	v_dot2_f32_f16 v2, v69, v81, v2
	;;#ASMEND
	;; [unrolled: 13-line block ×8, first 2 shown]
	ds_read_b128 v[66:69], v34 offset:9344
	ds_read_b128 v[70:73], v35 offset:128
	;; [unrolled: 1-line block ×3, first 2 shown]
	v_lshlrev_b64 v[90:91], 1, v[106:107]
	ds_read_b128 v[82:85], v35 offset:416
	ds_read_b128 v[86:89], v35 offset:560
	v_add_co_u32 v106, s1, s40, v90
	v_add_co_ci_u32_e64 v107, null, s41, v91, s1
	ds_read_b128 v[90:93], v35 offset:704
	ds_read_b128 v[94:97], v35 offset:848
	;; [unrolled: 1-line block ×4, first 2 shown]
	s_waitcnt lgkmcnt(7)
	;;#ASMSTART
	v_dot2_f32_f16 v1, v66, v70, v1
	;;#ASMEND
	;;#ASMSTART
	v_dot2_f32_f16 v1, v67, v71, v1
	;;#ASMEND
	;;#ASMSTART
	v_dot2_f32_f16 v1, v68, v72, v1
	;;#ASMEND
	;;#ASMSTART
	v_dot2_f32_f16 v1, v69, v73, v1
	;;#ASMEND
	s_waitcnt lgkmcnt(6)
	;;#ASMSTART
	v_dot2_f32_f16 v2, v66, v78, v2
	;;#ASMEND
	;;#ASMSTART
	v_dot2_f32_f16 v2, v67, v79, v2
	;;#ASMEND
	;;#ASMSTART
	v_dot2_f32_f16 v2, v68, v80, v2
	;;#ASMEND
	;;#ASMSTART
	v_dot2_f32_f16 v2, v69, v81, v2
	;;#ASMEND
	s_waitcnt lgkmcnt(5)
	;;#ASMSTART
	v_dot2_f32_f16 v3, v66, v82, v3
	;;#ASMEND
	;;#ASMSTART
	v_dot2_f32_f16 v3, v67, v83, v3
	;;#ASMEND
	;;#ASMSTART
	v_dot2_f32_f16 v3, v68, v84, v3
	;;#ASMEND
	;;#ASMSTART
	v_dot2_f32_f16 v3, v69, v85, v3
	;;#ASMEND
	s_waitcnt lgkmcnt(4)
	;;#ASMSTART
	v_dot2_f32_f16 v4, v66, v86, v4
	;;#ASMEND
	;;#ASMSTART
	v_dot2_f32_f16 v4, v67, v87, v4
	;;#ASMEND
	;;#ASMSTART
	v_dot2_f32_f16 v4, v68, v88, v4
	;;#ASMEND
	;;#ASMSTART
	v_dot2_f32_f16 v4, v69, v89, v4
	;;#ASMEND
	s_waitcnt lgkmcnt(3)
	;;#ASMSTART
	v_dot2_f32_f16 v5, v66, v90, v5
	;;#ASMEND
	;;#ASMSTART
	v_dot2_f32_f16 v5, v67, v91, v5
	;;#ASMEND
	;;#ASMSTART
	v_dot2_f32_f16 v5, v68, v92, v5
	;;#ASMEND
	;;#ASMSTART
	v_dot2_f32_f16 v5, v69, v93, v5
	;;#ASMEND
	s_waitcnt lgkmcnt(2)
	;;#ASMSTART
	v_dot2_f32_f16 v6, v66, v94, v6
	;;#ASMEND
	;;#ASMSTART
	v_dot2_f32_f16 v6, v67, v95, v6
	;;#ASMEND
	;;#ASMSTART
	v_dot2_f32_f16 v6, v68, v96, v6
	;;#ASMEND
	;;#ASMSTART
	v_dot2_f32_f16 v6, v69, v97, v6
	;;#ASMEND
	s_waitcnt lgkmcnt(1)
	;;#ASMSTART
	v_dot2_f32_f16 v7, v66, v98, v7
	;;#ASMEND
	;;#ASMSTART
	v_dot2_f32_f16 v7, v67, v99, v7
	;;#ASMEND
	;;#ASMSTART
	v_dot2_f32_f16 v7, v68, v100, v7
	;;#ASMEND
	;;#ASMSTART
	v_dot2_f32_f16 v7, v69, v101, v7
	;;#ASMEND
	s_waitcnt lgkmcnt(0)
	;;#ASMSTART
	v_dot2_f32_f16 v8, v66, v102, v8
	;;#ASMEND
	;;#ASMSTART
	v_dot2_f32_f16 v8, v67, v103, v8
	;;#ASMEND
	;;#ASMSTART
	v_dot2_f32_f16 v8, v68, v104, v8
	;;#ASMEND
	;;#ASMSTART
	v_dot2_f32_f16 v8, v69, v105, v8
	;;#ASMEND
	global_load_ushort v66, v[106:107], off
	v_cmp_gt_i32_e64 s1, 32, v30
	v_max_f32_e32 v68, v9, v9
	v_max_f32_e32 v69, v10, v10
	;; [unrolled: 1-line block ×4, first 2 shown]
	v_cndmask_b32_e64 v67, v29, v30, s1
	v_max_f32_e32 v72, v74, v74
	v_max_f32_e32 v73, v75, v75
	;; [unrolled: 1-line block ×4, first 2 shown]
	v_lshlrev_b32_e32 v67, 2, v67
	v_cmp_gt_i32_e64 s1, 32, v28
	s_waitcnt vmcnt(0)
	s_barrier
	buffer_gl0_inv
	v_cvt_f32_f16_e32 v66, v66
	v_add_f32_e32 v80, v1, v66
	v_add_f32_e32 v81, v2, v66
	;; [unrolled: 1-line block ×16, first 2 shown]
	v_max_f32_e32 v1, v68, v1
	v_max_f32_e32 v2, v69, v2
	;; [unrolled: 1-line block ×8, first 2 shown]
	ds_bpermute_b32 v68, v67, v1
	ds_bpermute_b32 v69, v67, v2
	;; [unrolled: 1-line block ×8, first 2 shown]
	v_cndmask_b32_e64 v79, v29, v28, s1
	v_cmp_gt_i32_e64 s1, 32, v27
	v_lshlrev_b32_e32 v79, 2, v79
	s_waitcnt lgkmcnt(7)
	v_max_f32_e32 v68, v68, v68
	s_waitcnt lgkmcnt(6)
	v_max_f32_e32 v69, v69, v69
	;; [unrolled: 2-line block ×5, first 2 shown]
	v_max_f32_e32 v1, v1, v68
	s_waitcnt lgkmcnt(1)
	v_max_f32_e32 v78, v78, v78
	s_waitcnt lgkmcnt(0)
	v_max_f32_e32 v67, v67, v67
	v_max_f32_e32 v2, v2, v69
	;; [unrolled: 1-line block ×6, first 2 shown]
	ds_bpermute_b32 v67, v79, v1
	ds_bpermute_b32 v68, v79, v2
	v_max_f32_e32 v4, v4, v71
	v_max_f32_e32 v6, v6, v73
	ds_bpermute_b32 v78, v79, v8
	ds_bpermute_b32 v69, v79, v3
	;; [unrolled: 1-line block ×3, first 2 shown]
	v_max_f32_e32 v5, v5, v72
	ds_bpermute_b32 v70, v79, v4
	ds_bpermute_b32 v72, v79, v6
	;; [unrolled: 1-line block ×3, first 2 shown]
	v_cndmask_b32_e64 v79, v29, v27, s1
	v_cmp_gt_i32_e64 s1, 32, v24
	v_lshlrev_b32_e32 v79, 2, v79
	s_waitcnt lgkmcnt(7)
	v_max_f32_e32 v67, v67, v67
	s_waitcnt lgkmcnt(6)
	v_max_f32_e32 v68, v68, v68
	;; [unrolled: 2-line block ×3, first 2 shown]
	v_max_f32_e32 v1, v1, v67
	s_waitcnt lgkmcnt(4)
	v_max_f32_e32 v69, v69, v69
	s_waitcnt lgkmcnt(3)
	v_max_f32_e32 v73, v73, v73
	v_max_f32_e32 v2, v2, v68
	;; [unrolled: 1-line block ×3, first 2 shown]
	ds_bpermute_b32 v67, v79, v1
	s_waitcnt lgkmcnt(3)
	v_max_f32_e32 v70, v70, v70
	v_max_f32_e32 v3, v3, v69
	;; [unrolled: 1-line block ×3, first 2 shown]
	ds_bpermute_b32 v68, v79, v2
	ds_bpermute_b32 v78, v79, v8
	s_waitcnt lgkmcnt(3)
	v_max_f32_e32 v71, v71, v71
	v_max_f32_e32 v72, v72, v72
	;; [unrolled: 1-line block ×3, first 2 shown]
	ds_bpermute_b32 v69, v79, v3
	ds_bpermute_b32 v73, v79, v7
	v_max_f32_e32 v5, v5, v71
	v_max_f32_e32 v6, v6, v72
	ds_bpermute_b32 v70, v79, v4
	ds_bpermute_b32 v71, v79, v5
	;; [unrolled: 1-line block ×3, first 2 shown]
	v_cndmask_b32_e64 v79, v29, v24, s1
	v_cmp_gt_i32_e64 s1, 32, v23
	s_waitcnt lgkmcnt(7)
	v_max_f32_e32 v67, v67, v67
	v_lshlrev_b32_e32 v79, 2, v79
	s_waitcnt lgkmcnt(6)
	v_max_f32_e32 v68, v68, v68
	s_waitcnt lgkmcnt(5)
	v_max_f32_e32 v78, v78, v78
	v_max_f32_e32 v1, v1, v67
	s_waitcnt lgkmcnt(4)
	v_max_f32_e32 v69, v69, v69
	s_waitcnt lgkmcnt(3)
	v_max_f32_e32 v73, v73, v73
	v_max_f32_e32 v2, v2, v68
	;; [unrolled: 1-line block ×3, first 2 shown]
	ds_bpermute_b32 v67, v79, v1
	s_waitcnt lgkmcnt(3)
	v_max_f32_e32 v70, v70, v70
	v_max_f32_e32 v3, v3, v69
	;; [unrolled: 1-line block ×3, first 2 shown]
	ds_bpermute_b32 v68, v79, v2
	ds_bpermute_b32 v78, v79, v8
	s_waitcnt lgkmcnt(4)
	v_max_f32_e32 v71, v71, v71
	s_waitcnt lgkmcnt(3)
	v_max_f32_e32 v72, v72, v72
	v_max_f32_e32 v4, v4, v70
	ds_bpermute_b32 v69, v79, v3
	ds_bpermute_b32 v73, v79, v7
	v_max_f32_e32 v5, v5, v71
	v_max_f32_e32 v6, v6, v72
	ds_bpermute_b32 v70, v79, v4
	ds_bpermute_b32 v71, v79, v5
	ds_bpermute_b32 v72, v79, v6
	v_cndmask_b32_e64 v79, v29, v23, s1
	s_waitcnt lgkmcnt(7)
	v_max_f32_e32 v67, v67, v67
	v_lshlrev_b32_e32 v79, 2, v79
	s_waitcnt lgkmcnt(6)
	v_max_f32_e32 v68, v68, v68
	s_waitcnt lgkmcnt(5)
	v_max_f32_e32 v78, v78, v78
	v_max_f32_e32 v1, v1, v67
	s_waitcnt lgkmcnt(4)
	v_max_f32_e32 v69, v69, v69
	s_waitcnt lgkmcnt(3)
	v_max_f32_e32 v73, v73, v73
	v_max_f32_e32 v2, v2, v68
	;; [unrolled: 1-line block ×3, first 2 shown]
	ds_bpermute_b32 v67, v79, v1
	s_waitcnt lgkmcnt(3)
	v_max_f32_e32 v70, v70, v70
	v_max_f32_e32 v3, v3, v69
	v_max_f32_e32 v7, v7, v73
	ds_bpermute_b32 v68, v79, v2
	ds_bpermute_b32 v78, v79, v8
	s_waitcnt lgkmcnt(4)
	v_max_f32_e32 v71, v71, v71
	v_max_f32_e32 v4, v4, v70
	ds_bpermute_b32 v69, v79, v3
	ds_bpermute_b32 v73, v79, v7
	s_waitcnt lgkmcnt(5)
	v_max_f32_e32 v72, v72, v72
	v_max_f32_e32 v5, v5, v71
	ds_bpermute_b32 v70, v79, v4
	v_max_f32_e32 v6, v6, v72
	ds_bpermute_b32 v71, v79, v5
	s_waitcnt lgkmcnt(6)
	v_max_f32_e32 v67, v67, v67
	ds_bpermute_b32 v72, v79, v6
	s_waitcnt lgkmcnt(6)
	v_max_f32_e32 v68, v68, v68
	s_waitcnt lgkmcnt(5)
	v_max_f32_e32 v78, v78, v78
	v_max_f32_e32 v1, v1, v67
	s_waitcnt lgkmcnt(4)
	v_max_f32_e32 v69, v69, v69
	s_waitcnt lgkmcnt(3)
	v_max_f32_e32 v73, v73, v73
	v_max_f32_e32 v2, v2, v68
	;; [unrolled: 1-line block ×3, first 2 shown]
	v_sub_f32_e32 v78, v9, v1
	v_sub_f32_e32 v9, v80, v1
	s_waitcnt lgkmcnt(2)
	v_max_f32_e32 v70, v70, v70
	v_max_f32_e32 v3, v3, v69
	;; [unrolled: 1-line block ×3, first 2 shown]
	v_sub_f32_e32 v79, v10, v2
	v_sub_f32_e32 v10, v81, v2
	v_mul_f32_e32 v69, 0x3fb8aa3b, v9
	s_waitcnt lgkmcnt(1)
	v_max_f32_e32 v71, v71, v71
	v_max_f32_e32 v4, v4, v70
	v_sub_f32_e32 v80, v11, v3
	v_sub_f32_e32 v11, v82, v3
	;; [unrolled: 1-line block ×3, first 2 shown]
	v_mul_f32_e32 v70, 0x3fb8aa3b, v10
	v_fma_f32 v86, 0x3fb8aa3b, v9, -v69
	v_rndne_f32_e32 v87, v69
	s_waitcnt lgkmcnt(0)
	v_max_f32_e32 v72, v72, v72
	v_max_f32_e32 v5, v5, v71
	v_sub_f32_e32 v81, v12, v4
	v_sub_f32_e32 v12, v83, v4
	v_mul_f32_e32 v71, 0x3fb8aa3b, v11
	v_fma_f32 v88, 0x3fb8aa3b, v10, -v70
	v_rndne_f32_e32 v89, v70
	v_fmac_f32_e32 v86, 0x32a5705f, v9
	v_sub_f32_e32 v69, v69, v87
	v_max_f32_e32 v6, v6, v72
	v_sub_f32_e32 v67, v84, v5
	v_mul_f32_e32 v72, 0x3fb8aa3b, v12
	v_fma_f32 v90, 0x3fb8aa3b, v11, -v71
	v_rndne_f32_e32 v91, v71
	v_fmac_f32_e32 v88, 0x32a5705f, v10
	v_sub_f32_e32 v70, v70, v89
	v_add_f32_e32 v69, v69, v86
	v_sub_f32_e32 v68, v85, v6
	v_mul_f32_e32 v73, 0x3fb8aa3b, v67
	v_mul_f32_e32 v84, 0x3fb8aa3b, v82
	v_fma_f32 v92, 0x3fb8aa3b, v12, -v72
	v_rndne_f32_e32 v93, v72
	v_fmac_f32_e32 v90, 0x32a5705f, v11
	v_sub_f32_e32 v71, v71, v91
	v_add_f32_e32 v70, v70, v88
	v_exp_f32_e32 v69, v69
	v_mul_f32_e32 v83, 0x3fb8aa3b, v68
	v_fma_f32 v94, 0x3fb8aa3b, v67, -v73
	v_rndne_f32_e32 v95, v73
	v_fma_f32 v98, 0x3fb8aa3b, v82, -v84
	v_rndne_f32_e32 v99, v84
	v_cvt_i32_f32_e32 v87, v87
	v_fmac_f32_e32 v92, 0x32a5705f, v12
	v_sub_f32_e32 v72, v72, v93
	v_add_f32_e32 v71, v71, v90
	v_exp_f32_e32 v70, v70
	v_sub_f32_e32 v66, v66, v8
	v_fma_f32 v96, 0x3fb8aa3b, v68, -v83
	v_rndne_f32_e32 v97, v83
	v_cvt_i32_f32_e32 v89, v89
	v_fmac_f32_e32 v94, 0x32a5705f, v67
	v_sub_f32_e32 v73, v73, v95
	v_fmac_f32_e32 v98, 0x32a5705f, v82
	v_sub_f32_e32 v84, v84, v99
	v_add_f32_e32 v72, v72, v92
	v_exp_f32_e32 v71, v71
	v_ldexp_f32 v69, v69, v87
	v_cmp_ngt_f32_e64 s19, 0xc2ce8ed0, v9
	v_mul_f32_e32 v85, 0x3fb8aa3b, v66
	v_cvt_i32_f32_e32 v91, v91
	v_fmac_f32_e32 v96, 0x32a5705f, v68
	v_sub_f32_e32 v83, v83, v97
	v_add_f32_e32 v73, v73, v94
	v_add_f32_e32 v84, v84, v98
	v_exp_f32_e32 v72, v72
	v_ldexp_f32 v70, v70, v89
	v_cndmask_b32_e64 v69, 0, v69, s19
	v_cmp_ngt_f32_e64 s19, 0xc2ce8ed0, v10
	v_fma_f32 v100, 0x3fb8aa3b, v66, -v85
	v_rndne_f32_e32 v101, v85
	v_cvt_i32_f32_e32 v93, v93
	v_add_f32_e32 v83, v83, v96
	v_exp_f32_e32 v73, v73
	v_exp_f32_e32 v84, v84
	v_ldexp_f32 v71, v71, v91
	v_cndmask_b32_e64 v70, 0, v70, s19
	v_cmp_ngt_f32_e64 s19, 0xc2ce8ed0, v11
	v_cvt_i32_f32_e32 v95, v95
	v_fmac_f32_e32 v100, 0x32a5705f, v66
	v_sub_f32_e32 v85, v85, v101
	v_exp_f32_e32 v83, v83
	v_cvt_i32_f32_e32 v86, v99
	v_ldexp_f32 v72, v72, v93
	v_cndmask_b32_e64 v71, 0, v71, s19
	v_cmp_ngt_f32_e64 s19, 0xc2ce8ed0, v12
	v_cvt_i32_f32_e32 v97, v97
	v_add_f32_e32 v85, v85, v100
	v_ldexp_f32 v73, v73, v95
	v_ldexp_f32 v84, v84, v86
	v_cndmask_b32_e64 v86, 0, v72, s19
	v_cmp_ngt_f32_e64 s19, 0xc2ce8ed0, v67
	v_exp_f32_e32 v85, v85
	v_ldexp_f32 v83, v83, v97
	v_cvt_i32_f32_e32 v88, v101
	v_sub_f32_e32 v74, v74, v5
	v_cndmask_b32_e64 v87, 0, v73, s19
	v_cmp_ngt_f32_e64 s19, 0xc2ce8ed0, v68
	v_sub_f32_e32 v75, v75, v6
	v_sub_f32_e32 v76, v76, v7
	;; [unrolled: 1-line block ×3, first 2 shown]
	v_cmp_ngt_f32_e64 s11, 0xc2ce8ed0, v78
	v_cndmask_b32_e64 v83, 0, v83, s19
	v_cmp_ngt_f32_e64 s19, 0xc2ce8ed0, v82
	v_ldexp_f32 v85, v85, v88
	v_cmp_nlt_f32_e64 s1, 0x42b17218, v78
	v_cmp_ngt_f32_e64 s12, 0xc2ce8ed0, v79
	v_cmp_nlt_f32_e64 s2, 0x42b17218, v79
	v_cndmask_b32_e64 v84, 0, v84, s19
	v_cmp_ngt_f32_e64 s19, 0xc2ce8ed0, v66
	v_cmp_ngt_f32_e64 s13, 0xc2ce8ed0, v80
	v_cmp_nlt_f32_e64 s3, 0x42b17218, v80
	v_cmp_ngt_f32_e64 s14, 0xc2ce8ed0, v81
	v_cmp_nlt_f32_e64 s6, 0x42b17218, v81
	v_cndmask_b32_e64 v85, 0, v85, s19
	v_cmp_nlt_f32_e64 s19, 0x42b17218, v9
	v_cmp_ngt_f32_e64 s15, 0xc2ce8ed0, v74
	v_cmp_nlt_f32_e64 s8, 0x42b17218, v74
	v_cmp_ngt_f32_e64 s16, 0xc2ce8ed0, v75
	v_cmp_nlt_f32_e64 s9, 0x42b17218, v75
	v_cndmask_b32_e64 v73, 0x7f800000, v69, s19
	v_cmp_nlt_f32_e64 s19, 0x42b17218, v10
	v_cmp_ngt_f32_e64 s17, 0xc2ce8ed0, v76
	v_cmp_nlt_f32_e64 s10, 0x42b17218, v76
	v_cmp_ngt_f32_e64 s18, 0xc2ce8ed0, v77
	v_cvt_f16_f32_e32 v9, v73
	v_cndmask_b32_e64 v72, 0x7f800000, v70, s19
	v_cmp_nlt_f32_e64 s19, 0x42b17218, v11
	v_cndmask_b32_e64 v71, 0x7f800000, v71, s19
	v_cmp_nlt_f32_e64 s19, 0x42b17218, v12
	v_cvt_f16_f32_e32 v10, v71
	v_cndmask_b32_e64 v70, 0x7f800000, v86, s19
	v_cmp_nlt_f32_e64 s19, 0x42b17218, v67
	v_cndmask_b32_e64 v69, 0x7f800000, v87, s19
	v_cmp_nlt_f32_e64 s19, 0x42b17218, v68
	v_cvt_f16_f32_e32 v11, v69
	v_cndmask_b32_e64 v68, 0x7f800000, v83, s19
	v_cmp_nlt_f32_e64 s19, 0x42b17218, v82
	v_cvt_f16_f32_e32 v83, v68
	;; [unrolled: 3-line block ×3, first 2 shown]
	v_pack_b32_f16 v11, v11, v83
	v_cvt_f16_f32_e32 v12, v67
	v_cndmask_b32_e64 v66, 0x7f800000, v85, s19
	v_cvt_f16_f32_e32 v85, v72
	v_cmp_nlt_f32_e64 s19, 0x42b17218, v77
	v_pack_b32_f16 v10, v10, v84
	v_cvt_f16_f32_e32 v82, v66
	v_pack_b32_f16 v9, v9, v85
	v_pack_b32_f16 v12, v12, v82
	ds_write_b128 v42, v[9:12]
	s_and_saveexec_b32 s46, vcc_lo
	s_cbranch_execz .LBB0_15
; %bb.14:                               ;   in Loop: Header=BB0_11 Depth=1
	v_add_co_u32 v9, s20, s21, v18
	v_add_co_ci_u32_e64 v10, null, s45, v19, s20
	global_load_dwordx4 v[9:12], v[9:10], off offset:128
	s_waitcnt vmcnt(0)
	ds_write_b128 v38, v[9:12]
.LBB0_15:                               ;   in Loop: Header=BB0_11 Depth=1
	s_or_b32 exec_lo, exec_lo, s46
	v_add_co_u32 v9, s20, s21, v20
	v_add_co_ci_u32_e64 v10, null, s45, v21, s20
	v_mul_f32_e32 v83, 0x3fb8aa3b, v79
	v_add_co_u32 v9, s20, v9, v41
	v_add_co_ci_u32_e64 v10, null, 0, v10, s20
	v_mul_f32_e32 v84, 0x3fb8aa3b, v80
	v_mul_f32_e32 v87, 0x3fb8aa3b, v75
	;; [unrolled: 1-line block ×3, first 2 shown]
	global_load_dwordx4 v[9:12], v[9:10], off
	v_fma_f32 v91, 0x3fb8aa3b, v79, -v83
	v_fma_f32 v92, 0x3fb8aa3b, v80, -v84
	;; [unrolled: 1-line block ×4, first 2 shown]
	v_rndne_f32_e32 v103, v87
	v_rndne_f32_e32 v104, v88
	v_fmac_f32_e32 v91, 0x32a5705f, v79
	v_fmac_f32_e32 v92, 0x32a5705f, v80
	;; [unrolled: 1-line block ×4, first 2 shown]
	v_sub_f32_e32 v79, v87, v103
	v_sub_f32_e32 v80, v88, v104
	v_mul_f32_e32 v82, 0x3fb8aa3b, v78
	v_mul_f32_e32 v85, 0x3fb8aa3b, v81
	;; [unrolled: 1-line block ×4, first 2 shown]
	v_add_f32_e32 v79, v79, v95
	v_add_f32_e32 v80, v80, v96
	v_fma_f32 v90, 0x3fb8aa3b, v78, -v82
	v_fma_f32 v93, 0x3fb8aa3b, v81, -v85
	;; [unrolled: 1-line block ×4, first 2 shown]
	v_rndne_f32_e32 v98, v82
	v_rndne_f32_e32 v99, v83
	;; [unrolled: 1-line block ×5, first 2 shown]
	v_exp_f32_e32 v79, v79
	v_exp_f32_e32 v80, v80
	v_fmac_f32_e32 v90, 0x32a5705f, v78
	v_fmac_f32_e32 v93, 0x32a5705f, v81
	;; [unrolled: 1-line block ×4, first 2 shown]
	v_sub_f32_e32 v74, v82, v98
	v_sub_f32_e32 v75, v83, v99
	;; [unrolled: 1-line block ×5, first 2 shown]
	v_rndne_f32_e32 v105, v89
	v_cvt_i32_f32_e32 v87, v103
	v_cvt_i32_f32_e32 v88, v104
	v_add_f32_e32 v74, v74, v90
	v_add_f32_e32 v75, v75, v91
	;; [unrolled: 1-line block ×5, first 2 shown]
	v_sub_f32_e32 v81, v89, v105
	v_ldexp_f32 v79, v79, v87
	v_ldexp_f32 v80, v80, v88
	v_exp_f32_e32 v74, v74
	v_exp_f32_e32 v75, v75
	;; [unrolled: 1-line block ×5, first 2 shown]
	v_add_f32_e32 v81, v81, v97
	v_cndmask_b32_e64 v79, 0, v79, s16
	v_cndmask_b32_e64 v80, 0, v80, s17
	v_cvt_i32_f32_e32 v82, v98
	v_cvt_i32_f32_e32 v83, v99
	;; [unrolled: 1-line block ×5, first 2 shown]
	v_exp_f32_e32 v81, v81
	v_cndmask_b32_e64 v79, 0x7f800000, v79, s9
	v_cndmask_b32_e64 v80, 0x7f800000, v80, s10
	v_ldexp_f32 v74, v74, v82
	v_ldexp_f32 v75, v75, v83
	;; [unrolled: 1-line block ×5, first 2 shown]
	v_cvt_i32_f32_e32 v89, v105
	v_fmac_f32_e32 v68, v63, v79
	v_fmac_f32_e32 v67, v64, v80
	v_cvt_f16_f32_e32 v63, v79
	v_cvt_f16_f32_e32 v64, v80
	v_cndmask_b32_e64 v74, 0, v74, s11
	v_cndmask_b32_e64 v75, 0, v75, s12
	;; [unrolled: 1-line block ×5, first 2 shown]
	v_ldexp_f32 v81, v81, v89
	v_mul_u32_u24_sdwa v63, v63, v43 dst_sel:DWORD dst_unused:UNUSED_PAD src0_sel:WORD_0 src1_sel:DWORD
	v_mul_u32_u24_sdwa v64, v64, v43 dst_sel:DWORD dst_unused:UNUSED_PAD src0_sel:WORD_0 src1_sel:DWORD
	v_cndmask_b32_e64 v74, 0x7f800000, v74, s1
	v_cndmask_b32_e64 v75, 0x7f800000, v75, s2
	;; [unrolled: 1-line block ×6, first 2 shown]
	v_pk_mul_f16 v132, v46, v63
	v_pk_mul_f16 v133, v47, v63
	;; [unrolled: 1-line block ×4, first 2 shown]
	v_fmac_f32_e32 v73, v58, v74
	v_fmac_f32_e32 v72, v59, v75
	;; [unrolled: 1-line block ×5, first 2 shown]
	v_cvt_f16_f32_e32 v58, v74
	v_cvt_f16_f32_e32 v59, v75
	;; [unrolled: 1-line block ×5, first 2 shown]
	v_cndmask_b32_e64 v81, 0x7f800000, v81, s19
	v_mul_u32_u24_sdwa v58, v58, v43 dst_sel:DWORD dst_unused:UNUSED_PAD src0_sel:WORD_0 src1_sel:DWORD
	v_mul_u32_u24_sdwa v59, v59, v43 dst_sel:DWORD dst_unused:UNUSED_PAD src0_sel:WORD_0 src1_sel:DWORD
	;; [unrolled: 1-line block ×5, first 2 shown]
	v_fmac_f32_e32 v66, v65, v81
	v_cvt_f16_f32_e32 v65, v81
	v_pk_mul_f16 v122, v56, v58
	v_pk_mul_f16 v123, v57, v58
	;; [unrolled: 1-line block ×10, first 2 shown]
	v_mul_u32_u24_sdwa v65, v65, v43 dst_sel:DWORD dst_unused:UNUSED_PAD src0_sel:WORD_0 src1_sel:DWORD
	v_pk_mul_f16 v32, v32, v65
	v_pk_mul_f16 v31, v31, v65
	s_waitcnt vmcnt(0)
	ds_write_b128 v40, v[9:12]
	s_waitcnt lgkmcnt(0)
	s_barrier
	buffer_gl0_inv
	ds_read_b128 v[44:47], v37
	ds_read_b128 v[48:51], v37 offset:16
	ds_read_b128 v[52:55], v37 offset:32
	;; [unrolled: 1-line block ×9, first 2 shown]
	ds_read2_b64 v[94:97], v39 offset1:18
	ds_read2_b64 v[98:101], v39 offset0:36 offset1:54
	ds_read2_b64 v[102:105], v39 offset0:72 offset1:90
	;; [unrolled: 1-line block ×5, first 2 shown]
	ds_read_b128 v[114:117], v37 offset:160
	ds_read_b128 v[118:121], v37 offset:176
	s_waitcnt lgkmcnt(16)
	v_mul_u32_u24_sdwa v138, v48, v43 dst_sel:DWORD dst_unused:UNUSED_PAD src0_sel:WORD_0 src1_sel:DWORD
	v_mul_u32_u24_sdwa v48, v48, v43 dst_sel:DWORD dst_unused:UNUSED_PAD src0_sel:WORD_1 src1_sel:DWORD
	v_mul_u32_u24_sdwa v139, v49, v43 dst_sel:DWORD dst_unused:UNUSED_PAD src0_sel:WORD_0 src1_sel:DWORD
	v_mul_u32_u24_sdwa v49, v49, v43 dst_sel:DWORD dst_unused:UNUSED_PAD src0_sel:WORD_1 src1_sel:DWORD
	v_mul_u32_u24_sdwa v140, v50, v43 dst_sel:DWORD dst_unused:UNUSED_PAD src0_sel:WORD_0 src1_sel:DWORD
	v_mul_u32_u24_sdwa v50, v50, v43 dst_sel:DWORD dst_unused:UNUSED_PAD src0_sel:WORD_1 src1_sel:DWORD
	v_mul_u32_u24_sdwa v141, v51, v43 dst_sel:DWORD dst_unused:UNUSED_PAD src0_sel:WORD_0 src1_sel:DWORD
	v_mul_u32_u24_sdwa v51, v51, v43 dst_sel:DWORD dst_unused:UNUSED_PAD src0_sel:WORD_1 src1_sel:DWORD
	s_waitcnt lgkmcnt(15)
	v_mul_u32_u24_sdwa v142, v52, v43 dst_sel:DWORD dst_unused:UNUSED_PAD src0_sel:WORD_0 src1_sel:DWORD
	v_mul_u32_u24_sdwa v52, v52, v43 dst_sel:DWORD dst_unused:UNUSED_PAD src0_sel:WORD_1 src1_sel:DWORD
	v_mul_u32_u24_sdwa v143, v53, v43 dst_sel:DWORD dst_unused:UNUSED_PAD src0_sel:WORD_0 src1_sel:DWORD
	v_mul_u32_u24_sdwa v53, v53, v43 dst_sel:DWORD dst_unused:UNUSED_PAD src0_sel:WORD_1 src1_sel:DWORD
	;; [unrolled: 2-line block ×3, first 2 shown]
	v_mul_u32_u24_sdwa v145, v55, v43 dst_sel:DWORD dst_unused:UNUSED_PAD src0_sel:WORD_0 src1_sel:DWORD
	v_mul_u32_u24_sdwa v65, v44, v43 dst_sel:DWORD dst_unused:UNUSED_PAD src0_sel:WORD_0 src1_sel:DWORD
	v_mul_u32_u24_sdwa v44, v44, v43 dst_sel:DWORD dst_unused:UNUSED_PAD src0_sel:WORD_1 src1_sel:DWORD
	v_mul_u32_u24_sdwa v135, v45, v43 dst_sel:DWORD dst_unused:UNUSED_PAD src0_sel:WORD_0 src1_sel:DWORD
	v_mul_u32_u24_sdwa v45, v45, v43 dst_sel:DWORD dst_unused:UNUSED_PAD src0_sel:WORD_1 src1_sel:DWORD
	;; [unrolled: 2-line block ×4, first 2 shown]
	s_waitcnt lgkmcnt(7)
	v_pk_fma_f16 v122, v94, v65, v122
	v_pk_fma_f16 v65, v95, v65, v123
	;; [unrolled: 1-line block ×16, first 2 shown]
	v_mul_u32_u24_sdwa v55, v55, v43 dst_sel:DWORD dst_unused:UNUSED_PAD src0_sel:WORD_1 src1_sel:DWORD
	v_pk_fma_f16 v47, v96, v138, v122
	v_pk_fma_f16 v94, v96, v48, v123
	v_pk_fma_f16 v95, v96, v139, v124
	v_pk_fma_f16 v65, v97, v138, v65
	v_pk_fma_f16 v44, v97, v48, v44
	v_pk_fma_f16 v48, v97, v139, v125
	v_pk_fma_f16 v122, v96, v49, v126
	v_pk_fma_f16 v123, v96, v140, v127
	v_pk_fma_f16 v124, v96, v50, v129
	v_pk_fma_f16 v125, v96, v141, v130
	v_pk_fma_f16 v45, v97, v49, v45
	v_pk_fma_f16 v49, v97, v140, v128
	v_pk_fma_f16 v46, v97, v50, v46
	v_pk_fma_f16 v50, v97, v141, v64
	v_pk_fma_f16 v32, v96, v51, v32
	v_pk_fma_f16 v31, v97, v51, v31
	v_mul_u32_u24_sdwa v146, v56, v43 dst_sel:DWORD dst_unused:UNUSED_PAD src0_sel:WORD_0 src1_sel:DWORD
	v_mul_u32_u24_sdwa v56, v56, v43 dst_sel:DWORD dst_unused:UNUSED_PAD src0_sel:WORD_1 src1_sel:DWORD
	v_mul_u32_u24_sdwa v147, v57, v43 dst_sel:DWORD dst_unused:UNUSED_PAD src0_sel:WORD_0 src1_sel:DWORD
	v_mul_u32_u24_sdwa v57, v57, v43 dst_sel:DWORD dst_unused:UNUSED_PAD src0_sel:WORD_1 src1_sel:DWORD
	v_mul_u32_u24_sdwa v148, v58, v43 dst_sel:DWORD dst_unused:UNUSED_PAD src0_sel:WORD_0 src1_sel:DWORD
	v_mul_u32_u24_sdwa v58, v58, v43 dst_sel:DWORD dst_unused:UNUSED_PAD src0_sel:WORD_1 src1_sel:DWORD
	v_mul_u32_u24_sdwa v149, v59, v43 dst_sel:DWORD dst_unused:UNUSED_PAD src0_sel:WORD_0 src1_sel:DWORD
	v_mul_u32_u24_sdwa v59, v59, v43 dst_sel:DWORD dst_unused:UNUSED_PAD src0_sel:WORD_1 src1_sel:DWORD
	s_waitcnt lgkmcnt(6)
	v_pk_fma_f16 v47, v98, v142, v47
	v_pk_fma_f16 v51, v98, v52, v94
	v_pk_fma_f16 v64, v98, v143, v95
	v_pk_fma_f16 v65, v99, v142, v65
	v_pk_fma_f16 v44, v99, v52, v44
	v_pk_fma_f16 v48, v99, v143, v48
	v_pk_fma_f16 v52, v98, v53, v122
	v_pk_fma_f16 v94, v98, v144, v123
	v_pk_fma_f16 v95, v98, v54, v124
	v_pk_fma_f16 v96, v98, v145, v125
	v_pk_fma_f16 v45, v99, v53, v45
	v_pk_fma_f16 v49, v99, v144, v49
	v_pk_fma_f16 v46, v99, v54, v46
	v_pk_fma_f16 v50, v99, v145, v50
	v_pk_fma_f16 v32, v98, v55, v32
	v_pk_fma_f16 v31, v99, v55, v31
	v_mul_u32_u24_sdwa v150, v60, v43 dst_sel:DWORD dst_unused:UNUSED_PAD src0_sel:WORD_0 src1_sel:DWORD
	v_mul_u32_u24_sdwa v60, v60, v43 dst_sel:DWORD dst_unused:UNUSED_PAD src0_sel:WORD_1 src1_sel:DWORD
	v_mul_u32_u24_sdwa v151, v61, v43 dst_sel:DWORD dst_unused:UNUSED_PAD src0_sel:WORD_0 src1_sel:DWORD
	v_mul_u32_u24_sdwa v61, v61, v43 dst_sel:DWORD dst_unused:UNUSED_PAD src0_sel:WORD_1 src1_sel:DWORD
	v_mul_u32_u24_sdwa v152, v62, v43 dst_sel:DWORD dst_unused:UNUSED_PAD src0_sel:WORD_0 src1_sel:DWORD
	v_mul_u32_u24_sdwa v62, v62, v43 dst_sel:DWORD dst_unused:UNUSED_PAD src0_sel:WORD_1 src1_sel:DWORD
	v_mul_u32_u24_sdwa v153, v63, v43 dst_sel:DWORD dst_unused:UNUSED_PAD src0_sel:WORD_0 src1_sel:DWORD
	v_mul_u32_u24_sdwa v63, v63, v43 dst_sel:DWORD dst_unused:UNUSED_PAD src0_sel:WORD_1 src1_sel:DWORD
	v_pk_fma_f16 v47, v100, v146, v47
	v_pk_fma_f16 v51, v100, v56, v51
	v_pk_fma_f16 v53, v100, v147, v64
	v_pk_fma_f16 v54, v101, v146, v65
	v_pk_fma_f16 v44, v101, v56, v44
	v_pk_fma_f16 v48, v101, v147, v48
	v_pk_fma_f16 v52, v100, v57, v52
	v_pk_fma_f16 v55, v100, v148, v94
	v_pk_fma_f16 v56, v100, v58, v95
	v_pk_fma_f16 v64, v100, v149, v96
	v_pk_fma_f16 v45, v101, v57, v45
	v_pk_fma_f16 v49, v101, v148, v49
	v_pk_fma_f16 v46, v101, v58, v46
	v_pk_fma_f16 v50, v101, v149, v50
	v_pk_fma_f16 v32, v100, v59, v32
	v_pk_fma_f16 v31, v101, v59, v31
	v_mul_u32_u24_sdwa v154, v74, v43 dst_sel:DWORD dst_unused:UNUSED_PAD src0_sel:WORD_0 src1_sel:DWORD
	v_mul_u32_u24_sdwa v74, v74, v43 dst_sel:DWORD dst_unused:UNUSED_PAD src0_sel:WORD_1 src1_sel:DWORD
	v_mul_u32_u24_sdwa v155, v75, v43 dst_sel:DWORD dst_unused:UNUSED_PAD src0_sel:WORD_0 src1_sel:DWORD
	v_mul_u32_u24_sdwa v75, v75, v43 dst_sel:DWORD dst_unused:UNUSED_PAD src0_sel:WORD_1 src1_sel:DWORD
	v_mul_u32_u24_sdwa v156, v76, v43 dst_sel:DWORD dst_unused:UNUSED_PAD src0_sel:WORD_0 src1_sel:DWORD
	v_mul_u32_u24_sdwa v76, v76, v43 dst_sel:DWORD dst_unused:UNUSED_PAD src0_sel:WORD_1 src1_sel:DWORD
	v_mul_u32_u24_sdwa v157, v77, v43 dst_sel:DWORD dst_unused:UNUSED_PAD src0_sel:WORD_0 src1_sel:DWORD
	v_mul_u32_u24_sdwa v77, v77, v43 dst_sel:DWORD dst_unused:UNUSED_PAD src0_sel:WORD_1 src1_sel:DWORD
	s_waitcnt lgkmcnt(5)
	v_pk_fma_f16 v47, v102, v150, v47
	v_pk_fma_f16 v51, v102, v60, v51
	v_pk_fma_f16 v53, v102, v151, v53
	v_pk_fma_f16 v52, v102, v61, v52
	v_pk_fma_f16 v55, v102, v152, v55
	v_pk_fma_f16 v56, v102, v62, v56
	v_pk_fma_f16 v57, v102, v153, v64
	v_pk_fma_f16 v32, v102, v63, v32
	v_pk_fma_f16 v54, v103, v150, v54
	v_pk_fma_f16 v44, v103, v60, v44
	v_pk_fma_f16 v48, v103, v151, v48
	v_pk_fma_f16 v45, v103, v61, v45
	v_pk_fma_f16 v49, v103, v152, v49
	v_pk_fma_f16 v46, v103, v62, v46
	v_pk_fma_f16 v50, v103, v153, v50
	v_pk_fma_f16 v31, v103, v63, v31
	v_mul_u32_u24_sdwa v158, v78, v43 dst_sel:DWORD dst_unused:UNUSED_PAD src0_sel:WORD_0 src1_sel:DWORD
	v_mul_u32_u24_sdwa v78, v78, v43 dst_sel:DWORD dst_unused:UNUSED_PAD src0_sel:WORD_1 src1_sel:DWORD
	v_mul_u32_u24_sdwa v159, v79, v43 dst_sel:DWORD dst_unused:UNUSED_PAD src0_sel:WORD_0 src1_sel:DWORD
	v_mul_u32_u24_sdwa v79, v79, v43 dst_sel:DWORD dst_unused:UNUSED_PAD src0_sel:WORD_1 src1_sel:DWORD
	v_mul_u32_u24_sdwa v160, v80, v43 dst_sel:DWORD dst_unused:UNUSED_PAD src0_sel:WORD_0 src1_sel:DWORD
	v_mul_u32_u24_sdwa v80, v80, v43 dst_sel:DWORD dst_unused:UNUSED_PAD src0_sel:WORD_1 src1_sel:DWORD
	v_mul_u32_u24_sdwa v161, v81, v43 dst_sel:DWORD dst_unused:UNUSED_PAD src0_sel:WORD_0 src1_sel:DWORD
	;; [unrolled: 49-line block ×3, first 2 shown]
	v_mul_u32_u24_sdwa v89, v89, v43 dst_sel:DWORD dst_unused:UNUSED_PAD src0_sel:WORD_1 src1_sel:DWORD
	v_pk_fma_f16 v47, v108, v162, v47
	v_pk_fma_f16 v51, v108, v82, v51
	;; [unrolled: 1-line block ×16, first 2 shown]
	v_mul_u32_u24_sdwa v170, v90, v43 dst_sel:DWORD dst_unused:UNUSED_PAD src0_sel:WORD_0 src1_sel:DWORD
	v_mul_u32_u24_sdwa v90, v90, v43 dst_sel:DWORD dst_unused:UNUSED_PAD src0_sel:WORD_1 src1_sel:DWORD
	v_mul_u32_u24_sdwa v171, v91, v43 dst_sel:DWORD dst_unused:UNUSED_PAD src0_sel:WORD_0 src1_sel:DWORD
	v_mul_u32_u24_sdwa v91, v91, v43 dst_sel:DWORD dst_unused:UNUSED_PAD src0_sel:WORD_1 src1_sel:DWORD
	;; [unrolled: 2-line block ×4, first 2 shown]
	s_waitcnt lgkmcnt(3)
	v_pk_fma_f16 v47, v110, v166, v47
	v_pk_fma_f16 v51, v110, v86, v51
	;; [unrolled: 1-line block ×16, first 2 shown]
	s_waitcnt lgkmcnt(1)
	v_mul_u32_u24_sdwa v174, v114, v43 dst_sel:DWORD dst_unused:UNUSED_PAD src0_sel:WORD_0 src1_sel:DWORD
	v_mul_u32_u24_sdwa v114, v114, v43 dst_sel:DWORD dst_unused:UNUSED_PAD src0_sel:WORD_1 src1_sel:DWORD
	v_mul_u32_u24_sdwa v175, v115, v43 dst_sel:DWORD dst_unused:UNUSED_PAD src0_sel:WORD_0 src1_sel:DWORD
	v_mul_u32_u24_sdwa v115, v115, v43 dst_sel:DWORD dst_unused:UNUSED_PAD src0_sel:WORD_1 src1_sel:DWORD
	;; [unrolled: 2-line block ×4, first 2 shown]
	v_pk_fma_f16 v47, v112, v170, v47
	v_pk_fma_f16 v51, v112, v90, v51
	;; [unrolled: 1-line block ×32, first 2 shown]
	s_waitcnt lgkmcnt(0)
	v_mul_u32_u24_sdwa v31, v118, v43 dst_sel:DWORD dst_unused:UNUSED_PAD src0_sel:WORD_0 src1_sel:DWORD
	v_mul_u32_u24_sdwa v64, v118, v43 dst_sel:DWORD dst_unused:UNUSED_PAD src0_sel:WORD_1 src1_sel:DWORD
	v_mul_u32_u24_sdwa v65, v119, v43 dst_sel:DWORD dst_unused:UNUSED_PAD src0_sel:WORD_0 src1_sel:DWORD
	v_mul_u32_u24_sdwa v74, v119, v43 dst_sel:DWORD dst_unused:UNUSED_PAD src0_sel:WORD_1 src1_sel:DWORD
	;; [unrolled: 2-line block ×3, first 2 shown]
	v_mul_u32_u24_sdwa v77, v121, v43 dst_sel:DWORD dst_unused:UNUSED_PAD src0_sel:WORD_0 src1_sel:DWORD
	ds_read_b128 v[44:47], v37 offset:192
	v_mul_u32_u24_sdwa v78, v121, v43 dst_sel:DWORD dst_unused:UNUSED_PAD src0_sel:WORD_1 src1_sel:DWORD
	v_pk_fma_f16 v58, v11, v31, v58
	v_pk_fma_f16 v79, v11, v64, v51
	;; [unrolled: 1-line block ×6, first 2 shown]
	ds_read2_b64 v[48:51], v39 offset0:216 offset1:234
	v_pk_fma_f16 v57, v11, v77, v57
	v_pk_fma_f16 v80, v11, v78, v9
	;; [unrolled: 1-line block ×10, first 2 shown]
	ds_read_b128 v[9:12], v37 offset:208
	s_waitcnt lgkmcnt(2)
	v_mul_u32_u24_sdwa v64, v44, v43 dst_sel:DWORD dst_unused:UNUSED_PAD src0_sel:WORD_0 src1_sel:DWORD
	v_mul_u32_u24_sdwa v44, v44, v43 dst_sel:DWORD dst_unused:UNUSED_PAD src0_sel:WORD_1 src1_sel:DWORD
	v_mul_u32_u24_sdwa v65, v45, v43 dst_sel:DWORD dst_unused:UNUSED_PAD src0_sel:WORD_0 src1_sel:DWORD
	v_mul_u32_u24_sdwa v45, v45, v43 dst_sel:DWORD dst_unused:UNUSED_PAD src0_sel:WORD_1 src1_sel:DWORD
	;; [unrolled: 2-line block ×4, first 2 shown]
	s_waitcnt lgkmcnt(1)
	v_pk_fma_f16 v58, v48, v64, v58
	v_pk_fma_f16 v76, v48, v44, v79
	;; [unrolled: 1-line block ×16, first 2 shown]
	s_waitcnt lgkmcnt(0)
	v_mul_u32_u24_sdwa v63, v9, v43 dst_sel:DWORD dst_unused:UNUSED_PAD src0_sel:WORD_0 src1_sel:DWORD
	v_mul_u32_u24_sdwa v64, v9, v43 dst_sel:DWORD dst_unused:UNUSED_PAD src0_sel:WORD_1 src1_sel:DWORD
	v_mul_u32_u24_sdwa v65, v10, v43 dst_sel:DWORD dst_unused:UNUSED_PAD src0_sel:WORD_0 src1_sel:DWORD
	v_mul_u32_u24_sdwa v74, v10, v43 dst_sel:DWORD dst_unused:UNUSED_PAD src0_sel:WORD_1 src1_sel:DWORD
	;; [unrolled: 2-line block ×4, first 2 shown]
	ds_read_b128 v[9:12], v37 offset:224
	v_add_nc_u32_e32 v44, 0x400, v39
	v_pk_fma_f16 v58, v50, v63, v58
	v_pk_fma_f16 v76, v50, v64, v76
	;; [unrolled: 1-line block ×6, first 2 shown]
	ds_read2_b64 v[44:47], v44 offset0:124 offset1:142
	v_pk_fma_f16 v57, v50, v78, v57
	v_pk_fma_f16 v80, v50, v79, v48
	;; [unrolled: 1-line block ×10, first 2 shown]
	ds_read_b128 v[48:51], v37 offset:240
	s_waitcnt lgkmcnt(2)
	v_mul_u32_u24_sdwa v64, v9, v43 dst_sel:DWORD dst_unused:UNUSED_PAD src0_sel:WORD_0 src1_sel:DWORD
	v_mul_u32_u24_sdwa v9, v9, v43 dst_sel:DWORD dst_unused:UNUSED_PAD src0_sel:WORD_1 src1_sel:DWORD
	v_mul_u32_u24_sdwa v65, v10, v43 dst_sel:DWORD dst_unused:UNUSED_PAD src0_sel:WORD_0 src1_sel:DWORD
	v_mul_u32_u24_sdwa v10, v10, v43 dst_sel:DWORD dst_unused:UNUSED_PAD src0_sel:WORD_1 src1_sel:DWORD
	v_mul_u32_u24_sdwa v74, v11, v43 dst_sel:DWORD dst_unused:UNUSED_PAD src0_sel:WORD_0 src1_sel:DWORD
	v_mul_u32_u24_sdwa v11, v11, v43 dst_sel:DWORD dst_unused:UNUSED_PAD src0_sel:WORD_1 src1_sel:DWORD
	v_mul_u32_u24_sdwa v75, v12, v43 dst_sel:DWORD dst_unused:UNUSED_PAD src0_sel:WORD_0 src1_sel:DWORD
	v_mul_u32_u24_sdwa v12, v12, v43 dst_sel:DWORD dst_unused:UNUSED_PAD src0_sel:WORD_1 src1_sel:DWORD
	s_waitcnt lgkmcnt(1)
	v_pk_fma_f16 v58, v44, v64, v58
	v_pk_fma_f16 v76, v44, v9, v76
	v_pk_fma_f16 v53, v44, v65, v53
	v_pk_fma_f16 v52, v44, v10, v52
	v_pk_fma_f16 v55, v44, v74, v55
	v_pk_fma_f16 v56, v44, v11, v56
	v_pk_fma_f16 v57, v44, v75, v57
	v_pk_fma_f16 v44, v44, v12, v80
	v_pk_fma_f16 v31, v45, v64, v31
	v_pk_fma_f16 v32, v45, v9, v32
	v_pk_fma_f16 v54, v45, v65, v54
	v_pk_fma_f16 v59, v45, v10, v59
	v_pk_fma_f16 v60, v45, v74, v60
	v_pk_fma_f16 v61, v45, v11, v61
	v_pk_fma_f16 v62, v45, v75, v62
	v_pk_fma_f16 v45, v45, v12, v63
	s_waitcnt lgkmcnt(0)
	v_mul_u32_u24_sdwa v63, v48, v43 dst_sel:DWORD dst_unused:UNUSED_PAD src0_sel:WORD_0 src1_sel:DWORD
	v_mul_u32_u24_sdwa v64, v48, v43 dst_sel:DWORD dst_unused:UNUSED_PAD src0_sel:WORD_1 src1_sel:DWORD
	v_mul_u32_u24_sdwa v65, v49, v43 dst_sel:DWORD dst_unused:UNUSED_PAD src0_sel:WORD_0 src1_sel:DWORD
	v_mul_u32_u24_sdwa v74, v49, v43 dst_sel:DWORD dst_unused:UNUSED_PAD src0_sel:WORD_1 src1_sel:DWORD
	;; [unrolled: 2-line block ×4, first 2 shown]
	ds_read_b128 v[9:12], v37 offset:256
	v_add_nc_u32_e32 v80, 0x800, v39
	v_pk_fma_f16 v58, v46, v63, v58
	v_pk_fma_f16 v76, v46, v64, v76
	v_pk_fma_f16 v53, v46, v65, v53
	v_pk_fma_f16 v52, v46, v74, v52
	v_pk_fma_f16 v55, v46, v75, v55
	v_pk_fma_f16 v56, v46, v77, v56
	ds_read2_b64 v[48:51], v80 offset0:32 offset1:50
	v_pk_fma_f16 v57, v46, v78, v57
	v_pk_fma_f16 v81, v46, v79, v44
	v_pk_fma_f16 v31, v47, v63, v31
	v_pk_fma_f16 v32, v47, v64, v32
	v_pk_fma_f16 v54, v47, v65, v54
	v_pk_fma_f16 v59, v47, v74, v59
	v_pk_fma_f16 v60, v47, v75, v60
	v_pk_fma_f16 v61, v47, v77, v61
	v_pk_fma_f16 v62, v47, v78, v62
	v_pk_fma_f16 v63, v47, v79, v45
	ds_read_b128 v[44:47], v37 offset:272
	s_waitcnt lgkmcnt(2)
	v_mul_u32_u24_sdwa v64, v9, v43 dst_sel:DWORD dst_unused:UNUSED_PAD src0_sel:WORD_0 src1_sel:DWORD
	v_mul_u32_u24_sdwa v9, v9, v43 dst_sel:DWORD dst_unused:UNUSED_PAD src0_sel:WORD_1 src1_sel:DWORD
	v_mul_u32_u24_sdwa v65, v10, v43 dst_sel:DWORD dst_unused:UNUSED_PAD src0_sel:WORD_0 src1_sel:DWORD
	v_mul_u32_u24_sdwa v10, v10, v43 dst_sel:DWORD dst_unused:UNUSED_PAD src0_sel:WORD_1 src1_sel:DWORD
	v_mul_u32_u24_sdwa v74, v11, v43 dst_sel:DWORD dst_unused:UNUSED_PAD src0_sel:WORD_0 src1_sel:DWORD
	v_mul_u32_u24_sdwa v11, v11, v43 dst_sel:DWORD dst_unused:UNUSED_PAD src0_sel:WORD_1 src1_sel:DWORD
	v_mul_u32_u24_sdwa v75, v12, v43 dst_sel:DWORD dst_unused:UNUSED_PAD src0_sel:WORD_0 src1_sel:DWORD
	v_mul_u32_u24_sdwa v12, v12, v43 dst_sel:DWORD dst_unused:UNUSED_PAD src0_sel:WORD_1 src1_sel:DWORD
	s_waitcnt lgkmcnt(1)
	v_pk_fma_f16 v58, v48, v64, v58
	v_pk_fma_f16 v76, v48, v9, v76
	v_pk_fma_f16 v53, v48, v65, v53
	v_pk_fma_f16 v52, v48, v10, v52
	v_pk_fma_f16 v55, v48, v74, v55
	v_pk_fma_f16 v56, v48, v11, v56
	v_pk_fma_f16 v57, v48, v75, v57
	v_pk_fma_f16 v48, v48, v12, v81
	v_pk_fma_f16 v31, v49, v64, v31
	v_pk_fma_f16 v32, v49, v9, v32
	v_pk_fma_f16 v54, v49, v65, v54
	v_pk_fma_f16 v59, v49, v10, v59
	v_pk_fma_f16 v60, v49, v74, v60
	v_pk_fma_f16 v61, v49, v11, v61
	v_pk_fma_f16 v62, v49, v75, v62
	v_pk_fma_f16 v49, v49, v12, v63
	s_waitcnt lgkmcnt(0)
	v_mul_u32_u24_sdwa v63, v44, v43 dst_sel:DWORD dst_unused:UNUSED_PAD src0_sel:WORD_0 src1_sel:DWORD
	v_mul_u32_u24_sdwa v64, v44, v43 dst_sel:DWORD dst_unused:UNUSED_PAD src0_sel:WORD_1 src1_sel:DWORD
	v_mul_u32_u24_sdwa v65, v45, v43 dst_sel:DWORD dst_unused:UNUSED_PAD src0_sel:WORD_0 src1_sel:DWORD
	v_mul_u32_u24_sdwa v74, v45, v43 dst_sel:DWORD dst_unused:UNUSED_PAD src0_sel:WORD_1 src1_sel:DWORD
	v_mul_u32_u24_sdwa v75, v46, v43 dst_sel:DWORD dst_unused:UNUSED_PAD src0_sel:WORD_0 src1_sel:DWORD
	v_mul_u32_u24_sdwa v77, v46, v43 dst_sel:DWORD dst_unused:UNUSED_PAD src0_sel:WORD_1 src1_sel:DWORD
	v_mul_u32_u24_sdwa v78, v47, v43 dst_sel:DWORD dst_unused:UNUSED_PAD src0_sel:WORD_0 src1_sel:DWORD
	ds_read_b128 v[9:12], v37 offset:288
	v_mul_u32_u24_sdwa v79, v47, v43 dst_sel:DWORD dst_unused:UNUSED_PAD src0_sel:WORD_1 src1_sel:DWORD
	v_pk_fma_f16 v58, v50, v63, v58
	v_pk_fma_f16 v76, v50, v64, v76
	v_pk_fma_f16 v53, v50, v65, v53
	v_pk_fma_f16 v52, v50, v74, v52
	v_pk_fma_f16 v55, v50, v75, v55
	v_pk_fma_f16 v56, v50, v77, v56
	ds_read2_b64 v[44:47], v80 offset0:68 offset1:86
	v_pk_fma_f16 v57, v50, v78, v57
	v_pk_fma_f16 v81, v50, v79, v48
	v_pk_fma_f16 v31, v51, v63, v31
	v_pk_fma_f16 v32, v51, v64, v32
	v_pk_fma_f16 v54, v51, v65, v54
	v_pk_fma_f16 v59, v51, v74, v59
	v_pk_fma_f16 v60, v51, v75, v60
	v_pk_fma_f16 v61, v51, v77, v61
	v_pk_fma_f16 v62, v51, v78, v62
	v_pk_fma_f16 v63, v51, v79, v49
	ds_read_b128 v[48:51], v37 offset:304
	s_waitcnt lgkmcnt(2)
	v_mul_u32_u24_sdwa v64, v9, v43 dst_sel:DWORD dst_unused:UNUSED_PAD src0_sel:WORD_0 src1_sel:DWORD
	v_mul_u32_u24_sdwa v9, v9, v43 dst_sel:DWORD dst_unused:UNUSED_PAD src0_sel:WORD_1 src1_sel:DWORD
	v_mul_u32_u24_sdwa v65, v10, v43 dst_sel:DWORD dst_unused:UNUSED_PAD src0_sel:WORD_0 src1_sel:DWORD
	v_mul_u32_u24_sdwa v10, v10, v43 dst_sel:DWORD dst_unused:UNUSED_PAD src0_sel:WORD_1 src1_sel:DWORD
	v_mul_u32_u24_sdwa v74, v11, v43 dst_sel:DWORD dst_unused:UNUSED_PAD src0_sel:WORD_0 src1_sel:DWORD
	v_mul_u32_u24_sdwa v11, v11, v43 dst_sel:DWORD dst_unused:UNUSED_PAD src0_sel:WORD_1 src1_sel:DWORD
	v_mul_u32_u24_sdwa v75, v12, v43 dst_sel:DWORD dst_unused:UNUSED_PAD src0_sel:WORD_0 src1_sel:DWORD
	v_mul_u32_u24_sdwa v12, v12, v43 dst_sel:DWORD dst_unused:UNUSED_PAD src0_sel:WORD_1 src1_sel:DWORD
	s_waitcnt lgkmcnt(1)
	v_pk_fma_f16 v58, v44, v64, v58
	v_pk_fma_f16 v76, v44, v9, v76
	v_pk_fma_f16 v53, v44, v65, v53
	v_pk_fma_f16 v52, v44, v10, v52
	v_pk_fma_f16 v55, v44, v74, v55
	v_pk_fma_f16 v56, v44, v11, v56
	v_pk_fma_f16 v57, v44, v75, v57
	v_pk_fma_f16 v44, v44, v12, v81
	v_pk_fma_f16 v31, v45, v64, v31
	v_pk_fma_f16 v32, v45, v9, v32
	v_pk_fma_f16 v54, v45, v65, v54
	v_pk_fma_f16 v59, v45, v10, v59
	v_pk_fma_f16 v60, v45, v74, v60
	v_pk_fma_f16 v61, v45, v11, v61
	v_pk_fma_f16 v62, v45, v75, v62
	v_pk_fma_f16 v45, v45, v12, v63
	s_waitcnt lgkmcnt(0)
	v_mul_u32_u24_sdwa v63, v48, v43 dst_sel:DWORD dst_unused:UNUSED_PAD src0_sel:WORD_0 src1_sel:DWORD
	v_mul_u32_u24_sdwa v64, v48, v43 dst_sel:DWORD dst_unused:UNUSED_PAD src0_sel:WORD_1 src1_sel:DWORD
	v_mul_u32_u24_sdwa v65, v49, v43 dst_sel:DWORD dst_unused:UNUSED_PAD src0_sel:WORD_0 src1_sel:DWORD
	v_mul_u32_u24_sdwa v74, v49, v43 dst_sel:DWORD dst_unused:UNUSED_PAD src0_sel:WORD_1 src1_sel:DWORD
	v_mul_u32_u24_sdwa v75, v50, v43 dst_sel:DWORD dst_unused:UNUSED_PAD src0_sel:WORD_0 src1_sel:DWORD
	v_mul_u32_u24_sdwa v77, v50, v43 dst_sel:DWORD dst_unused:UNUSED_PAD src0_sel:WORD_1 src1_sel:DWORD
	v_mul_u32_u24_sdwa v78, v51, v43 dst_sel:DWORD dst_unused:UNUSED_PAD src0_sel:WORD_0 src1_sel:DWORD
	ds_read_b128 v[9:12], v37 offset:320
	v_mul_u32_u24_sdwa v79, v51, v43 dst_sel:DWORD dst_unused:UNUSED_PAD src0_sel:WORD_1 src1_sel:DWORD
	;; [unrolled: 54-line block ×5, first 2 shown]
	v_pk_fma_f16 v58, v50, v63, v58
	v_pk_fma_f16 v76, v50, v64, v76
	;; [unrolled: 1-line block ×6, first 2 shown]
	ds_read2_b64 v[44:47], v80 offset0:212 offset1:230
	v_pk_fma_f16 v57, v50, v78, v57
	v_pk_fma_f16 v80, v50, v79, v48
	;; [unrolled: 1-line block ×10, first 2 shown]
	ds_read_b128 v[48:51], v37 offset:432
	s_waitcnt lgkmcnt(2)
	v_mul_u32_u24_sdwa v64, v9, v43 dst_sel:DWORD dst_unused:UNUSED_PAD src0_sel:WORD_0 src1_sel:DWORD
	v_mul_u32_u24_sdwa v9, v9, v43 dst_sel:DWORD dst_unused:UNUSED_PAD src0_sel:WORD_1 src1_sel:DWORD
	v_mul_u32_u24_sdwa v65, v10, v43 dst_sel:DWORD dst_unused:UNUSED_PAD src0_sel:WORD_0 src1_sel:DWORD
	v_mul_u32_u24_sdwa v10, v10, v43 dst_sel:DWORD dst_unused:UNUSED_PAD src0_sel:WORD_1 src1_sel:DWORD
	;; [unrolled: 2-line block ×4, first 2 shown]
	s_waitcnt lgkmcnt(1)
	v_pk_fma_f16 v58, v44, v64, v58
	v_pk_fma_f16 v76, v44, v9, v76
	;; [unrolled: 1-line block ×16, first 2 shown]
	s_waitcnt lgkmcnt(0)
	v_mul_u32_u24_sdwa v63, v48, v43 dst_sel:DWORD dst_unused:UNUSED_PAD src0_sel:WORD_0 src1_sel:DWORD
	v_mul_u32_u24_sdwa v64, v48, v43 dst_sel:DWORD dst_unused:UNUSED_PAD src0_sel:WORD_1 src1_sel:DWORD
	v_mul_u32_u24_sdwa v65, v49, v43 dst_sel:DWORD dst_unused:UNUSED_PAD src0_sel:WORD_0 src1_sel:DWORD
	v_mul_u32_u24_sdwa v74, v49, v43 dst_sel:DWORD dst_unused:UNUSED_PAD src0_sel:WORD_1 src1_sel:DWORD
	;; [unrolled: 2-line block ×4, first 2 shown]
	ds_read_b128 v[9:12], v37 offset:448
	v_add_nc_u32_e32 v48, 0xc00, v39
	v_pk_fma_f16 v58, v46, v63, v58
	v_pk_fma_f16 v76, v46, v64, v76
	;; [unrolled: 1-line block ×6, first 2 shown]
	ds_read2_b64 v[48:51], v48 offset0:120 offset1:138
	v_pk_fma_f16 v57, v46, v78, v57
	v_pk_fma_f16 v80, v46, v79, v44
	;; [unrolled: 1-line block ×10, first 2 shown]
	ds_read_b128 v[44:47], v37 offset:464
	s_waitcnt lgkmcnt(2)
	v_mul_u32_u24_sdwa v64, v9, v43 dst_sel:DWORD dst_unused:UNUSED_PAD src0_sel:WORD_0 src1_sel:DWORD
	v_mul_u32_u24_sdwa v9, v9, v43 dst_sel:DWORD dst_unused:UNUSED_PAD src0_sel:WORD_1 src1_sel:DWORD
	v_mul_u32_u24_sdwa v65, v10, v43 dst_sel:DWORD dst_unused:UNUSED_PAD src0_sel:WORD_0 src1_sel:DWORD
	v_mul_u32_u24_sdwa v10, v10, v43 dst_sel:DWORD dst_unused:UNUSED_PAD src0_sel:WORD_1 src1_sel:DWORD
	;; [unrolled: 2-line block ×4, first 2 shown]
	s_waitcnt lgkmcnt(1)
	v_pk_fma_f16 v58, v48, v64, v58
	v_pk_fma_f16 v76, v48, v9, v76
	;; [unrolled: 1-line block ×16, first 2 shown]
	s_waitcnt lgkmcnt(0)
	v_mul_u32_u24_sdwa v63, v44, v43 dst_sel:DWORD dst_unused:UNUSED_PAD src0_sel:WORD_0 src1_sel:DWORD
	v_mul_u32_u24_sdwa v44, v44, v43 dst_sel:DWORD dst_unused:UNUSED_PAD src0_sel:WORD_1 src1_sel:DWORD
	v_mul_u32_u24_sdwa v64, v45, v43 dst_sel:DWORD dst_unused:UNUSED_PAD src0_sel:WORD_0 src1_sel:DWORD
	v_mul_u32_u24_sdwa v45, v45, v43 dst_sel:DWORD dst_unused:UNUSED_PAD src0_sel:WORD_1 src1_sel:DWORD
	;; [unrolled: 2-line block ×4, first 2 shown]
	ds_read_b128 v[9:12], v37 offset:480
	v_add_nc_u32_e32 v57, 0x1000, v39
	v_pk_fma_f16 v75, v50, v63, v58
	v_pk_fma_f16 v76, v50, v44, v76
	;; [unrolled: 1-line block ×6, first 2 shown]
	ds_read2_b64 v[55:58], v57 offset0:28 offset1:46
	v_pk_fma_f16 v77, v50, v74, v77
	v_pk_fma_f16 v48, v50, v47, v48
	;; [unrolled: 1-line block ×8, first 2 shown]
	ds_read_b128 v[44:47], v37 offset:496
	s_waitcnt lgkmcnt(0)
	s_barrier
	buffer_gl0_inv
	s_load_dword s1, s[26:27], 0x4
	v_pk_fma_f16 v31, v51, v63, v31
	v_pk_fma_f16 v61, v51, v74, v62
	v_mul_u32_u24_sdwa v51, v9, v43 dst_sel:DWORD dst_unused:UNUSED_PAD src0_sel:WORD_0 src1_sel:DWORD
	v_mul_u32_u24_sdwa v9, v9, v43 dst_sel:DWORD dst_unused:UNUSED_PAD src0_sel:WORD_1 src1_sel:DWORD
	v_mul_u32_u24_sdwa v62, v10, v43 dst_sel:DWORD dst_unused:UNUSED_PAD src0_sel:WORD_0 src1_sel:DWORD
	v_mul_u32_u24_sdwa v10, v10, v43 dst_sel:DWORD dst_unused:UNUSED_PAD src0_sel:WORD_1 src1_sel:DWORD
	;; [unrolled: 2-line block ×4, first 2 shown]
	v_pk_fma_f16 v65, v55, v51, v75
	v_pk_fma_f16 v74, v55, v9, v76
	;; [unrolled: 1-line block ×16, first 2 shown]
	v_mul_u32_u24_sdwa v49, v44, v43 dst_sel:DWORD dst_unused:UNUSED_PAD src0_sel:WORD_0 src1_sel:DWORD
	v_mul_u32_u24_sdwa v61, v44, v43 dst_sel:DWORD dst_unused:UNUSED_PAD src0_sel:WORD_1 src1_sel:DWORD
	v_mul_u32_u24_sdwa v62, v45, v43 dst_sel:DWORD dst_unused:UNUSED_PAD src0_sel:WORD_0 src1_sel:DWORD
	v_mul_u32_u24_sdwa v45, v45, v43 dst_sel:DWORD dst_unused:UNUSED_PAD src0_sel:WORD_1 src1_sel:DWORD
	;; [unrolled: 2-line block ×4, first 2 shown]
	s_waitcnt lgkmcnt(0)
	s_lshl_b32 s1, s1, 5
	v_pk_fma_f16 v56, v57, v49, v65
	v_pk_fma_f16 v54, v57, v61, v74
	;; [unrolled: 1-line block ×16, first 2 shown]
	s_add_i32 s23, s1, s23
	s_cmp_ge_i32 s23, s34
	s_cbranch_scc1 .LBB0_17
; %bb.16:                               ;   in Loop: Header=BB0_11 Depth=1
	v_mov_b32_e32 v9, v1
	v_mov_b32_e32 v10, v2
	;; [unrolled: 1-line block ×16, first 2 shown]
	s_branch .LBB0_11
.LBB0_17:
	v_mov_b32_e32 v9, v29
.LBB0_18:
	v_cmp_lt_i32_e32 vcc_lo, v30, v22
	s_cmp_lg_u64 s[24:25], 0
	s_cselect_b32 s1, -1, 0
	s_cmp_eq_u32 s7, 0
	v_cndmask_b32_e32 v10, v9, v30, vcc_lo
	v_cmp_lt_i32_e32 vcc_lo, v28, v22
	s_cselect_b32 s2, -1, 0
	s_and_b32 s1, s2, s1
	v_lshlrev_b32_e32 v10, 2, v10
	v_cndmask_b32_e32 v18, v9, v28, vcc_lo
	v_cmp_lt_i32_e32 vcc_lo, v27, v22
	ds_bpermute_b32 v11, v10, v73
	ds_bpermute_b32 v12, v10, v72
	;; [unrolled: 1-line block ×8, first 2 shown]
	v_lshlrev_b32_e32 v18, 2, v18
	v_cndmask_b32_e32 v27, v9, v27, vcc_lo
	v_cmp_lt_i32_e32 vcc_lo, v24, v22
	v_lshlrev_b32_e32 v27, 2, v27
	v_cndmask_b32_e32 v24, v9, v24, vcc_lo
	v_cmp_lt_i32_e32 vcc_lo, v23, v22
	v_lshlrev_b32_e32 v24, 2, v24
	s_waitcnt lgkmcnt(7)
	v_add_f32_e32 v11, v73, v11
	s_waitcnt lgkmcnt(6)
	v_add_f32_e32 v12, v72, v12
	;; [unrolled: 2-line block ×8, first 2 shown]
	ds_bpermute_b32 v19, v18, v11
	ds_bpermute_b32 v20, v18, v12
	;; [unrolled: 1-line block ×8, first 2 shown]
	v_cndmask_b32_e32 v9, v9, v23, vcc_lo
	s_and_b32 vcc_lo, exec_lo, s1
	v_lshlrev_b32_e32 v9, 2, v9
	s_waitcnt lgkmcnt(7)
	v_add_f32_e32 v11, v11, v19
	s_waitcnt lgkmcnt(6)
	v_add_f32_e32 v12, v12, v20
	s_waitcnt lgkmcnt(5)
	v_add_f32_e32 v13, v13, v21
	s_waitcnt lgkmcnt(4)
	v_add_f32_e32 v14, v14, v28
	s_waitcnt lgkmcnt(3)
	v_add_f32_e32 v15, v15, v29
	s_waitcnt lgkmcnt(2)
	v_add_f32_e32 v16, v16, v30
	s_waitcnt lgkmcnt(1)
	v_add_f32_e32 v17, v17, v33
	s_waitcnt lgkmcnt(0)
	v_add_f32_e32 v10, v10, v18
	ds_bpermute_b32 v18, v27, v11
	ds_bpermute_b32 v19, v27, v12
	ds_bpermute_b32 v20, v27, v13
	ds_bpermute_b32 v21, v27, v14
	ds_bpermute_b32 v28, v27, v15
	ds_bpermute_b32 v29, v27, v16
	ds_bpermute_b32 v30, v27, v17
	ds_bpermute_b32 v27, v27, v10
	s_waitcnt lgkmcnt(7)
	v_add_f32_e32 v11, v11, v18
	s_waitcnt lgkmcnt(6)
	v_add_f32_e32 v12, v12, v19
	s_waitcnt lgkmcnt(5)
	v_add_f32_e32 v13, v13, v20
	s_waitcnt lgkmcnt(4)
	v_add_f32_e32 v14, v14, v21
	s_waitcnt lgkmcnt(3)
	v_add_f32_e32 v15, v15, v28
	s_waitcnt lgkmcnt(2)
	v_add_f32_e32 v16, v16, v29
	s_waitcnt lgkmcnt(1)
	v_add_f32_e32 v17, v17, v30
	s_waitcnt lgkmcnt(0)
	v_add_f32_e32 v10, v10, v27
	ds_bpermute_b32 v18, v24, v11
	ds_bpermute_b32 v19, v24, v12
	ds_bpermute_b32 v20, v24, v13
	ds_bpermute_b32 v21, v24, v14
	ds_bpermute_b32 v27, v24, v15
	ds_bpermute_b32 v28, v24, v16
	ds_bpermute_b32 v29, v24, v17
	ds_bpermute_b32 v24, v24, v10
	s_waitcnt lgkmcnt(7)
	v_add_f32_e32 v11, v11, v18
	s_waitcnt lgkmcnt(6)
	v_add_f32_e32 v12, v12, v19
	s_waitcnt lgkmcnt(5)
	v_add_f32_e32 v13, v13, v20
	s_waitcnt lgkmcnt(4)
	v_add_f32_e32 v14, v14, v21
	s_waitcnt lgkmcnt(3)
	v_add_f32_e32 v15, v15, v27
	s_waitcnt lgkmcnt(2)
	v_add_f32_e32 v16, v16, v28
	s_waitcnt lgkmcnt(1)
	v_add_f32_e32 v17, v17, v29
	s_waitcnt lgkmcnt(0)
	v_add_f32_e32 v18, v10, v24
	ds_bpermute_b32 v10, v9, v11
	ds_bpermute_b32 v19, v9, v12
	ds_bpermute_b32 v20, v9, v13
	ds_bpermute_b32 v21, v9, v14
	ds_bpermute_b32 v22, v9, v15
	ds_bpermute_b32 v23, v9, v16
	ds_bpermute_b32 v24, v9, v17
	ds_bpermute_b32 v27, v9, v18
	s_waitcnt lgkmcnt(7)
	v_add_f32_e32 v9, v11, v10
	s_waitcnt lgkmcnt(6)
	v_add_f32_e32 v10, v12, v19
	;; [unrolled: 2-line block ×8, first 2 shown]
	s_cbranch_vccz .LBB0_21
; %bb.19:
	s_ashr_i32 s23, s22, 31
	v_mov_b32_e32 v17, 0
	s_lshl_b64 s[2:3], s[22:23], 2
	v_max_f32_e32 v18, v2, v2
	s_add_u32 s2, s24, s2
	s_addc_u32 s3, s25, s3
	v_max_f32_e32 v19, v3, v3
	s_clause 0x1
	global_load_dwordx4 v[33:36], v17, s[2:3]
	global_load_dwordx4 v[37:40], v17, s[2:3] offset:16
	v_max_f32_e32 v17, v1, v1
	v_max_f32_e32 v20, v4, v4
	;; [unrolled: 1-line block ×6, first 2 shown]
	v_mov_b32_e32 v27, 0x10001
	s_waitcnt vmcnt(1)
	v_max_f32_e32 v28, v33, v33
	v_max_f32_e32 v29, v34, v34
	;; [unrolled: 1-line block ×4, first 2 shown]
	s_waitcnt vmcnt(0)
	v_max_f32_e32 v42, v37, v37
	v_max_f32_e32 v43, v38, v38
	;; [unrolled: 1-line block ×12, first 2 shown]
	v_sub_f32_e32 v28, v1, v17
	v_sub_f32_e32 v29, v33, v17
	;; [unrolled: 1-line block ×10, first 2 shown]
	v_mov_b32_e32 v1, v17
	v_mov_b32_e32 v2, v18
	;; [unrolled: 1-line block ×8, first 2 shown]
	v_mul_f32_e32 v17, 0x3fb8aa3b, v28
	v_mul_f32_e32 v18, 0x3fb8aa3b, v29
	v_sub_f32_e32 v35, v35, v19
	v_mul_f32_e32 v19, 0x3fb8aa3b, v30
	v_sub_f32_e32 v36, v36, v20
	v_fma_f32 v68, 0x3fb8aa3b, v28, -v17
	v_rndne_f32_e32 v69, v17
	v_fma_f32 v70, 0x3fb8aa3b, v29, -v18
	v_rndne_f32_e32 v71, v18
	v_mul_f32_e32 v20, 0x3fb8aa3b, v33
	v_fmac_f32_e32 v68, 0x32a5705f, v28
	v_sub_f32_e32 v17, v17, v69
	v_fma_f32 v72, 0x3fb8aa3b, v30, -v19
	v_rndne_f32_e32 v73, v19
	v_fmac_f32_e32 v70, 0x32a5705f, v29
	v_sub_f32_e32 v18, v18, v71
	v_add_f32_e32 v17, v17, v68
	v_sub_f32_e32 v37, v37, v21
	v_mul_f32_e32 v21, 0x3fb8aa3b, v34
	v_fma_f32 v74, 0x3fb8aa3b, v33, -v20
	v_rndne_f32_e32 v75, v20
	v_fmac_f32_e32 v72, 0x32a5705f, v30
	v_sub_f32_e32 v19, v19, v73
	v_add_f32_e32 v18, v18, v70
	v_exp_f32_e32 v17, v17
	v_sub_f32_e32 v38, v38, v22
	v_mul_f32_e32 v22, 0x3fb8aa3b, v35
	v_fma_f32 v76, 0x3fb8aa3b, v34, -v21
	v_rndne_f32_e32 v77, v21
	v_cvt_i32_f32_e32 v69, v69
	v_fmac_f32_e32 v74, 0x32a5705f, v33
	v_sub_f32_e32 v20, v20, v75
	v_add_f32_e32 v19, v19, v72
	v_exp_f32_e32 v18, v18
	v_sub_f32_e32 v39, v39, v23
	v_mul_f32_e32 v23, 0x3fb8aa3b, v41
	v_fma_f32 v78, 0x3fb8aa3b, v35, -v22
	v_rndne_f32_e32 v79, v22
	v_cvt_i32_f32_e32 v71, v71
	v_fmac_f32_e32 v76, 0x32a5705f, v34
	v_sub_f32_e32 v21, v21, v77
	v_add_f32_e32 v20, v20, v74
	v_exp_f32_e32 v19, v19
	v_ldexp_f32 v17, v17, v69
	v_cmp_ngt_f32_e32 vcc_lo, 0xc2ce8ed0, v28
	v_sub_f32_e32 v40, v40, v24
	v_mul_f32_e32 v24, 0x3fb8aa3b, v36
	v_fma_f32 v80, 0x3fb8aa3b, v41, -v23
	v_rndne_f32_e32 v81, v23
	v_cvt_i32_f32_e32 v73, v73
	v_fmac_f32_e32 v78, 0x32a5705f, v35
	v_sub_f32_e32 v22, v22, v79
	v_add_f32_e32 v21, v21, v76
	v_exp_f32_e32 v20, v20
	v_ldexp_f32 v18, v18, v71
	v_cndmask_b32_e32 v17, 0, v17, vcc_lo
	v_cmp_ngt_f32_e32 vcc_lo, 0xc2ce8ed0, v29
	v_mul_f32_e32 v60, 0x3fb8aa3b, v42
	v_fma_f32 v82, 0x3fb8aa3b, v36, -v24
	v_rndne_f32_e32 v83, v24
	v_cvt_i32_f32_e32 v75, v75
	v_fmac_f32_e32 v80, 0x32a5705f, v41
	v_sub_f32_e32 v23, v23, v81
	v_add_f32_e32 v22, v22, v78
	v_exp_f32_e32 v21, v21
	v_ldexp_f32 v19, v19, v73
	v_cndmask_b32_e32 v18, 0, v18, vcc_lo
	v_cmp_ngt_f32_e32 vcc_lo, 0xc2ce8ed0, v30
	;; [unrolled: 11-line block ×9, first 2 shown]
	v_fma_f32 v98, 0x3fb8aa3b, v40, -v67
	v_rndne_f32_e32 v99, v67
	v_cvt_i32_f32_e32 v91, v91
	v_fmac_f32_e32 v96, 0x32a5705f, v59
	v_sub_f32_e32 v66, v66, v97
	v_add_f32_e32 v65, v65, v94
	v_exp_f32_e32 v64, v64
	v_ldexp_f32 v62, v62, v89
	v_cndmask_b32_e32 v61, 0, v61, vcc_lo
	v_cmp_ngt_f32_e32 vcc_lo, 0xc2ce8ed0, v43
	v_cvt_i32_f32_e32 v93, v93
	v_fmac_f32_e32 v98, 0x32a5705f, v40
	v_sub_f32_e32 v67, v67, v99
	v_add_f32_e32 v66, v66, v96
	v_exp_f32_e32 v65, v65
	v_ldexp_f32 v63, v63, v91
	v_cndmask_b32_e32 v62, 0, v62, vcc_lo
	v_cmp_ngt_f32_e32 vcc_lo, 0xc2ce8ed0, v38
	v_cvt_i32_f32_e32 v95, v95
	v_add_f32_e32 v67, v67, v98
	v_exp_f32_e32 v66, v66
	v_ldexp_f32 v64, v64, v93
	v_cndmask_b32_e32 v63, 0, v63, vcc_lo
	v_cmp_ngt_f32_e32 vcc_lo, 0xc2ce8ed0, v58
	v_cvt_i32_f32_e32 v97, v97
	v_exp_f32_e32 v67, v67
	v_ldexp_f32 v65, v65, v95
	v_cvt_i32_f32_e32 v99, v99
	v_cndmask_b32_e32 v64, 0, v64, vcc_lo
	v_cmp_ngt_f32_e32 vcc_lo, 0xc2ce8ed0, v39
	v_ldexp_f32 v66, v66, v97
	v_cndmask_b32_e32 v65, 0, v65, vcc_lo
	v_cmp_ngt_f32_e32 vcc_lo, 0xc2ce8ed0, v59
	v_ldexp_f32 v67, v67, v99
	v_cndmask_b32_e32 v66, 0, v66, vcc_lo
	v_cmp_ngt_f32_e32 vcc_lo, 0xc2ce8ed0, v40
	v_cndmask_b32_e32 v67, 0, v67, vcc_lo
	v_cmp_nlt_f32_e32 vcc_lo, 0x42b17218, v28
	v_cndmask_b32_e32 v28, 0x7f800000, v17, vcc_lo
	v_cmp_nlt_f32_e32 vcc_lo, 0x42b17218, v29
	;; [unrolled: 2-line block ×3, first 2 shown]
	v_fmac_f32_e32 v17, v9, v28
	v_cndmask_b32_e32 v29, 0x7f800000, v19, vcc_lo
	v_cmp_nlt_f32_e32 vcc_lo, 0x42b17218, v33
	v_cvt_f16_f32_e32 v9, v28
	v_cndmask_b32_e32 v18, 0x7f800000, v20, vcc_lo
	v_cmp_nlt_f32_e32 vcc_lo, 0x42b17218, v34
	v_mul_u32_u24_sdwa v28, v9, v27 dst_sel:DWORD dst_unused:UNUSED_PAD src0_sel:WORD_0 src1_sel:DWORD
	v_mov_b32_e32 v9, v17
	v_fmac_f32_e32 v18, v10, v29
	v_cndmask_b32_e32 v30, 0x7f800000, v21, vcc_lo
	v_cmp_nlt_f32_e32 vcc_lo, 0x42b17218, v35
	v_cvt_f16_f32_e32 v10, v29
	v_pk_mul_f16 v56, v56, v28
	v_pk_mul_f16 v57, v57, v28
	v_cndmask_b32_e32 v19, 0x7f800000, v22, vcc_lo
	v_cmp_nlt_f32_e32 vcc_lo, 0x42b17218, v41
	v_mul_u32_u24_sdwa v29, v10, v27 dst_sel:DWORD dst_unused:UNUSED_PAD src0_sel:WORD_0 src1_sel:DWORD
	v_mov_b32_e32 v10, v18
	v_fmac_f32_e32 v19, v11, v30
	v_cndmask_b32_e32 v33, 0x7f800000, v23, vcc_lo
	v_cmp_nlt_f32_e32 vcc_lo, 0x42b17218, v36
	v_cvt_f16_f32_e32 v11, v30
	v_pk_mul_f16 v54, v54, v29
	v_pk_mul_f16 v55, v55, v29
	;; [unrolled: 10-line block ×6, first 2 shown]
	v_cndmask_b32_e32 v24, 0x7f800000, v67, vcc_lo
	v_mul_u32_u24_sdwa v36, v15, v27 dst_sel:DWORD dst_unused:UNUSED_PAD src0_sel:WORD_0 src1_sel:DWORD
	v_mov_b32_e32 v15, v23
	v_fmac_f32_e32 v24, v16, v37
	v_cvt_f16_f32_e32 v16, v37
	v_pk_mul_f16 v44, v44, v36
	v_pk_mul_f16 v45, v45, v36
	v_mul_u32_u24_sdwa v16, v16, v27 dst_sel:DWORD dst_unused:UNUSED_PAD src0_sel:WORD_0 src1_sel:DWORD
	v_pk_mul_f16 v32, v32, v16
	v_pk_mul_f16 v31, v31, v16
	v_mov_b32_e32 v16, v24
	s_mov_b32 s1, exec_lo
	v_cmpx_gt_i32_e64 s38, v26
	s_cbranch_execnz .LBB0_22
.LBB0_20:
	s_endpgm
.LBB0_21:
	v_mov_b32_e32 v24, v16
	v_mov_b32_e32 v23, v15
	;; [unrolled: 1-line block ×8, first 2 shown]
	s_mov_b32 s1, exec_lo
	v_cmpx_gt_i32_e64 s38, v26
	s_cbranch_execz .LBB0_20
.LBB0_22:
	s_load_dword s1, s[4:5], 0xd4
	v_mov_b32_e32 v27, 1.0
	s_waitcnt lgkmcnt(0)
	s_cmp_lg_u32 s1, 1
	s_cselect_b32 s2, -1, 0
	s_cmp_eq_u32 s1, 1
	s_cselect_b32 s3, -1, 0
	s_and_b32 vcc_lo, exec_lo, s2
	s_cbranch_vccnz .LBB0_24
; %bb.23:
	v_div_scale_f32 v27, null, v9, v9, 1.0
	v_rcp_f32_e32 v28, v27
	v_fma_f32 v29, -v27, v28, 1.0
	v_fmac_f32_e32 v28, v29, v28
	v_div_scale_f32 v29, vcc_lo, 1.0, v9, 1.0
	v_mul_f32_e32 v30, v29, v28
	v_fma_f32 v33, -v27, v30, v29
	v_fmac_f32_e32 v30, v33, v28
	v_fma_f32 v27, -v27, v30, v29
	v_div_fmas_f32 v27, v27, v28, v30
	v_div_fixup_f32 v27, v27, v9, 1.0
.LBB0_24:
	v_mad_u64_u32 v[28:29], null, s33, s38, v[26:27]
	v_mad_u64_u32 v[28:29], null, v28, s39, s[22:23]
	v_mul_lo_u32 v28, s1, v28
	v_add_nc_u32_e32 v26, s7, v28
	s_and_saveexec_b32 s4, s0
	s_cbranch_execz .LBB0_26
; %bb.25:
	v_mad_u64_u32 v[29:30], null, 0x48, v26, v[25:26]
	v_mov_b32_e32 v30, 0
	v_cvt_f32_f16_sdwa v9, v57 dst_sel:DWORD dst_unused:UNUSED_PAD src0_sel:WORD_1
	v_cvt_f32_f16_e32 v33, v57
	v_cvt_f32_f16_sdwa v34, v56 dst_sel:DWORD dst_unused:UNUSED_PAD src0_sel:WORD_1
	v_cvt_f32_f16_e32 v37, v56
	v_mul_f32_e32 v36, v27, v9
	v_lshlrev_b64 v[29:30], 2, v[29:30]
	v_mul_f32_e32 v35, v27, v33
	v_mul_f32_e32 v34, v27, v34
	;; [unrolled: 1-line block ×3, first 2 shown]
	v_add_co_u32 v29, vcc_lo, s28, v29
	v_add_co_ci_u32_e64 v30, null, s29, v30, vcc_lo
	global_store_dwordx4 v[29:30], v[33:36], off
.LBB0_26:
	s_or_b32 exec_lo, exec_lo, s4
	v_cmp_eq_u32_e32 vcc_lo, 0, v0
	s_and_b32 s2, vcc_lo, s2
	s_and_saveexec_b32 s4, s2
	s_cbranch_execz .LBB0_28
; %bb.27:
	v_ashrrev_i32_e32 v27, 31, v26
	v_mov_b32_e32 v0, v1
	v_mov_b32_e32 v1, v17
	v_lshlrev_b64 v[26:27], 3, v[26:27]
	v_add_co_u32 v26, vcc_lo, s30, v26
	v_add_co_ci_u32_e64 v27, null, s31, v27, vcc_lo
	global_store_dwordx2 v[26:27], v[0:1], off
.LBB0_28:
	s_or_b32 exec_lo, exec_lo, s4
	v_cndmask_b32_e64 v9, 0, 1, s3
	v_mov_b32_e32 v1, 1.0
	s_andn2_b32 vcc_lo, exec_lo, s3
	s_cbranch_vccz .LBB0_55
; %bb.29:
	v_add_nc_u32_e32 v10, s1, v28
	v_add_nc_u32_e32 v0, s7, v10
	s_and_saveexec_b32 s3, s0
	s_cbranch_execnz .LBB0_56
.LBB0_30:
	s_or_b32 exec_lo, exec_lo, s3
	s_and_saveexec_b32 s3, s2
	s_cbranch_execz .LBB0_32
.LBB0_31:
	v_ashrrev_i32_e32 v1, 31, v0
	v_mov_b32_e32 v17, v2
	v_lshlrev_b64 v[0:1], 3, v[0:1]
	v_add_co_u32 v0, vcc_lo, s30, v0
	v_add_co_ci_u32_e64 v1, null, s31, v1, vcc_lo
	global_store_dwordx2 v[0:1], v[17:18], off
.LBB0_32:
	s_or_b32 exec_lo, exec_lo, s3
	v_cmp_ne_u32_e32 vcc_lo, 1, v9
	v_mov_b32_e32 v1, 1.0
	s_cbranch_vccz .LBB0_57
; %bb.33:
	v_add_nc_u32_e32 v2, s1, v10
	v_add_nc_u32_e32 v0, s7, v2
	s_and_saveexec_b32 s3, s0
	s_cbranch_execnz .LBB0_58
.LBB0_34:
	s_or_b32 exec_lo, exec_lo, s3
	s_and_saveexec_b32 s3, s2
	s_cbranch_execz .LBB0_36
.LBB0_35:
	v_ashrrev_i32_e32 v1, 31, v0
	v_mov_b32_e32 v18, v3
	v_lshlrev_b64 v[0:1], 3, v[0:1]
	v_add_co_u32 v0, vcc_lo, s30, v0
	v_add_co_ci_u32_e64 v1, null, s31, v1, vcc_lo
	global_store_dwordx2 v[0:1], v[18:19], off
.LBB0_36:
	s_or_b32 exec_lo, exec_lo, s3
	v_cmp_ne_u32_e32 vcc_lo, 1, v9
	v_mov_b32_e32 v1, 1.0
	s_cbranch_vccz .LBB0_59
; %bb.37:
	v_add_nc_u32_e32 v2, s1, v2
	v_add_nc_u32_e32 v0, s7, v2
	s_and_saveexec_b32 s3, s0
	s_cbranch_execnz .LBB0_60
.LBB0_38:
	s_or_b32 exec_lo, exec_lo, s3
	s_and_saveexec_b32 s3, s2
	s_cbranch_execz .LBB0_40
.LBB0_39:
	v_ashrrev_i32_e32 v1, 31, v0
	v_mov_b32_e32 v19, v4
	v_lshlrev_b64 v[0:1], 3, v[0:1]
	v_add_co_u32 v0, vcc_lo, s30, v0
	v_add_co_ci_u32_e64 v1, null, s31, v1, vcc_lo
	global_store_dwordx2 v[0:1], v[19:20], off
.LBB0_40:
	s_or_b32 exec_lo, exec_lo, s3
	v_cmp_ne_u32_e32 vcc_lo, 1, v9
	v_mov_b32_e32 v1, 1.0
	s_cbranch_vccz .LBB0_61
; %bb.41:
	v_add_nc_u32_e32 v2, s1, v2
	v_add_nc_u32_e32 v0, s7, v2
	s_and_saveexec_b32 s3, s0
	s_cbranch_execnz .LBB0_62
.LBB0_42:
	s_or_b32 exec_lo, exec_lo, s3
	s_and_saveexec_b32 s3, s2
	s_cbranch_execz .LBB0_44
.LBB0_43:
	v_ashrrev_i32_e32 v1, 31, v0
	v_mov_b32_e32 v20, v5
	v_lshlrev_b64 v[0:1], 3, v[0:1]
	v_add_co_u32 v0, vcc_lo, s30, v0
	v_add_co_ci_u32_e64 v1, null, s31, v1, vcc_lo
	global_store_dwordx2 v[0:1], v[20:21], off
.LBB0_44:
	s_or_b32 exec_lo, exec_lo, s3
	v_cmp_ne_u32_e32 vcc_lo, 1, v9
	v_mov_b32_e32 v1, 1.0
	s_cbranch_vccz .LBB0_63
; %bb.45:
	v_add_nc_u32_e32 v2, s1, v2
	v_add_nc_u32_e32 v0, s7, v2
	s_and_saveexec_b32 s3, s0
	s_cbranch_execnz .LBB0_64
.LBB0_46:
	s_or_b32 exec_lo, exec_lo, s3
	s_and_saveexec_b32 s3, s2
	s_cbranch_execz .LBB0_48
.LBB0_47:
	v_ashrrev_i32_e32 v1, 31, v0
	v_mov_b32_e32 v21, v6
	v_lshlrev_b64 v[0:1], 3, v[0:1]
	v_add_co_u32 v0, vcc_lo, s30, v0
	v_add_co_ci_u32_e64 v1, null, s31, v1, vcc_lo
	global_store_dwordx2 v[0:1], v[21:22], off
.LBB0_48:
	s_or_b32 exec_lo, exec_lo, s3
	v_cmp_ne_u32_e32 vcc_lo, 1, v9
	v_mov_b32_e32 v1, 1.0
	s_cbranch_vccz .LBB0_65
; %bb.49:
	v_add_nc_u32_e32 v2, s1, v2
	v_add_nc_u32_e32 v0, s7, v2
	s_and_saveexec_b32 s3, s0
	s_cbranch_execnz .LBB0_66
.LBB0_50:
	s_or_b32 exec_lo, exec_lo, s3
	s_and_saveexec_b32 s3, s2
	s_cbranch_execz .LBB0_52
.LBB0_51:
	v_ashrrev_i32_e32 v1, 31, v0
	v_mov_b32_e32 v22, v7
	v_lshlrev_b64 v[0:1], 3, v[0:1]
	v_add_co_u32 v0, vcc_lo, s30, v0
	v_add_co_ci_u32_e64 v1, null, s31, v1, vcc_lo
	global_store_dwordx2 v[0:1], v[22:23], off
.LBB0_52:
	s_or_b32 exec_lo, exec_lo, s3
	v_cmp_ne_u32_e32 vcc_lo, 1, v9
	v_mov_b32_e32 v1, 1.0
	s_cbranch_vccz .LBB0_67
; %bb.53:
	v_add3_u32 v0, s7, s1, v2
	s_and_saveexec_b32 s1, s0
	s_cbranch_execnz .LBB0_68
.LBB0_54:
	s_or_b32 exec_lo, exec_lo, s1
	s_and_b32 exec_lo, exec_lo, s2
	s_cbranch_execz .LBB0_20
	s_branch .LBB0_69
.LBB0_55:
	v_div_scale_f32 v0, null, v10, v10, 1.0
	v_rcp_f32_e32 v1, v0
	v_fma_f32 v17, -v0, v1, 1.0
	v_fmac_f32_e32 v1, v17, v1
	v_div_scale_f32 v17, vcc_lo, 1.0, v10, 1.0
	v_mul_f32_e32 v26, v17, v1
	v_fma_f32 v27, -v0, v26, v17
	v_fmac_f32_e32 v26, v27, v1
	v_fma_f32 v0, -v0, v26, v17
	v_div_fmas_f32 v0, v0, v1, v26
	v_div_fixup_f32 v1, v0, v10, 1.0
	v_add_nc_u32_e32 v10, s1, v28
	v_add_nc_u32_e32 v0, s7, v10
	s_and_saveexec_b32 s3, s0
	s_cbranch_execz .LBB0_30
.LBB0_56:
	v_mad_u64_u32 v[26:27], null, 0x48, v0, v[25:26]
	v_mov_b32_e32 v27, 0
	v_cvt_f32_f16_sdwa v17, v55 dst_sel:DWORD dst_unused:UNUSED_PAD src0_sel:WORD_1
	v_cvt_f32_f16_e32 v28, v55
	v_cvt_f32_f16_sdwa v30, v54 dst_sel:DWORD dst_unused:UNUSED_PAD src0_sel:WORD_1
	v_mul_f32_e32 v29, v1, v17
	v_lshlrev_b64 v[33:34], 2, v[26:27]
	v_cvt_f32_f16_e32 v26, v54
	v_mul_f32_e32 v28, v1, v28
	v_mul_f32_e32 v27, v1, v30
	;; [unrolled: 1-line block ×3, first 2 shown]
	v_add_co_u32 v33, vcc_lo, s28, v33
	v_add_co_ci_u32_e64 v34, null, s29, v34, vcc_lo
	global_store_dwordx4 v[33:34], v[26:29], off
	s_or_b32 exec_lo, exec_lo, s3
	s_and_saveexec_b32 s3, s2
	s_cbranch_execnz .LBB0_31
	s_branch .LBB0_32
.LBB0_57:
	v_div_scale_f32 v0, null, v11, v11, 1.0
	v_rcp_f32_e32 v1, v0
	v_fma_f32 v2, -v0, v1, 1.0
	v_fmac_f32_e32 v1, v2, v1
	v_div_scale_f32 v2, vcc_lo, 1.0, v11, 1.0
	v_mul_f32_e32 v17, v2, v1
	v_fma_f32 v18, -v0, v17, v2
	v_fmac_f32_e32 v17, v18, v1
	v_fma_f32 v0, -v0, v17, v2
	v_div_fmas_f32 v0, v0, v1, v17
	v_div_fixup_f32 v1, v0, v11, 1.0
	v_add_nc_u32_e32 v2, s1, v10
	v_add_nc_u32_e32 v0, s7, v2
	s_and_saveexec_b32 s3, s0
	s_cbranch_execz .LBB0_34
.LBB0_58:
	v_mad_u64_u32 v[10:11], null, 0x48, v0, v[25:26]
	v_mov_b32_e32 v11, 0
	v_cvt_f32_f16_sdwa v17, v53 dst_sel:DWORD dst_unused:UNUSED_PAD src0_sel:WORD_1
	v_cvt_f32_f16_e32 v18, v53
	v_cvt_f32_f16_sdwa v26, v52 dst_sel:DWORD dst_unused:UNUSED_PAD src0_sel:WORD_1
	v_cvt_f32_f16_e32 v30, v52
	v_mul_f32_e32 v29, v1, v17
	v_lshlrev_b64 v[10:11], 2, v[10:11]
	v_mul_f32_e32 v28, v1, v18
	v_mul_f32_e32 v27, v1, v26
	;; [unrolled: 1-line block ×3, first 2 shown]
	v_add_co_u32 v10, vcc_lo, s28, v10
	v_add_co_ci_u32_e64 v11, null, s29, v11, vcc_lo
	global_store_dwordx4 v[10:11], v[26:29], off
	s_or_b32 exec_lo, exec_lo, s3
	s_and_saveexec_b32 s3, s2
	s_cbranch_execnz .LBB0_35
	s_branch .LBB0_36
.LBB0_59:
	v_div_scale_f32 v0, null, v12, v12, 1.0
	v_rcp_f32_e32 v1, v0
	v_fma_f32 v3, -v0, v1, 1.0
	v_fmac_f32_e32 v1, v3, v1
	v_div_scale_f32 v3, vcc_lo, 1.0, v12, 1.0
	v_mul_f32_e32 v10, v3, v1
	v_fma_f32 v11, -v0, v10, v3
	v_fmac_f32_e32 v10, v11, v1
	v_fma_f32 v0, -v0, v10, v3
	v_div_fmas_f32 v0, v0, v1, v10
	v_div_fixup_f32 v1, v0, v12, 1.0
	v_add_nc_u32_e32 v2, s1, v2
	v_add_nc_u32_e32 v0, s7, v2
	s_and_saveexec_b32 s3, s0
	s_cbranch_execz .LBB0_38
.LBB0_60:
	v_mad_u64_u32 v[10:11], null, 0x48, v0, v[25:26]
	v_mov_b32_e32 v11, 0
	v_cvt_f32_f16_sdwa v3, v51 dst_sel:DWORD dst_unused:UNUSED_PAD src0_sel:WORD_1
	v_cvt_f32_f16_e32 v12, v51
	v_cvt_f32_f16_sdwa v17, v50 dst_sel:DWORD dst_unused:UNUSED_PAD src0_sel:WORD_1
	v_cvt_f32_f16_e32 v18, v50
	v_mul_f32_e32 v29, v1, v3
	v_lshlrev_b64 v[10:11], 2, v[10:11]
	v_mul_f32_e32 v28, v1, v12
	v_mul_f32_e32 v27, v1, v17
	;; [unrolled: 1-line block ×3, first 2 shown]
	v_add_co_u32 v10, vcc_lo, s28, v10
	v_add_co_ci_u32_e64 v11, null, s29, v11, vcc_lo
	global_store_dwordx4 v[10:11], v[26:29], off
	s_or_b32 exec_lo, exec_lo, s3
	s_and_saveexec_b32 s3, s2
	s_cbranch_execnz .LBB0_39
	s_branch .LBB0_40
.LBB0_61:
	v_div_scale_f32 v0, null, v13, v13, 1.0
	v_rcp_f32_e32 v1, v0
	v_fma_f32 v3, -v0, v1, 1.0
	v_fmac_f32_e32 v1, v3, v1
	v_div_scale_f32 v3, vcc_lo, 1.0, v13, 1.0
	v_mul_f32_e32 v4, v3, v1
	v_fma_f32 v10, -v0, v4, v3
	v_fmac_f32_e32 v4, v10, v1
	v_fma_f32 v0, -v0, v4, v3
	v_div_fmas_f32 v0, v0, v1, v4
	v_div_fixup_f32 v1, v0, v13, 1.0
	v_add_nc_u32_e32 v2, s1, v2
	v_add_nc_u32_e32 v0, s7, v2
	s_and_saveexec_b32 s3, s0
	s_cbranch_execz .LBB0_42
.LBB0_62:
	v_mad_u64_u32 v[3:4], null, 0x48, v0, v[25:26]
	v_mov_b32_e32 v4, 0
	v_cvt_f32_f16_sdwa v10, v49 dst_sel:DWORD dst_unused:UNUSED_PAD src0_sel:WORD_1
	v_cvt_f32_f16_e32 v11, v49
	v_cvt_f32_f16_sdwa v17, v48 dst_sel:DWORD dst_unused:UNUSED_PAD src0_sel:WORD_1
	v_cvt_f32_f16_e32 v18, v48
	v_mul_f32_e32 v13, v1, v10
	v_lshlrev_b64 v[3:4], 2, v[3:4]
	v_mul_f32_e32 v12, v1, v11
	v_mul_f32_e32 v11, v1, v17
	;; [unrolled: 1-line block ×3, first 2 shown]
	v_add_co_u32 v3, vcc_lo, s28, v3
	v_add_co_ci_u32_e64 v4, null, s29, v4, vcc_lo
	global_store_dwordx4 v[3:4], v[10:13], off
	s_or_b32 exec_lo, exec_lo, s3
	s_and_saveexec_b32 s3, s2
	s_cbranch_execnz .LBB0_43
	s_branch .LBB0_44
.LBB0_63:
	v_div_scale_f32 v0, null, v14, v14, 1.0
	v_rcp_f32_e32 v1, v0
	v_fma_f32 v3, -v0, v1, 1.0
	v_fmac_f32_e32 v1, v3, v1
	v_div_scale_f32 v3, vcc_lo, 1.0, v14, 1.0
	v_mul_f32_e32 v4, v3, v1
	v_fma_f32 v5, -v0, v4, v3
	v_fmac_f32_e32 v4, v5, v1
	v_fma_f32 v0, -v0, v4, v3
	v_div_fmas_f32 v0, v0, v1, v4
	v_div_fixup_f32 v1, v0, v14, 1.0
	v_add_nc_u32_e32 v2, s1, v2
	v_add_nc_u32_e32 v0, s7, v2
	s_and_saveexec_b32 s3, s0
	s_cbranch_execz .LBB0_46
.LBB0_64:
	v_mad_u64_u32 v[3:4], null, 0x48, v0, v[25:26]
	v_mov_b32_e32 v4, 0
	v_cvt_f32_f16_sdwa v5, v47 dst_sel:DWORD dst_unused:UNUSED_PAD src0_sel:WORD_1
	v_cvt_f32_f16_e32 v10, v47
	v_cvt_f32_f16_sdwa v11, v46 dst_sel:DWORD dst_unused:UNUSED_PAD src0_sel:WORD_1
	v_cvt_f32_f16_e32 v14, v46
	v_mul_f32_e32 v13, v1, v5
	v_lshlrev_b64 v[3:4], 2, v[3:4]
	v_mul_f32_e32 v12, v1, v10
	v_mul_f32_e32 v11, v1, v11
	;; [unrolled: 1-line block ×3, first 2 shown]
	v_add_co_u32 v3, vcc_lo, s28, v3
	v_add_co_ci_u32_e64 v4, null, s29, v4, vcc_lo
	global_store_dwordx4 v[3:4], v[10:13], off
	s_or_b32 exec_lo, exec_lo, s3
	s_and_saveexec_b32 s3, s2
	s_cbranch_execnz .LBB0_47
	s_branch .LBB0_48
.LBB0_65:
	v_div_scale_f32 v0, null, v15, v15, 1.0
	v_rcp_f32_e32 v1, v0
	v_fma_f32 v3, -v0, v1, 1.0
	v_fmac_f32_e32 v1, v3, v1
	v_div_scale_f32 v3, vcc_lo, 1.0, v15, 1.0
	v_mul_f32_e32 v4, v3, v1
	v_fma_f32 v5, -v0, v4, v3
	v_fmac_f32_e32 v4, v5, v1
	v_fma_f32 v0, -v0, v4, v3
	v_div_fmas_f32 v0, v0, v1, v4
	v_div_fixup_f32 v1, v0, v15, 1.0
	v_add_nc_u32_e32 v2, s1, v2
	v_add_nc_u32_e32 v0, s7, v2
	s_and_saveexec_b32 s3, s0
	s_cbranch_execz .LBB0_50
.LBB0_66:
	v_mad_u64_u32 v[3:4], null, 0x48, v0, v[25:26]
	v_mov_b32_e32 v4, 0
	v_cvt_f32_f16_sdwa v5, v45 dst_sel:DWORD dst_unused:UNUSED_PAD src0_sel:WORD_1
	v_cvt_f32_f16_e32 v12, v45
	v_cvt_f32_f16_sdwa v13, v44 dst_sel:DWORD dst_unused:UNUSED_PAD src0_sel:WORD_1
	v_mul_f32_e32 v6, v1, v5
	v_lshlrev_b64 v[10:11], 2, v[3:4]
	v_cvt_f32_f16_e32 v3, v44
	v_mul_f32_e32 v5, v1, v12
	v_mul_f32_e32 v4, v1, v13
	;; [unrolled: 1-line block ×3, first 2 shown]
	v_add_co_u32 v10, vcc_lo, s28, v10
	v_add_co_ci_u32_e64 v11, null, s29, v11, vcc_lo
	global_store_dwordx4 v[10:11], v[3:6], off
	s_or_b32 exec_lo, exec_lo, s3
	s_and_saveexec_b32 s3, s2
	s_cbranch_execnz .LBB0_51
	s_branch .LBB0_52
.LBB0_67:
	v_div_scale_f32 v0, null, v16, v16, 1.0
	v_rcp_f32_e32 v1, v0
	v_fma_f32 v3, -v0, v1, 1.0
	v_fmac_f32_e32 v1, v3, v1
	v_div_scale_f32 v3, vcc_lo, 1.0, v16, 1.0
	v_mul_f32_e32 v4, v3, v1
	v_fma_f32 v5, -v0, v4, v3
	v_fmac_f32_e32 v4, v5, v1
	v_fma_f32 v0, -v0, v4, v3
	v_div_fmas_f32 v0, v0, v1, v4
	v_div_fixup_f32 v1, v0, v16, 1.0
	v_add3_u32 v0, s7, s1, v2
	s_and_saveexec_b32 s1, s0
	s_cbranch_execz .LBB0_54
.LBB0_68:
	v_mad_u64_u32 v[2:3], null, 0x48, v0, v[25:26]
	v_mov_b32_e32 v3, 0
	v_cvt_f32_f16_sdwa v4, v31 dst_sel:DWORD dst_unused:UNUSED_PAD src0_sel:WORD_1
	v_cvt_f32_f16_e32 v7, v31
	v_cvt_f32_f16_sdwa v9, v32 dst_sel:DWORD dst_unused:UNUSED_PAD src0_sel:WORD_1
	v_cvt_f32_f16_e32 v10, v32
	v_mul_f32_e32 v4, v1, v4
	v_lshlrev_b64 v[5:6], 2, v[2:3]
	v_mul_f32_e32 v3, v1, v7
	v_mul_f32_e32 v2, v1, v9
	;; [unrolled: 1-line block ×3, first 2 shown]
	v_add_co_u32 v5, vcc_lo, s28, v5
	v_add_co_ci_u32_e64 v6, null, s29, v6, vcc_lo
	global_store_dwordx4 v[5:6], v[1:4], off
	s_or_b32 exec_lo, exec_lo, s1
	s_and_b32 exec_lo, exec_lo, s2
	s_cbranch_execz .LBB0_20
.LBB0_69:
	v_ashrrev_i32_e32 v1, 31, v0
	v_mov_b32_e32 v23, v8
	v_lshlrev_b64 v[0:1], 3, v[0:1]
	v_add_co_u32 v0, vcc_lo, s30, v0
	v_add_co_ci_u32_e64 v1, null, s31, v1, vcc_lo
	global_store_dwordx2 v[0:1], v[23:24], off
	s_endpgm
	.section	.rodata,"a",@progbits
	.p2align	6, 0x0
	.amdhsa_kernel _ZL15flash_attn_tileILi72ELi72ELi8ELi8ELb0EEvPKcS1_S1_S1_S1_PKiPfP15HIP_vector_typeIfLj2EEffffjfiS5_IjLj3EEiiiiiiiiiiiliiliiiiil
		.amdhsa_group_segment_fixed_size 18656
		.amdhsa_private_segment_fixed_size 0
		.amdhsa_kernarg_size 464
		.amdhsa_user_sgpr_count 6
		.amdhsa_user_sgpr_private_segment_buffer 1
		.amdhsa_user_sgpr_dispatch_ptr 0
		.amdhsa_user_sgpr_queue_ptr 0
		.amdhsa_user_sgpr_kernarg_segment_ptr 1
		.amdhsa_user_sgpr_dispatch_id 0
		.amdhsa_user_sgpr_flat_scratch_init 0
		.amdhsa_user_sgpr_private_segment_size 0
		.amdhsa_wavefront_size32 1
		.amdhsa_uses_dynamic_stack 0
		.amdhsa_system_sgpr_private_segment_wavefront_offset 0
		.amdhsa_system_sgpr_workgroup_id_x 1
		.amdhsa_system_sgpr_workgroup_id_y 1
		.amdhsa_system_sgpr_workgroup_id_z 1
		.amdhsa_system_sgpr_workgroup_info 0
		.amdhsa_system_vgpr_workitem_id 1
		.amdhsa_next_free_vgpr 178
		.amdhsa_next_free_sgpr 48
		.amdhsa_reserve_vcc 1
		.amdhsa_reserve_flat_scratch 0
		.amdhsa_float_round_mode_32 0
		.amdhsa_float_round_mode_16_64 0
		.amdhsa_float_denorm_mode_32 3
		.amdhsa_float_denorm_mode_16_64 3
		.amdhsa_dx10_clamp 1
		.amdhsa_ieee_mode 1
		.amdhsa_fp16_overflow 0
		.amdhsa_workgroup_processor_mode 1
		.amdhsa_memory_ordered 1
		.amdhsa_forward_progress 1
		.amdhsa_shared_vgpr_count 0
		.amdhsa_exception_fp_ieee_invalid_op 0
		.amdhsa_exception_fp_denorm_src 0
		.amdhsa_exception_fp_ieee_div_zero 0
		.amdhsa_exception_fp_ieee_overflow 0
		.amdhsa_exception_fp_ieee_underflow 0
		.amdhsa_exception_fp_ieee_inexact 0
		.amdhsa_exception_int_div_zero 0
	.end_amdhsa_kernel
	.section	.text._ZL15flash_attn_tileILi72ELi72ELi8ELi8ELb0EEvPKcS1_S1_S1_S1_PKiPfP15HIP_vector_typeIfLj2EEffffjfiS5_IjLj3EEiiiiiiiiiiiliiliiiiil,"axG",@progbits,_ZL15flash_attn_tileILi72ELi72ELi8ELi8ELb0EEvPKcS1_S1_S1_S1_PKiPfP15HIP_vector_typeIfLj2EEffffjfiS5_IjLj3EEiiiiiiiiiiiliiliiiiil,comdat
.Lfunc_end0:
	.size	_ZL15flash_attn_tileILi72ELi72ELi8ELi8ELb0EEvPKcS1_S1_S1_S1_PKiPfP15HIP_vector_typeIfLj2EEffffjfiS5_IjLj3EEiiiiiiiiiiiliiliiiiil, .Lfunc_end0-_ZL15flash_attn_tileILi72ELi72ELi8ELi8ELb0EEvPKcS1_S1_S1_S1_PKiPfP15HIP_vector_typeIfLj2EEffffjfiS5_IjLj3EEiiiiiiiiiiiliiliiiiil
                                        ; -- End function
	.set _ZL15flash_attn_tileILi72ELi72ELi8ELi8ELb0EEvPKcS1_S1_S1_S1_PKiPfP15HIP_vector_typeIfLj2EEffffjfiS5_IjLj3EEiiiiiiiiiiiliiliiiiil.num_vgpr, 178
	.set _ZL15flash_attn_tileILi72ELi72ELi8ELi8ELb0EEvPKcS1_S1_S1_S1_PKiPfP15HIP_vector_typeIfLj2EEffffjfiS5_IjLj3EEiiiiiiiiiiiliiliiiiil.num_agpr, 0
	.set _ZL15flash_attn_tileILi72ELi72ELi8ELi8ELb0EEvPKcS1_S1_S1_S1_PKiPfP15HIP_vector_typeIfLj2EEffffjfiS5_IjLj3EEiiiiiiiiiiiliiliiiiil.numbered_sgpr, 48
	.set _ZL15flash_attn_tileILi72ELi72ELi8ELi8ELb0EEvPKcS1_S1_S1_S1_PKiPfP15HIP_vector_typeIfLj2EEffffjfiS5_IjLj3EEiiiiiiiiiiiliiliiiiil.num_named_barrier, 0
	.set _ZL15flash_attn_tileILi72ELi72ELi8ELi8ELb0EEvPKcS1_S1_S1_S1_PKiPfP15HIP_vector_typeIfLj2EEffffjfiS5_IjLj3EEiiiiiiiiiiiliiliiiiil.private_seg_size, 0
	.set _ZL15flash_attn_tileILi72ELi72ELi8ELi8ELb0EEvPKcS1_S1_S1_S1_PKiPfP15HIP_vector_typeIfLj2EEffffjfiS5_IjLj3EEiiiiiiiiiiiliiliiiiil.uses_vcc, 1
	.set _ZL15flash_attn_tileILi72ELi72ELi8ELi8ELb0EEvPKcS1_S1_S1_S1_PKiPfP15HIP_vector_typeIfLj2EEffffjfiS5_IjLj3EEiiiiiiiiiiiliiliiiiil.uses_flat_scratch, 0
	.set _ZL15flash_attn_tileILi72ELi72ELi8ELi8ELb0EEvPKcS1_S1_S1_S1_PKiPfP15HIP_vector_typeIfLj2EEffffjfiS5_IjLj3EEiiiiiiiiiiiliiliiiiil.has_dyn_sized_stack, 0
	.set _ZL15flash_attn_tileILi72ELi72ELi8ELi8ELb0EEvPKcS1_S1_S1_S1_PKiPfP15HIP_vector_typeIfLj2EEffffjfiS5_IjLj3EEiiiiiiiiiiiliiliiiiil.has_recursion, 0
	.set _ZL15flash_attn_tileILi72ELi72ELi8ELi8ELb0EEvPKcS1_S1_S1_S1_PKiPfP15HIP_vector_typeIfLj2EEffffjfiS5_IjLj3EEiiiiiiiiiiiliiliiiiil.has_indirect_call, 0
	.section	.AMDGPU.csdata,"",@progbits
; Kernel info:
; codeLenInByte = 24380
; TotalNumSgprs: 50
; NumVgprs: 178
; ScratchSize: 0
; MemoryBound: 0
; FloatMode: 240
; IeeeMode: 1
; LDSByteSize: 18656 bytes/workgroup (compile time only)
; SGPRBlocks: 0
; VGPRBlocks: 22
; NumSGPRsForWavesPerEU: 50
; NumVGPRsForWavesPerEU: 178
; Occupancy: 5
; WaveLimiterHint : 1
; COMPUTE_PGM_RSRC2:SCRATCH_EN: 0
; COMPUTE_PGM_RSRC2:USER_SGPR: 6
; COMPUTE_PGM_RSRC2:TRAP_HANDLER: 0
; COMPUTE_PGM_RSRC2:TGID_X_EN: 1
; COMPUTE_PGM_RSRC2:TGID_Y_EN: 1
; COMPUTE_PGM_RSRC2:TGID_Z_EN: 1
; COMPUTE_PGM_RSRC2:TIDIG_COMP_CNT: 1
	.section	.text._ZL25flash_attn_mask_to_KV_maxILi8EEvPK7__half2Piiii,"axG",@progbits,_ZL25flash_attn_mask_to_KV_maxILi8EEvPK7__half2Piiii,comdat
	.globl	_ZL25flash_attn_mask_to_KV_maxILi8EEvPK7__half2Piiii ; -- Begin function _ZL25flash_attn_mask_to_KV_maxILi8EEvPK7__half2Piiii
	.p2align	8
	.type	_ZL25flash_attn_mask_to_KV_maxILi8EEvPK7__half2Piiii,@function
_ZL25flash_attn_mask_to_KV_maxILi8EEvPK7__half2Piiii: ; @_ZL25flash_attn_mask_to_KV_maxILi8EEvPK7__half2Piiii
; %bb.0:
	s_load_dwordx4 s[8:11], s[4:5], 0x0
	s_mov_b32 s0, exec_lo
	v_cmpx_gt_u32_e32 32, v0
; %bb.1:
	v_lshlrev_b32_e32 v1, 2, v0
	v_mov_b32_e32 v2, 1
	ds_write_b32 v1, v2
; %bb.2:
	s_or_b32 exec_lo, exec_lo, s0
	s_clause 0x1
	s_load_dwordx4 s[12:15], s[4:5], 0x10
	s_load_dword s1, s[4:5], 0x20
	v_and_b32_e32 v1, 31, v0
	v_lshrrev_b32_e32 v5, 3, v0
	v_mov_b32_e32 v2, 0
	v_mov_b32_e32 v6, 0x204
	s_waitcnt lgkmcnt(0)
	v_lshlrev_b32_e32 v7, 2, v1
	s_barrier
	buffer_gl0_inv
	s_mul_i32 s0, s6, s13
	s_mul_i32 s2, s14, s7
	s_lshl_b32 s0, s0, 3
	s_add_i32 s2, s2, s0
	v_cmp_eq_u32_e64 s0, 0, v1
	s_ashr_i32 s3, s2, 31
	s_lshl_b64 s[4:5], s[2:3], 2
	s_add_u32 s3, s8, s4
	s_addc_u32 s4, s9, s5
	s_lshl_b32 s5, s12, 8
	s_branch .LBB1_4
.LBB1_3:                                ;   in Loop: Header=BB1_4 Depth=1
	s_or_b32 exec_lo, exec_lo, s8
	s_waitcnt lgkmcnt(0)
	s_barrier
	buffer_gl0_inv
	ds_read_b32 v1, v7
	s_waitcnt lgkmcnt(0)
	s_barrier
	buffer_gl0_inv
	v_cmp_ne_u32_e32 vcc_lo, 0, v1
	s_cmp_lg_u32 vcc_lo, exec_lo
	s_cselect_b32 s8, -1, 0
	s_and_b32 vcc_lo, exec_lo, s8
	s_cbranch_vccnz .LBB1_36
.LBB1_4:                                ; =>This Inner Loop Header: Depth=1
	s_mov_b32 s2, s5
	s_addk_i32 s5, 0xff00
	s_cmp_lt_i32 s5, 0
	s_cbranch_scc1 .LBB1_35
; %bb.5:                                ;   in Loop: Header=BB1_4 Depth=1
	s_lshr_b32 s8, s5, 1
	v_add_nc_u32_e32 v1, s8, v0
	v_lshlrev_b64 v[3:4], 2, v[1:2]
	v_add_co_u32 v3, vcc_lo, s3, v3
	v_add_co_ci_u32_e64 v4, null, s4, v4, vcc_lo
	global_load_dword v3, v[3:4], off
	s_waitcnt vmcnt(0)
	v_cmp_class_f16_e64 s8, v3, 0x204
	v_cmp_class_f16_sdwa s9, v3, v6 src0_sel:WORD_1 src1_sel:DWORD
	s_and_b32 s12, s8, s9
	s_mov_b32 s9, 0
	s_and_saveexec_b32 s8, s12
	s_cbranch_execz .LBB1_33
; %bb.6:                                ;   in Loop: Header=BB1_4 Depth=1
	v_add_nc_u32_e32 v3, s13, v1
	s_mov_b32 s12, 0
	v_ashrrev_i32_e32 v4, 31, v3
	v_lshlrev_b64 v[8:9], 2, v[3:4]
	v_add_co_u32 v8, vcc_lo, s3, v8
	v_add_co_ci_u32_e64 v9, null, s4, v9, vcc_lo
	global_load_dword v1, v[8:9], off
	s_waitcnt vmcnt(0)
	v_cmp_class_f16_e64 s14, v1, 0x204
	s_and_saveexec_b32 s9, s14
	s_cbranch_execz .LBB1_32
; %bb.7:                                ;   in Loop: Header=BB1_4 Depth=1
	v_cmp_class_f16_sdwa s15, v1, v6 src0_sel:WORD_1 src1_sel:DWORD
	s_mov_b32 s14, 0
	s_and_saveexec_b32 s12, s15
	s_cbranch_execz .LBB1_31
; %bb.8:                                ;   in Loop: Header=BB1_4 Depth=1
	v_add_nc_u32_e32 v3, s13, v3
	s_mov_b32 s15, 0
	v_ashrrev_i32_e32 v4, 31, v3
	v_lshlrev_b64 v[8:9], 2, v[3:4]
	v_add_co_u32 v8, vcc_lo, s3, v8
	v_add_co_ci_u32_e64 v9, null, s4, v9, vcc_lo
	global_load_dword v1, v[8:9], off
	s_waitcnt vmcnt(0)
	v_cmp_class_f16_e64 s16, v1, 0x204
	s_and_saveexec_b32 s14, s16
	s_cbranch_execz .LBB1_30
; %bb.9:                                ;   in Loop: Header=BB1_4 Depth=1
	v_cmp_class_f16_sdwa s17, v1, v6 src0_sel:WORD_1 src1_sel:DWORD
	s_mov_b32 s16, 0
	s_and_saveexec_b32 s15, s17
	s_cbranch_execz .LBB1_29
; %bb.10:                               ;   in Loop: Header=BB1_4 Depth=1
	v_add_nc_u32_e32 v3, s13, v3
	s_mov_b32 s17, 0
	v_ashrrev_i32_e32 v4, 31, v3
	v_lshlrev_b64 v[8:9], 2, v[3:4]
	v_add_co_u32 v8, vcc_lo, s3, v8
	v_add_co_ci_u32_e64 v9, null, s4, v9, vcc_lo
	global_load_dword v1, v[8:9], off
	s_waitcnt vmcnt(0)
	v_cmp_class_f16_e64 s18, v1, 0x204
	s_and_saveexec_b32 s16, s18
	s_cbranch_execz .LBB1_28
; %bb.11:                               ;   in Loop: Header=BB1_4 Depth=1
	v_cmp_class_f16_sdwa s19, v1, v6 src0_sel:WORD_1 src1_sel:DWORD
	s_mov_b32 s18, 0
	s_and_saveexec_b32 s17, s19
	s_cbranch_execz .LBB1_27
; %bb.12:                               ;   in Loop: Header=BB1_4 Depth=1
	v_add_nc_u32_e32 v3, s13, v3
	s_mov_b32 s19, 0
	v_ashrrev_i32_e32 v4, 31, v3
	v_lshlrev_b64 v[8:9], 2, v[3:4]
	v_add_co_u32 v8, vcc_lo, s3, v8
	v_add_co_ci_u32_e64 v9, null, s4, v9, vcc_lo
	global_load_dword v1, v[8:9], off
	s_waitcnt vmcnt(0)
	v_cmp_class_f16_e64 s20, v1, 0x204
	s_and_saveexec_b32 s18, s20
	s_cbranch_execz .LBB1_26
; %bb.13:                               ;   in Loop: Header=BB1_4 Depth=1
	;; [unrolled: 17-line block ×4, first 2 shown]
	v_cmp_class_f16_sdwa s25, v1, v6 src0_sel:WORD_1 src1_sel:DWORD
	s_mov_b32 s24, 0
	s_and_saveexec_b32 s23, s25
	s_cbranch_execz .LBB1_21
; %bb.18:                               ;   in Loop: Header=BB1_4 Depth=1
	v_add_nc_u32_e32 v3, s13, v3
	v_ashrrev_i32_e32 v4, 31, v3
	v_lshlrev_b64 v[3:4], 2, v[3:4]
	v_add_co_u32 v3, vcc_lo, s3, v3
	v_add_co_ci_u32_e64 v4, null, s4, v4, vcc_lo
	global_load_dword v1, v[3:4], off
	s_waitcnt vmcnt(0)
	v_cmp_class_f16_e64 s26, v1, 0x204
	s_and_saveexec_b32 s25, s26
; %bb.19:                               ;   in Loop: Header=BB1_4 Depth=1
	v_cmp_class_f16_sdwa s24, v1, v6 src0_sel:WORD_1 src1_sel:DWORD
	s_and_b32 s24, s24, exec_lo
; %bb.20:                               ;   in Loop: Header=BB1_4 Depth=1
	s_or_b32 exec_lo, exec_lo, s25
	s_and_b32 s24, s24, exec_lo
.LBB1_21:                               ;   in Loop: Header=BB1_4 Depth=1
	s_or_b32 exec_lo, exec_lo, s23
	s_and_b32 s23, s24, exec_lo
.LBB1_22:                               ;   in Loop: Header=BB1_4 Depth=1
	s_or_b32 exec_lo, exec_lo, s22
	s_and_b32 s22, s23, exec_lo
.LBB1_23:                               ;   in Loop: Header=BB1_4 Depth=1
	s_or_b32 exec_lo, exec_lo, s21
	s_and_b32 s21, s22, exec_lo
.LBB1_24:                               ;   in Loop: Header=BB1_4 Depth=1
	s_or_b32 exec_lo, exec_lo, s20
	s_and_b32 s20, s21, exec_lo
.LBB1_25:                               ;   in Loop: Header=BB1_4 Depth=1
	s_or_b32 exec_lo, exec_lo, s19
	s_and_b32 s19, s20, exec_lo
.LBB1_26:                               ;   in Loop: Header=BB1_4 Depth=1
	s_or_b32 exec_lo, exec_lo, s18
	s_and_b32 s18, s19, exec_lo
.LBB1_27:                               ;   in Loop: Header=BB1_4 Depth=1
	s_or_b32 exec_lo, exec_lo, s17
	s_and_b32 s17, s18, exec_lo
.LBB1_28:                               ;   in Loop: Header=BB1_4 Depth=1
	s_or_b32 exec_lo, exec_lo, s16
	s_and_b32 s16, s17, exec_lo
.LBB1_29:                               ;   in Loop: Header=BB1_4 Depth=1
	s_or_b32 exec_lo, exec_lo, s15
	s_and_b32 s15, s16, exec_lo
.LBB1_30:                               ;   in Loop: Header=BB1_4 Depth=1
	s_or_b32 exec_lo, exec_lo, s14
	s_and_b32 s14, s15, exec_lo
.LBB1_31:                               ;   in Loop: Header=BB1_4 Depth=1
	s_or_b32 exec_lo, exec_lo, s12
	s_and_b32 s12, s14, exec_lo
.LBB1_32:                               ;   in Loop: Header=BB1_4 Depth=1
	s_or_b32 exec_lo, exec_lo, s9
	s_and_b32 s9, s12, exec_lo
.LBB1_33:                               ;   in Loop: Header=BB1_4 Depth=1
	s_or_b32 exec_lo, exec_lo, s8
	v_cndmask_b32_e64 v1, 0, 1, s9
	s_mov_b32 s12, exec_lo
	v_cmp_ne_u32_e32 vcc_lo, 0, v1
	s_and_saveexec_b32 s8, s0
	s_cbranch_execz .LBB1_3
; %bb.34:                               ;   in Loop: Header=BB1_4 Depth=1
	s_cmp_eq_u32 vcc_lo, s12
	s_cselect_b32 s9, -1, 0
	v_cndmask_b32_e64 v1, 0, 1, s9
	ds_write_b32 v5, v1
	s_branch .LBB1_3
.LBB1_35:                               ;   in Loop: Header=BB1_4 Depth=1
	s_cbranch_execz .LBB1_4
.LBB1_36:
	s_mov_b32 s0, exec_lo
	v_cmpx_eq_u32_e32 0, v0
	s_cbranch_execz .LBB1_38
; %bb.37:
	s_mul_i32 s0, s1, s7
	v_mov_b32_e32 v0, 0
	s_add_i32 s0, s0, s6
	v_mov_b32_e32 v1, s2
	s_ashr_i32 s1, s0, 31
	s_lshl_b64 s[0:1], s[0:1], 2
	s_add_u32 s0, s10, s0
	s_addc_u32 s1, s11, s1
	global_store_dword v0, v1, s[0:1]
.LBB1_38:
	s_endpgm
	.section	.rodata,"a",@progbits
	.p2align	6, 0x0
	.amdhsa_kernel _ZL25flash_attn_mask_to_KV_maxILi8EEvPK7__half2Piiii
		.amdhsa_group_segment_fixed_size 128
		.amdhsa_private_segment_fixed_size 0
		.amdhsa_kernarg_size 288
		.amdhsa_user_sgpr_count 6
		.amdhsa_user_sgpr_private_segment_buffer 1
		.amdhsa_user_sgpr_dispatch_ptr 0
		.amdhsa_user_sgpr_queue_ptr 0
		.amdhsa_user_sgpr_kernarg_segment_ptr 1
		.amdhsa_user_sgpr_dispatch_id 0
		.amdhsa_user_sgpr_flat_scratch_init 0
		.amdhsa_user_sgpr_private_segment_size 0
		.amdhsa_wavefront_size32 1
		.amdhsa_uses_dynamic_stack 0
		.amdhsa_system_sgpr_private_segment_wavefront_offset 0
		.amdhsa_system_sgpr_workgroup_id_x 1
		.amdhsa_system_sgpr_workgroup_id_y 1
		.amdhsa_system_sgpr_workgroup_id_z 0
		.amdhsa_system_sgpr_workgroup_info 0
		.amdhsa_system_vgpr_workitem_id 0
		.amdhsa_next_free_vgpr 10
		.amdhsa_next_free_sgpr 27
		.amdhsa_reserve_vcc 1
		.amdhsa_reserve_flat_scratch 0
		.amdhsa_float_round_mode_32 0
		.amdhsa_float_round_mode_16_64 0
		.amdhsa_float_denorm_mode_32 3
		.amdhsa_float_denorm_mode_16_64 3
		.amdhsa_dx10_clamp 1
		.amdhsa_ieee_mode 1
		.amdhsa_fp16_overflow 0
		.amdhsa_workgroup_processor_mode 1
		.amdhsa_memory_ordered 1
		.amdhsa_forward_progress 1
		.amdhsa_shared_vgpr_count 0
		.amdhsa_exception_fp_ieee_invalid_op 0
		.amdhsa_exception_fp_denorm_src 0
		.amdhsa_exception_fp_ieee_div_zero 0
		.amdhsa_exception_fp_ieee_overflow 0
		.amdhsa_exception_fp_ieee_underflow 0
		.amdhsa_exception_fp_ieee_inexact 0
		.amdhsa_exception_int_div_zero 0
	.end_amdhsa_kernel
	.section	.text._ZL25flash_attn_mask_to_KV_maxILi8EEvPK7__half2Piiii,"axG",@progbits,_ZL25flash_attn_mask_to_KV_maxILi8EEvPK7__half2Piiii,comdat
.Lfunc_end1:
	.size	_ZL25flash_attn_mask_to_KV_maxILi8EEvPK7__half2Piiii, .Lfunc_end1-_ZL25flash_attn_mask_to_KV_maxILi8EEvPK7__half2Piiii
                                        ; -- End function
	.set _ZL25flash_attn_mask_to_KV_maxILi8EEvPK7__half2Piiii.num_vgpr, 10
	.set _ZL25flash_attn_mask_to_KV_maxILi8EEvPK7__half2Piiii.num_agpr, 0
	.set _ZL25flash_attn_mask_to_KV_maxILi8EEvPK7__half2Piiii.numbered_sgpr, 27
	.set _ZL25flash_attn_mask_to_KV_maxILi8EEvPK7__half2Piiii.num_named_barrier, 0
	.set _ZL25flash_attn_mask_to_KV_maxILi8EEvPK7__half2Piiii.private_seg_size, 0
	.set _ZL25flash_attn_mask_to_KV_maxILi8EEvPK7__half2Piiii.uses_vcc, 1
	.set _ZL25flash_attn_mask_to_KV_maxILi8EEvPK7__half2Piiii.uses_flat_scratch, 0
	.set _ZL25flash_attn_mask_to_KV_maxILi8EEvPK7__half2Piiii.has_dyn_sized_stack, 0
	.set _ZL25flash_attn_mask_to_KV_maxILi8EEvPK7__half2Piiii.has_recursion, 0
	.set _ZL25flash_attn_mask_to_KV_maxILi8EEvPK7__half2Piiii.has_indirect_call, 0
	.section	.AMDGPU.csdata,"",@progbits
; Kernel info:
; codeLenInByte = 1124
; TotalNumSgprs: 29
; NumVgprs: 10
; ScratchSize: 0
; MemoryBound: 0
; FloatMode: 240
; IeeeMode: 1
; LDSByteSize: 128 bytes/workgroup (compile time only)
; SGPRBlocks: 0
; VGPRBlocks: 1
; NumSGPRsForWavesPerEU: 29
; NumVGPRsForWavesPerEU: 10
; Occupancy: 16
; WaveLimiterHint : 0
; COMPUTE_PGM_RSRC2:SCRATCH_EN: 0
; COMPUTE_PGM_RSRC2:USER_SGPR: 6
; COMPUTE_PGM_RSRC2:TRAP_HANDLER: 0
; COMPUTE_PGM_RSRC2:TGID_X_EN: 1
; COMPUTE_PGM_RSRC2:TGID_Y_EN: 1
; COMPUTE_PGM_RSRC2:TGID_Z_EN: 0
; COMPUTE_PGM_RSRC2:TIDIG_COMP_CNT: 0
	.section	.text._ZL33flash_attn_stream_k_fixup_uniformILi72ELi8ELi8EEvPfPK15HIP_vector_typeIfLj2EEiiiiiiS1_IjLj3EES5_S5_,"axG",@progbits,_ZL33flash_attn_stream_k_fixup_uniformILi72ELi8ELi8EEvPfPK15HIP_vector_typeIfLj2EEiiiiiiS1_IjLj3EES5_S5_,comdat
	.globl	_ZL33flash_attn_stream_k_fixup_uniformILi72ELi8ELi8EEvPfPK15HIP_vector_typeIfLj2EEiiiiiiS1_IjLj3EES5_S5_ ; -- Begin function _ZL33flash_attn_stream_k_fixup_uniformILi72ELi8ELi8EEvPfPK15HIP_vector_typeIfLj2EEiiiiiiS1_IjLj3EES5_S5_
	.p2align	8
	.type	_ZL33flash_attn_stream_k_fixup_uniformILi72ELi8ELi8EEvPfPK15HIP_vector_typeIfLj2EEiiiiiiS1_IjLj3EES5_S5_,@function
_ZL33flash_attn_stream_k_fixup_uniformILi72ELi8ELi8EEvPfPK15HIP_vector_typeIfLj2EEiiiiiiS1_IjLj3EES5_S5_: ; @_ZL33flash_attn_stream_k_fixup_uniformILi72ELi8ELi8EEvPfPK15HIP_vector_typeIfLj2EEiiiiiiS1_IjLj3EES5_S5_
; %bb.0:
	s_clause 0x2
	s_load_dwordx8 s[12:19], s[4:5], 0x1c
	s_load_dwordx4 s[20:23], s[4:5], 0x3c
	s_load_dwordx2 s[10:11], s[4:5], 0x10
	s_waitcnt lgkmcnt(0)
	s_mul_hi_u32 s0, s15, s6
	s_add_i32 s0, s6, s0
	s_lshr_b32 s0, s0, s16
	s_mul_i32 s1, s0, s17
	s_sub_i32 s1, s6, s1
	s_mul_hi_u32 s2, s1, s18
	s_add_i32 s2, s1, s2
	s_lshr_b32 s9, s2, s19
	s_mul_i32 s2, s9, s20
	s_sub_i32 s1, s1, s2
	s_mul_hi_u32 s2, s1, s21
	s_add_i32 s2, s1, s2
	s_lshr_b32 s2, s2, s22
	s_mul_i32 s3, s2, s23
	s_lshl_b32 s16, s2, 3
	s_sub_i32 s15, s1, s3
	s_lshl_b32 s1, s15, 3
	s_add_i32 s1, s1, s7
	s_cmp_lt_i32 s1, s10
	s_cselect_b32 s1, -1, 0
	s_add_i32 s16, s16, s8
	s_cmp_lt_i32 s16, s13
	s_cselect_b32 s2, -1, 0
	s_and_b32 s1, s1, s2
	s_andn2_b32 vcc_lo, exec_lo, s1
	s_cbranch_vccnz .LBB2_6
; %bb.1:
	s_mul_i32 s10, s0, s10
	s_load_dwordx4 s[0:3], s[4:5], 0x0
	s_add_i32 s4, s10, s7
	s_mul_i32 s9, s9, s13
	s_mul_i32 s4, s4, s11
	s_add_i32 s5, s16, s9
	s_mul_i32 s9, s11, s15
	s_add_i32 s4, s5, s4
	s_mulk_i32 s9, 0x240
	s_mulk_i32 s4, 0x48
	s_lshl_b32 s10, s7, 3
	v_add3_u32 v1, s4, s9, v0
	s_mul_i32 s4, s14, s6
	s_add_i32 s11, s4, s14
	v_ashrrev_i32_e32 v2, 31, v1
	v_lshlrev_b64 v[1:2], 2, v[1:2]
	s_waitcnt lgkmcnt(0)
	v_add_co_u32 v1, vcc_lo, s0, v1
	v_add_co_ci_u32_e64 v2, null, s1, v2, vcc_lo
	s_add_i32 s0, s10, s8
	s_lshl_b32 s1, s11, 6
	global_load_dword v5, v[1:2], off
	s_add_i32 s0, s0, s1
	s_sub_i32 s0, s0, 64
	s_ashr_i32 s1, s0, 31
	s_lshl_b64 s[0:1], s[0:1], 3
	s_add_u32 s0, s2, s0
	s_addc_u32 s1, s3, s1
	s_add_i32 s5, s11, -2
	s_load_dword s13, s[0:1], 0x4
	s_cmp_lt_i32 s5, s4
	s_cbranch_scc1 .LBB2_4
; %bb.2:
	s_load_dword s15, s[0:1], 0x0
	s_lshl_b32 s16, s12, 8
	s_mulk_i32 s7, 0x240
	s_ashr_i32 s17, s16, 31
	s_waitcnt lgkmcnt(0)
	v_mov_b32_e32 v6, s13
	s_lshl_b64 s[0:1], s[16:17], 2
	s_add_u32 s5, s2, s0
	s_addc_u32 s9, s3, s1
	s_add_i32 s6, s6, 1
	s_mul_i32 s0, s14, s6
	s_mul_i32 s6, s8, 0x48
	s_lshl_b32 s1, s0, 6
	s_mulk_i32 s0, 0x1200
	s_add_i32 s6, s6, s7
	s_add_i32 s1, s8, s1
	s_lshl_b32 s7, s12, 6
	s_add_i32 s6, s6, s0
	s_add_i32 s0, s1, s7
	v_add3_u32 v3, s6, v0, 0xffffdc00
	v_mov_b32_e32 v0, s15
	s_add_i32 s0, s0, s10
	s_add_i32 s6, s11, -1
	s_addk_i32 s0, 0xff80
.LBB2_3:                                ; =>This Inner Loop Header: Depth=1
	v_ashrrev_i32_e32 v4, 31, v3
	s_ashr_i32 s1, s0, 31
	s_lshl_b64 s[10:11], s[0:1], 3
	s_add_u32 s10, s2, s10
	v_lshlrev_b64 v[7:8], 2, v[3:4]
	s_addc_u32 s11, s3, s11
	v_add_nc_u32_e32 v3, 0xffffee00, v3
	s_add_i32 s6, s6, -1
	s_sub_i32 s0, s0, 64
	s_cmp_le_i32 s6, s4
	v_add_co_u32 v7, vcc_lo, s5, v7
	v_add_co_ci_u32_e64 v8, null, s9, v8, vcc_lo
	s_load_dwordx2 s[10:11], s[10:11], 0x0
	global_load_dword v4, v[7:8], off
	v_max_f32_e32 v7, v0, v0
	s_waitcnt lgkmcnt(0)
	v_max_f32_e64 v8, s10, s10
	v_max_f32_e32 v7, v7, v8
	v_sub_f32_e32 v8, s10, v7
	v_sub_f32_e32 v0, v0, v7
	v_mul_f32_e32 v9, 0x3fb8aa3b, v8
	v_mul_f32_e32 v12, 0x3fb8aa3b, v0
	v_cmp_ngt_f32_e32 vcc_lo, 0xc2ce8ed0, v8
	v_fma_f32 v10, 0x3fb8aa3b, v8, -v9
	v_rndne_f32_e32 v11, v9
	v_fma_f32 v13, 0x3fb8aa3b, v0, -v12
	v_rndne_f32_e32 v14, v12
	v_fmac_f32_e32 v10, 0x32a5705f, v8
	v_sub_f32_e32 v9, v9, v11
	v_fmac_f32_e32 v13, 0x32a5705f, v0
	v_cvt_i32_f32_e32 v11, v11
	v_add_f32_e32 v9, v9, v10
	v_sub_f32_e32 v10, v12, v14
	v_exp_f32_e32 v9, v9
	v_add_f32_e32 v10, v10, v13
	v_exp_f32_e32 v10, v10
	v_ldexp_f32 v9, v9, v11
	v_cvt_i32_f32_e32 v11, v14
	v_cndmask_b32_e32 v9, 0, v9, vcc_lo
	v_cmp_nlt_f32_e32 vcc_lo, 0x42b17218, v8
	v_ldexp_f32 v10, v10, v11
	v_mov_b32_e32 v11, v6
	v_cndmask_b32_e32 v9, 0x7f800000, v9, vcc_lo
	v_cmp_ngt_f32_e32 vcc_lo, 0xc2ce8ed0, v0
	v_cndmask_b32_e32 v10, 0, v10, vcc_lo
	v_cmp_le_f32_e32 vcc_lo, 0xc1a00000, v8
	v_cndmask_b32_e32 v8, 0, v9, vcc_lo
	v_cmp_nlt_f32_e32 vcc_lo, 0x42b17218, v0
	s_waitcnt vmcnt(1)
	v_mov_b32_e32 v9, v5
	v_cndmask_b32_e32 v5, 0x7f800000, v10, vcc_lo
	v_mul_f32_e32 v10, s11, v8
	v_cmp_le_f32_e32 vcc_lo, 0xc1a00000, v0
	v_mov_b32_e32 v0, v7
	v_mov_b32_e32 v6, v10
	v_cndmask_b32_e32 v12, 0, v5, vcc_lo
	v_fmac_f32_e32 v6, v11, v12
	s_waitcnt vmcnt(0)
	v_mul_f32_e32 v5, v4, v8
	v_fmac_f32_e32 v5, v9, v12
	s_cbranch_scc0 .LBB2_3
	s_branch .LBB2_5
.LBB2_4:
	s_waitcnt lgkmcnt(0)
	v_mov_b32_e32 v6, s13
.LBB2_5:
	s_waitcnt vmcnt(0)
	v_div_scale_f32 v0, null, v6, v6, v5
	v_rcp_f32_e32 v3, v0
	v_fma_f32 v4, -v0, v3, 1.0
	v_fmac_f32_e32 v3, v4, v3
	v_div_scale_f32 v4, vcc_lo, v5, v6, v5
	v_mul_f32_e32 v7, v4, v3
	v_fma_f32 v8, -v0, v7, v4
	v_fmac_f32_e32 v7, v8, v3
	v_fma_f32 v0, -v0, v7, v4
	v_div_fmas_f32 v0, v0, v3, v7
	v_div_fixup_f32 v0, v0, v6, v5
	global_store_dword v[1:2], v0, off
.LBB2_6:
	s_endpgm
	.section	.rodata,"a",@progbits
	.p2align	6, 0x0
	.amdhsa_kernel _ZL33flash_attn_stream_k_fixup_uniformILi72ELi8ELi8EEvPfPK15HIP_vector_typeIfLj2EEiiiiiiS1_IjLj3EES5_S5_
		.amdhsa_group_segment_fixed_size 0
		.amdhsa_private_segment_fixed_size 0
		.amdhsa_kernarg_size 76
		.amdhsa_user_sgpr_count 6
		.amdhsa_user_sgpr_private_segment_buffer 1
		.amdhsa_user_sgpr_dispatch_ptr 0
		.amdhsa_user_sgpr_queue_ptr 0
		.amdhsa_user_sgpr_kernarg_segment_ptr 1
		.amdhsa_user_sgpr_dispatch_id 0
		.amdhsa_user_sgpr_flat_scratch_init 0
		.amdhsa_user_sgpr_private_segment_size 0
		.amdhsa_wavefront_size32 1
		.amdhsa_uses_dynamic_stack 0
		.amdhsa_system_sgpr_private_segment_wavefront_offset 0
		.amdhsa_system_sgpr_workgroup_id_x 1
		.amdhsa_system_sgpr_workgroup_id_y 1
		.amdhsa_system_sgpr_workgroup_id_z 1
		.amdhsa_system_sgpr_workgroup_info 0
		.amdhsa_system_vgpr_workitem_id 0
		.amdhsa_next_free_vgpr 15
		.amdhsa_next_free_sgpr 24
		.amdhsa_reserve_vcc 1
		.amdhsa_reserve_flat_scratch 0
		.amdhsa_float_round_mode_32 0
		.amdhsa_float_round_mode_16_64 0
		.amdhsa_float_denorm_mode_32 3
		.amdhsa_float_denorm_mode_16_64 3
		.amdhsa_dx10_clamp 1
		.amdhsa_ieee_mode 1
		.amdhsa_fp16_overflow 0
		.amdhsa_workgroup_processor_mode 1
		.amdhsa_memory_ordered 1
		.amdhsa_forward_progress 1
		.amdhsa_shared_vgpr_count 0
		.amdhsa_exception_fp_ieee_invalid_op 0
		.amdhsa_exception_fp_denorm_src 0
		.amdhsa_exception_fp_ieee_div_zero 0
		.amdhsa_exception_fp_ieee_overflow 0
		.amdhsa_exception_fp_ieee_underflow 0
		.amdhsa_exception_fp_ieee_inexact 0
		.amdhsa_exception_int_div_zero 0
	.end_amdhsa_kernel
	.section	.text._ZL33flash_attn_stream_k_fixup_uniformILi72ELi8ELi8EEvPfPK15HIP_vector_typeIfLj2EEiiiiiiS1_IjLj3EES5_S5_,"axG",@progbits,_ZL33flash_attn_stream_k_fixup_uniformILi72ELi8ELi8EEvPfPK15HIP_vector_typeIfLj2EEiiiiiiS1_IjLj3EES5_S5_,comdat
.Lfunc_end2:
	.size	_ZL33flash_attn_stream_k_fixup_uniformILi72ELi8ELi8EEvPfPK15HIP_vector_typeIfLj2EEiiiiiiS1_IjLj3EES5_S5_, .Lfunc_end2-_ZL33flash_attn_stream_k_fixup_uniformILi72ELi8ELi8EEvPfPK15HIP_vector_typeIfLj2EEiiiiiiS1_IjLj3EES5_S5_
                                        ; -- End function
	.set _ZL33flash_attn_stream_k_fixup_uniformILi72ELi8ELi8EEvPfPK15HIP_vector_typeIfLj2EEiiiiiiS1_IjLj3EES5_S5_.num_vgpr, 15
	.set _ZL33flash_attn_stream_k_fixup_uniformILi72ELi8ELi8EEvPfPK15HIP_vector_typeIfLj2EEiiiiiiS1_IjLj3EES5_S5_.num_agpr, 0
	.set _ZL33flash_attn_stream_k_fixup_uniformILi72ELi8ELi8EEvPfPK15HIP_vector_typeIfLj2EEiiiiiiS1_IjLj3EES5_S5_.numbered_sgpr, 24
	.set _ZL33flash_attn_stream_k_fixup_uniformILi72ELi8ELi8EEvPfPK15HIP_vector_typeIfLj2EEiiiiiiS1_IjLj3EES5_S5_.num_named_barrier, 0
	.set _ZL33flash_attn_stream_k_fixup_uniformILi72ELi8ELi8EEvPfPK15HIP_vector_typeIfLj2EEiiiiiiS1_IjLj3EES5_S5_.private_seg_size, 0
	.set _ZL33flash_attn_stream_k_fixup_uniformILi72ELi8ELi8EEvPfPK15HIP_vector_typeIfLj2EEiiiiiiS1_IjLj3EES5_S5_.uses_vcc, 1
	.set _ZL33flash_attn_stream_k_fixup_uniformILi72ELi8ELi8EEvPfPK15HIP_vector_typeIfLj2EEiiiiiiS1_IjLj3EES5_S5_.uses_flat_scratch, 0
	.set _ZL33flash_attn_stream_k_fixup_uniformILi72ELi8ELi8EEvPfPK15HIP_vector_typeIfLj2EEiiiiiiS1_IjLj3EES5_S5_.has_dyn_sized_stack, 0
	.set _ZL33flash_attn_stream_k_fixup_uniformILi72ELi8ELi8EEvPfPK15HIP_vector_typeIfLj2EEiiiiiiS1_IjLj3EES5_S5_.has_recursion, 0
	.set _ZL33flash_attn_stream_k_fixup_uniformILi72ELi8ELi8EEvPfPK15HIP_vector_typeIfLj2EEiiiiiiS1_IjLj3EES5_S5_.has_indirect_call, 0
	.section	.AMDGPU.csdata,"",@progbits
; Kernel info:
; codeLenInByte = 848
; TotalNumSgprs: 26
; NumVgprs: 15
; ScratchSize: 0
; MemoryBound: 0
; FloatMode: 240
; IeeeMode: 1
; LDSByteSize: 0 bytes/workgroup (compile time only)
; SGPRBlocks: 0
; VGPRBlocks: 1
; NumSGPRsForWavesPerEU: 26
; NumVGPRsForWavesPerEU: 15
; Occupancy: 16
; WaveLimiterHint : 0
; COMPUTE_PGM_RSRC2:SCRATCH_EN: 0
; COMPUTE_PGM_RSRC2:USER_SGPR: 6
; COMPUTE_PGM_RSRC2:TRAP_HANDLER: 0
; COMPUTE_PGM_RSRC2:TGID_X_EN: 1
; COMPUTE_PGM_RSRC2:TGID_Y_EN: 1
; COMPUTE_PGM_RSRC2:TGID_Z_EN: 1
; COMPUTE_PGM_RSRC2:TIDIG_COMP_CNT: 0
	.section	.text._ZL33flash_attn_stream_k_fixup_generalILi72ELi8ELi8EEvPfPK15HIP_vector_typeIfLj2EEiiiiS1_IjLj3EES5_S5_S5_,"axG",@progbits,_ZL33flash_attn_stream_k_fixup_generalILi72ELi8ELi8EEvPfPK15HIP_vector_typeIfLj2EEiiiiS1_IjLj3EES5_S5_S5_,comdat
	.globl	_ZL33flash_attn_stream_k_fixup_generalILi72ELi8ELi8EEvPfPK15HIP_vector_typeIfLj2EEiiiiS1_IjLj3EES5_S5_S5_ ; -- Begin function _ZL33flash_attn_stream_k_fixup_generalILi72ELi8ELi8EEvPfPK15HIP_vector_typeIfLj2EEiiiiS1_IjLj3EES5_S5_S5_
	.p2align	8
	.type	_ZL33flash_attn_stream_k_fixup_generalILi72ELi8ELi8EEvPfPK15HIP_vector_typeIfLj2EEiiiiS1_IjLj3EES5_S5_S5_,@function
_ZL33flash_attn_stream_k_fixup_generalILi72ELi8ELi8EEvPfPK15HIP_vector_typeIfLj2EEiiiiS1_IjLj3EES5_S5_S5_: ; @_ZL33flash_attn_stream_k_fixup_generalILi72ELi8ELi8EEvPfPK15HIP_vector_typeIfLj2EEiiiiS1_IjLj3EES5_S5_S5_
; %bb.0:
	s_clause 0x1
	s_load_dwordx4 s[0:3], s[4:5], 0x10
	s_load_dword s9, s[4:5], 0x50
	s_mov_b32 s16, 0
	s_waitcnt lgkmcnt(0)
	s_mul_hi_i32 s17, s3, s6
	s_mul_i32 s18, s3, s6
	s_cmp_lg_u64 s[16:17], 0
	s_cbranch_scc0 .LBB3_21
; %bb.1:
	s_add_u32 s10, s9, 0
	s_addc_u32 s11, 0, 0
	s_xor_b64 s[10:11], s[10:11], 0
	v_cvt_f32_u32_e32 v1, s10
	v_cvt_f32_u32_e32 v2, s11
	s_sub_u32 s14, 0, s10
	s_subb_u32 s15, 0, s11
	v_fmamk_f32 v1, v2, 0x4f800000, v1
	v_rcp_f32_e32 v1, v1
	v_mul_f32_e32 v1, 0x5f7ffffc, v1
	v_mul_f32_e32 v2, 0x2f800000, v1
	v_trunc_f32_e32 v2, v2
	v_fmamk_f32 v1, v2, 0xcf800000, v1
	v_cvt_u32_f32_e32 v2, v2
	v_cvt_u32_f32_e32 v1, v1
	v_readfirstlane_b32 s12, v2
	v_readfirstlane_b32 s13, v1
	s_mul_i32 s19, s14, s12
	s_mul_hi_u32 s21, s14, s13
	s_mul_i32 s20, s15, s13
	s_add_i32 s19, s21, s19
	s_mul_i32 s22, s14, s13
	s_add_i32 s19, s19, s20
	s_mul_hi_u32 s21, s13, s22
	s_mul_i32 s24, s13, s19
	s_mul_hi_u32 s23, s12, s22
	s_mul_i32 s20, s12, s22
	s_mul_hi_u32 s22, s13, s19
	s_add_u32 s21, s21, s24
	s_addc_u32 s22, 0, s22
	s_mul_hi_u32 s25, s12, s19
	s_add_u32 s20, s21, s20
	s_mul_i32 s19, s12, s19
	s_addc_u32 s20, s22, s23
	s_addc_u32 s21, s25, 0
	s_add_u32 s19, s20, s19
	s_addc_u32 s20, 0, s21
	s_add_u32 s13, s13, s19
	s_cselect_b32 s19, -1, 0
	s_mul_hi_u32 s21, s14, s13
	s_cmp_lg_u32 s19, 0
	s_mul_i32 s19, s14, s13
	s_addc_u32 s12, s12, s20
	s_mul_i32 s15, s15, s13
	s_mul_i32 s14, s14, s12
	s_mul_hi_u32 s20, s13, s19
	s_add_i32 s14, s21, s14
	s_mul_hi_u32 s21, s12, s19
	s_add_i32 s14, s14, s15
	s_mul_i32 s15, s12, s19
	s_mul_i32 s23, s13, s14
	s_mul_hi_u32 s22, s13, s14
	s_add_u32 s20, s20, s23
	s_addc_u32 s22, 0, s22
	s_mul_hi_u32 s19, s12, s14
	s_add_u32 s15, s20, s15
	s_mul_i32 s14, s12, s14
	s_addc_u32 s15, s22, s21
	s_addc_u32 s19, s19, 0
	s_add_u32 s14, s15, s14
	s_addc_u32 s15, 0, s19
	s_add_u32 s19, s13, s14
	s_cselect_b32 s13, -1, 0
	s_cmp_lg_u32 s13, 0
	s_addc_u32 s20, s12, s15
	s_ashr_i32 s12, s17, 31
	s_add_u32 s14, s18, s12
	s_mov_b32 s13, s12
	s_addc_u32 s15, s17, s12
	s_xor_b64 s[14:15], s[14:15], s[12:13]
	s_mul_i32 s21, s14, s20
	s_mul_hi_u32 s22, s14, s19
	s_mul_hi_u32 s17, s14, s20
	;; [unrolled: 1-line block ×3, first 2 shown]
	s_mul_i32 s19, s15, s19
	s_add_u32 s21, s22, s21
	s_addc_u32 s17, 0, s17
	s_mul_hi_u32 s23, s15, s20
	s_add_u32 s19, s21, s19
	s_mul_i32 s20, s15, s20
	s_addc_u32 s17, s17, s24
	s_addc_u32 s19, s23, 0
	s_add_u32 s17, s17, s20
	s_addc_u32 s19, 0, s19
	s_mul_hi_u32 s20, s10, s17
	s_mul_i32 s21, s10, s19
	s_mul_i32 s22, s11, s17
	s_add_i32 s20, s20, s21
	s_mul_i32 s21, s10, s17
	s_add_i32 s20, s20, s22
	s_sub_i32 s22, s15, s20
	s_sub_u32 s14, s14, s21
	s_cselect_b32 s21, -1, 0
	s_cmp_lg_u32 s21, 0
	s_subb_u32 s22, s22, s11
	s_sub_u32 s23, s14, s10
	s_cselect_b32 s24, -1, 0
	s_cmp_lg_u32 s24, 0
	s_subb_u32 s22, s22, 0
	s_cmp_ge_u32 s22, s11
	s_cselect_b32 s24, -1, 0
	s_cmp_ge_u32 s23, s10
	s_cselect_b32 s23, -1, 0
	s_cmp_eq_u32 s22, s11
	s_cselect_b32 s22, s23, s24
	s_add_u32 s23, s17, 1
	s_addc_u32 s24, s19, 0
	s_add_u32 s25, s17, 2
	s_addc_u32 s26, s19, 0
	s_cmp_lg_u32 s22, 0
	s_cselect_b32 s22, s25, s23
	s_cselect_b32 s23, s26, s24
	s_cmp_lg_u32 s21, 0
	s_subb_u32 s15, s15, s20
	s_cmp_ge_u32 s15, s11
	s_cselect_b32 s20, -1, 0
	s_cmp_ge_u32 s14, s10
	s_cselect_b32 s10, -1, 0
	s_cmp_eq_u32 s15, s11
	s_cselect_b32 s10, s10, s20
	s_cmp_lg_u32 s10, 0
	s_cselect_b32 s11, s23, s19
	s_cselect_b32 s10, s22, s17
	s_xor_b64 s[12:13], s[12:13], 0
	s_xor_b64 s[10:11], s[10:11], s[12:13]
	s_sub_u32 s10, s10, s12
	s_load_dwordx4 s[12:15], s[4:5], 0x44
	s_andn2_b32 vcc_lo, exec_lo, s16
	s_cbranch_vccnz .LBB3_3
.LBB3_2:
	v_cvt_f32_u32_e32 v1, s9
	s_sub_i32 s11, 0, s9
	v_rcp_iflag_f32_e32 v1, v1
	v_mul_f32_e32 v1, 0x4f7ffffe, v1
	v_cvt_u32_f32_e32 v1, v1
	v_readfirstlane_b32 s10, v1
	s_mul_i32 s11, s11, s10
	s_mul_hi_u32 s11, s10, s11
	s_add_i32 s10, s10, s11
	s_mul_hi_u32 s10, s18, s10
	s_mul_i32 s11, s10, s9
	s_waitcnt lgkmcnt(0)
	s_add_i32 s15, s10, 1
	s_sub_i32 s11, s18, s11
	s_sub_i32 s16, s11, s9
	s_cmp_ge_u32 s11, s9
	s_cselect_b32 s10, s15, s10
	s_cselect_b32 s11, s16, s11
	s_add_i32 s15, s10, 1
	s_cmp_ge_u32 s11, s9
	s_cselect_b32 s10, s15, s10
.LBB3_3:
	s_add_i32 s11, s6, 1
	s_mov_b32 s16, 0
	s_mul_hi_i32 s17, s3, s11
	s_mul_i32 s11, s3, s11
	s_cmp_lg_u64 s[16:17], 0
	s_cbranch_scc0 .LBB3_22
; %bb.4:
	s_add_u32 s18, s9, 0
	s_addc_u32 s19, 0, 0
	s_xor_b64 s[18:19], s[18:19], 0
	v_cvt_f32_u32_e32 v1, s18
	v_cvt_f32_u32_e32 v2, s19
	s_sub_u32 s21, 0, s18
	s_subb_u32 s22, 0, s19
	v_fmamk_f32 v1, v2, 0x4f800000, v1
	v_rcp_f32_e32 v1, v1
	v_mul_f32_e32 v1, 0x5f7ffffc, v1
	v_mul_f32_e32 v2, 0x2f800000, v1
	v_trunc_f32_e32 v2, v2
	v_fmamk_f32 v1, v2, 0xcf800000, v1
	v_cvt_u32_f32_e32 v2, v2
	v_cvt_u32_f32_e32 v1, v1
	s_waitcnt lgkmcnt(0)
	v_readfirstlane_b32 s15, v2
	v_readfirstlane_b32 s20, v1
	s_mul_i32 s23, s21, s15
	s_mul_hi_u32 s25, s21, s20
	s_mul_i32 s24, s22, s20
	s_add_i32 s23, s25, s23
	s_mul_i32 s26, s21, s20
	s_add_i32 s23, s23, s24
	s_mul_hi_u32 s25, s20, s26
	s_mul_i32 s28, s20, s23
	s_mul_hi_u32 s27, s15, s26
	s_mul_i32 s24, s15, s26
	s_mul_hi_u32 s26, s20, s23
	s_add_u32 s25, s25, s28
	s_addc_u32 s26, 0, s26
	s_mul_hi_u32 s29, s15, s23
	s_add_u32 s24, s25, s24
	s_mul_i32 s23, s15, s23
	s_addc_u32 s24, s26, s27
	s_addc_u32 s25, s29, 0
	s_add_u32 s23, s24, s23
	s_addc_u32 s24, 0, s25
	s_add_u32 s20, s20, s23
	s_cselect_b32 s23, -1, 0
	s_mul_hi_u32 s25, s21, s20
	s_cmp_lg_u32 s23, 0
	s_mul_i32 s23, s21, s20
	s_addc_u32 s15, s15, s24
	s_mul_i32 s22, s22, s20
	s_mul_i32 s21, s21, s15
	s_mul_hi_u32 s24, s20, s23
	s_add_i32 s21, s25, s21
	s_mul_hi_u32 s25, s15, s23
	s_add_i32 s21, s21, s22
	s_mul_i32 s22, s15, s23
	s_mul_i32 s27, s20, s21
	s_mul_hi_u32 s26, s20, s21
	s_add_u32 s24, s24, s27
	s_addc_u32 s26, 0, s26
	s_mul_hi_u32 s23, s15, s21
	s_add_u32 s22, s24, s22
	s_mul_i32 s21, s15, s21
	s_addc_u32 s22, s26, s25
	s_addc_u32 s23, s23, 0
	s_add_u32 s21, s22, s21
	s_addc_u32 s22, 0, s23
	s_add_u32 s24, s20, s21
	s_cselect_b32 s20, -1, 0
	s_cmp_lg_u32 s20, 0
	s_addc_u32 s15, s15, s22
	s_ashr_i32 s20, s17, 31
	s_add_u32 s22, s11, s20
	s_mov_b32 s21, s20
	s_addc_u32 s23, s17, s20
	s_xor_b64 s[22:23], s[22:23], s[20:21]
	s_mul_i32 s25, s22, s15
	s_mul_hi_u32 s26, s22, s24
	s_mul_hi_u32 s17, s22, s15
	;; [unrolled: 1-line block ×3, first 2 shown]
	s_mul_i32 s24, s23, s24
	s_add_u32 s25, s26, s25
	s_addc_u32 s17, 0, s17
	s_mul_hi_u32 s27, s23, s15
	s_add_u32 s24, s25, s24
	s_mul_i32 s15, s23, s15
	s_addc_u32 s17, s17, s28
	s_addc_u32 s24, s27, 0
	s_add_u32 s15, s17, s15
	s_addc_u32 s17, 0, s24
	s_mul_hi_u32 s24, s18, s15
	s_mul_i32 s25, s18, s17
	s_mul_i32 s26, s19, s15
	s_add_i32 s24, s24, s25
	s_mul_i32 s25, s18, s15
	s_add_i32 s24, s24, s26
	s_sub_i32 s26, s23, s24
	s_sub_u32 s22, s22, s25
	s_cselect_b32 s25, -1, 0
	s_cmp_lg_u32 s25, 0
	s_subb_u32 s26, s26, s19
	s_sub_u32 s27, s22, s18
	s_cselect_b32 s28, -1, 0
	s_cmp_lg_u32 s28, 0
	s_subb_u32 s26, s26, 0
	s_cmp_ge_u32 s26, s19
	s_cselect_b32 s28, -1, 0
	s_cmp_ge_u32 s27, s18
	s_cselect_b32 s27, -1, 0
	s_cmp_eq_u32 s26, s19
	s_cselect_b32 s26, s27, s28
	s_add_u32 s27, s15, 1
	s_addc_u32 s28, s17, 0
	s_add_u32 s29, s15, 2
	s_addc_u32 s30, s17, 0
	s_cmp_lg_u32 s26, 0
	s_cselect_b32 s26, s29, s27
	s_cselect_b32 s27, s30, s28
	s_cmp_lg_u32 s25, 0
	s_subb_u32 s23, s23, s24
	s_cmp_ge_u32 s23, s19
	s_cselect_b32 s24, -1, 0
	s_cmp_ge_u32 s22, s18
	s_cselect_b32 s18, -1, 0
	s_cmp_eq_u32 s23, s19
	s_cselect_b32 s18, s18, s24
	s_cmp_lg_u32 s18, 0
	s_cselect_b32 s19, s27, s17
	s_cselect_b32 s18, s26, s15
	s_xor_b64 s[20:21], s[20:21], 0
	s_xor_b64 s[18:19], s[18:19], s[20:21]
	s_sub_u32 s18, s18, s20
	s_andn2_b32 vcc_lo, exec_lo, s16
	s_cbranch_vccnz .LBB3_6
.LBB3_5:
	v_cvt_f32_u32_e32 v1, s9
	s_sub_i32 s16, 0, s9
	v_rcp_iflag_f32_e32 v1, v1
	v_mul_f32_e32 v1, 0x4f7ffffe, v1
	v_cvt_u32_f32_e32 v1, v1
	s_waitcnt lgkmcnt(0)
	v_readfirstlane_b32 s15, v1
	s_mul_i32 s16, s16, s15
	s_mul_hi_u32 s16, s15, s16
	s_add_i32 s15, s15, s16
	s_mul_hi_u32 s15, s11, s15
	s_mul_i32 s16, s15, s9
	s_sub_i32 s11, s11, s16
	s_add_i32 s16, s15, 1
	s_sub_i32 s17, s11, s9
	s_cmp_ge_u32 s11, s9
	s_cselect_b32 s15, s16, s15
	s_cselect_b32 s11, s17, s11
	s_add_i32 s16, s15, 1
	s_cmp_ge_u32 s11, s9
	s_cselect_b32 s18, s16, s15
.LBB3_6:
	s_cmp_eq_u32 s10, s18
	s_waitcnt lgkmcnt(0)
	s_mul_hi_u32 s11, s10, s12
	s_cselect_b32 s15, -1, 0
	s_add_i32 s11, s11, s10
	s_lshr_b32 s11, s11, s13
	s_mul_i32 s16, s11, s14
	s_cmp_eq_u32 s16, s10
	s_mul_hi_u32 s16, s18, s12
	s_cselect_b32 s17, -1, 0
	s_add_i32 s16, s16, s18
	s_lshr_b32 s16, s16, s13
	s_cmp_eq_u32 s11, s16
	s_mul_i32 s16, s16, s14
	s_cselect_b32 s19, -1, 0
	s_cmp_lg_u32 s16, s18
	s_cselect_b32 s16, -1, 0
	s_or_b32 s15, s15, s17
	s_and_b32 s16, s19, s16
	s_or_b32 s15, s15, s16
	s_and_b32 vcc_lo, exec_lo, s15
	s_cbranch_vccnz .LBB3_24
; %bb.7:
	s_clause 0x1
	s_load_dwordx8 s[20:27], s[4:5], 0x20
	s_load_dword s16, s[4:5], 0x40
	s_waitcnt lgkmcnt(0)
	s_mul_hi_u32 s15, s10, s20
	s_add_i32 s15, s15, s10
	s_lshr_b32 s15, s15, s21
	s_mul_i32 s17, s15, s22
	s_sub_i32 s17, s10, s17
	s_mul_hi_u32 s18, s17, s23
	s_add_i32 s18, s17, s18
	s_lshr_b32 s21, s18, s24
	s_mul_i32 s18, s21, s25
	s_sub_i32 s17, s17, s18
	s_mul_hi_u32 s18, s17, s26
	s_add_i32 s18, s17, s18
	s_lshr_b32 s18, s18, s27
	s_mul_i32 s16, s18, s16
	s_lshl_b32 s22, s18, 3
	s_sub_i32 s16, s17, s16
	s_mul_hi_u32 s17, s16, s12
	s_add_i32 s16, s16, s17
	s_lshr_b32 s20, s16, s13
	s_lshl_b32 s16, s20, 3
	s_add_i32 s16, s16, s7
	s_cmp_lt_i32 s16, s0
	s_cselect_b32 s16, -1, 0
	s_add_i32 s22, s22, s8
	s_cmp_lt_i32 s22, s2
	s_cselect_b32 s17, -1, 0
	s_and_b32 s16, s16, s17
	s_andn2_b32 vcc_lo, exec_lo, s16
	s_cbranch_vccnz .LBB3_24
; %bb.8:
	s_load_dwordx4 s[16:19], s[4:5], 0x0
	s_mov_b32 s4, 0
	s_lshl_b32 s24, s9, 8
	s_mov_b32 s25, s4
	s_lshl_b32 s5, s7, 3
	s_lshl_b64 s[24:25], s[24:25], 2
	s_mul_i32 s21, s21, s2
	s_mul_i32 s0, s15, s0
	s_add_i32 s2, s5, s8
	v_cvt_f32_u32_e32 v3, s9
	v_rcp_iflag_f32_e32 v3, v3
	s_waitcnt lgkmcnt(0)
	s_add_u32 s8, s18, s24
	s_addc_u32 s15, s19, s25
	s_add_i32 s0, s0, s7
	s_add_i32 s5, s22, s21
	s_mul_i32 s0, s0, s1
	s_mul_i32 s1, s1, s20
	s_add_i32 s0, s5, s0
	s_mulk_i32 s1, 0x240
	s_mulk_i32 s0, 0x48
	v_mul_f32_e32 v7, 0x4f7ffffe, v3
	v_add3_u32 v1, s1, s0, v0
	s_lshl_b32 s0, s6, 6
	s_add_i32 s0, s2, s0
	v_ashrrev_i32_e32 v2, 31, v1
	s_ashr_i32 s1, s0, 31
	s_lshl_b64 s[0:1], s[0:1], 3
	v_lshlrev_b64 v[1:2], 2, v[1:2]
	s_add_u32 s0, s18, s0
	s_addc_u32 s1, s19, s1
	s_load_dwordx2 s[0:1], s[0:1], 0x0
	v_add_co_u32 v1, vcc_lo, s16, v1
	v_add_co_ci_u32_e64 v2, null, s17, v2, vcc_lo
	s_add_i32 s17, s6, -1
	v_mad_u64_u32 v[3:4], null, 0x48, s2, v[0:1]
	global_load_dword v5, v[1:2], off
	v_cvt_u32_f32_e32 v0, v7
	s_sub_i32 s16, 0, s9
	s_waitcnt lgkmcnt(0)
	v_mov_b32_e32 v4, s1
	v_mov_b32_e32 v6, s0
.LBB3_9:                                ; =>This Inner Loop Header: Depth=1
	s_mul_hi_i32 s5, s17, s3
	s_mul_i32 s6, s17, s3
	s_cmp_lg_u64 s[4:5], 0
	s_mov_b32 s7, -1
                                        ; implicit-def: $sgpr0_sgpr1
	s_cbranch_scc0 .LBB3_11
; %bb.10:                               ;   in Loop: Header=BB3_9 Depth=1
	s_add_u32 s0, s9, 0
	s_addc_u32 s1, 0, 0
	s_xor_b64 s[0:1], s[0:1], 0
	v_cvt_f32_u32_e32 v7, s0
	v_cvt_f32_u32_e32 v8, s1
	s_sub_u32 s21, 0, s0
	s_subb_u32 s22, 0, s1
	v_fmac_f32_e32 v7, 0x4f800000, v8
	v_rcp_f32_e32 v7, v7
	v_mul_f32_e32 v7, 0x5f7ffffc, v7
	v_mul_f32_e32 v8, 0x2f800000, v7
	v_trunc_f32_e32 v8, v8
	v_fmac_f32_e32 v7, 0xcf800000, v8
	v_cvt_u32_f32_e32 v8, v8
	v_cvt_u32_f32_e32 v7, v7
	v_readfirstlane_b32 s7, v8
	v_readfirstlane_b32 s20, v7
	s_mul_i32 s23, s21, s7
	s_mul_hi_u32 s25, s21, s20
	s_mul_i32 s24, s22, s20
	s_add_i32 s23, s25, s23
	s_mul_i32 s26, s21, s20
	s_add_i32 s23, s23, s24
	s_mul_hi_u32 s25, s20, s26
	s_mul_i32 s28, s20, s23
	s_mul_hi_u32 s27, s7, s26
	s_mul_i32 s24, s7, s26
	s_mul_hi_u32 s26, s20, s23
	s_add_u32 s25, s25, s28
	s_addc_u32 s26, 0, s26
	s_mul_hi_u32 s29, s7, s23
	s_add_u32 s24, s25, s24
	s_mul_i32 s23, s7, s23
	s_addc_u32 s24, s26, s27
	s_addc_u32 s25, s29, 0
	s_add_u32 s23, s24, s23
	s_addc_u32 s24, 0, s25
	s_add_u32 s20, s20, s23
	s_cselect_b32 s23, -1, 0
	s_mul_hi_u32 s25, s21, s20
	s_cmp_lg_u32 s23, 0
	s_mul_i32 s23, s21, s20
	s_addc_u32 s7, s7, s24
	s_mul_i32 s22, s22, s20
	s_mul_i32 s21, s21, s7
	s_mul_hi_u32 s24, s20, s23
	s_add_i32 s21, s25, s21
	s_mul_hi_u32 s25, s7, s23
	s_add_i32 s21, s21, s22
	s_mul_i32 s22, s7, s23
	s_mul_i32 s27, s20, s21
	s_mul_hi_u32 s26, s20, s21
	s_add_u32 s24, s24, s27
	s_addc_u32 s26, 0, s26
	s_mul_hi_u32 s23, s7, s21
	s_add_u32 s22, s24, s22
	s_mul_i32 s21, s7, s21
	s_addc_u32 s22, s26, s25
	s_addc_u32 s23, s23, 0
	s_add_u32 s21, s22, s21
	s_addc_u32 s22, 0, s23
	s_add_u32 s24, s20, s21
	s_cselect_b32 s20, -1, 0
	s_cmp_lg_u32 s20, 0
	s_addc_u32 s7, s7, s22
	s_ashr_i32 s20, s5, 31
	s_add_u32 s22, s6, s20
	s_mov_b32 s21, s20
	s_addc_u32 s23, s5, s20
	s_xor_b64 s[22:23], s[22:23], s[20:21]
	s_mul_i32 s25, s22, s7
	s_mul_hi_u32 s26, s22, s24
	s_mul_hi_u32 s5, s22, s7
	;; [unrolled: 1-line block ×3, first 2 shown]
	s_mul_i32 s24, s23, s24
	s_add_u32 s25, s26, s25
	s_addc_u32 s5, 0, s5
	s_mul_hi_u32 s27, s23, s7
	s_add_u32 s24, s25, s24
	s_mul_i32 s7, s23, s7
	s_addc_u32 s5, s5, s28
	s_addc_u32 s24, s27, 0
	s_add_u32 s5, s5, s7
	s_addc_u32 s7, 0, s24
	s_mul_hi_u32 s24, s0, s5
	s_mul_i32 s25, s0, s7
	s_mul_i32 s26, s1, s5
	s_add_i32 s24, s24, s25
	s_mul_i32 s25, s0, s5
	s_add_i32 s24, s24, s26
	s_sub_i32 s26, s23, s24
	s_sub_u32 s22, s22, s25
	s_cselect_b32 s25, -1, 0
	s_cmp_lg_u32 s25, 0
	s_subb_u32 s26, s26, s1
	s_sub_u32 s27, s22, s0
	s_cselect_b32 s28, -1, 0
	s_cmp_lg_u32 s28, 0
	s_subb_u32 s26, s26, 0
	s_cmp_ge_u32 s26, s1
	s_cselect_b32 s28, -1, 0
	s_cmp_ge_u32 s27, s0
	s_cselect_b32 s27, -1, 0
	s_cmp_eq_u32 s26, s1
	s_cselect_b32 s26, s27, s28
	s_add_u32 s27, s5, 1
	s_addc_u32 s28, s7, 0
	s_add_u32 s29, s5, 2
	s_addc_u32 s30, s7, 0
	s_cmp_lg_u32 s26, 0
	s_cselect_b32 s26, s29, s27
	s_cselect_b32 s27, s30, s28
	s_cmp_lg_u32 s25, 0
	s_subb_u32 s23, s23, s24
	s_cmp_ge_u32 s23, s1
	s_cselect_b32 s24, -1, 0
	s_cmp_ge_u32 s22, s0
	s_cselect_b32 s0, -1, 0
	s_cmp_eq_u32 s23, s1
	s_cselect_b32 s0, s0, s24
	s_cmp_lg_u32 s0, 0
	s_cselect_b32 s1, s27, s7
	s_cselect_b32 s0, s26, s5
	s_xor_b64 s[20:21], s[20:21], 0
	s_mov_b32 s7, 0
	s_xor_b64 s[0:1], s[0:1], s[20:21]
	s_sub_u32 s0, s0, s20
.LBB3_11:                               ;   in Loop: Header=BB3_9 Depth=1
	s_andn2_b32 vcc_lo, exec_lo, s7
	s_cbranch_vccnz .LBB3_13
; %bb.12:                               ;   in Loop: Header=BB3_9 Depth=1
	v_readfirstlane_b32 s0, v0
	s_mul_i32 s1, s16, s0
	s_mul_hi_u32 s1, s0, s1
	s_add_i32 s0, s0, s1
	s_mul_hi_u32 s0, s6, s0
	s_mul_i32 s1, s0, s9
	s_add_i32 s5, s0, 1
	s_sub_i32 s1, s6, s1
	s_sub_i32 s6, s1, s9
	s_cmp_ge_u32 s1, s9
	s_cselect_b32 s0, s5, s0
	s_cselect_b32 s1, s6, s1
	s_add_i32 s5, s0, 1
	s_cmp_ge_u32 s1, s9
	s_cselect_b32 s0, s5, s0
.LBB3_13:                               ;   in Loop: Header=BB3_9 Depth=1
	s_cmp_lg_u32 s10, s0
	s_mov_b32 s6, -1
                                        ; implicit-def: $sgpr5
                                        ; implicit-def: $vgpr8
                                        ; implicit-def: $vgpr7
                                        ; implicit-def: $vgpr9
                                        ; implicit-def: $sgpr1
                                        ; implicit-def: $sgpr20
	s_cbranch_scc0 .LBB3_18
; %bb.14:                               ;   in Loop: Header=BB3_9 Depth=1
	s_add_i32 s1, s17, s9
	s_mov_b32 s7, s4
	s_lshl_b32 s1, s1, 6
	s_mov_b32 s20, s10
	s_add_i32 s6, s1, s2
	s_mul_hi_u32 s1, s0, s12
	s_lshl_b64 s[6:7], s[6:7], 3
	s_add_u32 s6, s18, s6
	s_addc_u32 s7, s19, s7
	s_add_i32 s1, s1, s0
	s_lshr_b32 s1, s1, s13
	s_mul_i32 s5, s1, s14
	s_cmp_eq_u32 s5, s0
	s_cselect_b32 s5, -1, 0
	s_cmp_lt_u32 s1, s11
	s_cselect_b32 s1, -1, 0
	s_or_b32 s1, s1, s5
	s_mov_b32 s5, -1
	s_and_b32 vcc_lo, exec_lo, s1
	s_mov_b32 s1, s17
	s_cbranch_vccnz .LBB3_16
; %bb.15:                               ;   in Loop: Header=BB3_9 Depth=1
	s_add_i32 s1, s17, -1
	s_mov_b32 s5, 0
	s_mov_b32 s20, s0
.LBB3_16:                               ;   in Loop: Header=BB3_9 Depth=1
	v_mad_u64_u32 v[7:8], null, 0x1200, s17, v[3:4]
	s_load_dwordx2 s[6:7], s[6:7], 0x0
	v_ashrrev_i32_e32 v8, 31, v7
	v_lshlrev_b64 v[7:8], 2, v[7:8]
	v_add_co_u32 v7, vcc_lo, s8, v7
	v_add_co_ci_u32_e64 v8, null, s15, v8, vcc_lo
	s_waitcnt lgkmcnt(0)
	v_max_f32_e64 v9, s6, s6
	global_load_dword v8, v[7:8], off
	v_max_f32_e32 v7, v6, v6
	v_max_f32_e32 v7, v7, v9
	v_sub_f32_e32 v9, s6, v7
	v_sub_f32_e32 v10, v6, v7
	v_mul_f32_e32 v11, 0x3fb8aa3b, v9
	v_mul_f32_e32 v12, 0x3fb8aa3b, v10
	v_cmp_ngt_f32_e32 vcc_lo, 0xc2ce8ed0, v9
	v_fma_f32 v13, 0x3fb8aa3b, v9, -v11
	v_rndne_f32_e32 v14, v11
	v_fma_f32 v15, 0x3fb8aa3b, v10, -v12
	v_rndne_f32_e32 v16, v12
	v_fmac_f32_e32 v13, 0x32a5705f, v9
	v_sub_f32_e32 v11, v11, v14
	v_fmac_f32_e32 v15, 0x32a5705f, v10
	v_sub_f32_e32 v12, v12, v16
	v_add_f32_e32 v11, v11, v13
	v_cvt_i32_f32_e32 v13, v14
	v_add_f32_e32 v12, v12, v15
	v_cvt_i32_f32_e32 v14, v16
	v_exp_f32_e32 v11, v11
	v_exp_f32_e32 v12, v12
	v_ldexp_f32 v11, v11, v13
	v_ldexp_f32 v12, v12, v14
	v_cndmask_b32_e32 v11, 0, v11, vcc_lo
	v_cmp_ngt_f32_e32 vcc_lo, 0xc2ce8ed0, v10
	v_cndmask_b32_e32 v12, 0, v12, vcc_lo
	v_cmp_nlt_f32_e32 vcc_lo, 0x42b17218, v9
	v_cndmask_b32_e32 v11, 0x7f800000, v11, vcc_lo
	v_cmp_nlt_f32_e32 vcc_lo, 0x42b17218, v10
	v_cndmask_b32_e32 v12, 0x7f800000, v12, vcc_lo
	v_cmp_le_f32_e32 vcc_lo, 0xc1a00000, v9
	v_cndmask_b32_e32 v9, 0, v11, vcc_lo
	v_cmp_le_f32_e32 vcc_lo, 0xc1a00000, v10
	v_cndmask_b32_e32 v10, 0, v12, vcc_lo
	s_waitcnt vmcnt(0)
	v_mul_f32_e32 v8, v8, v9
	v_mul_f32_e32 v9, s7, v9
	v_fmac_f32_e32 v8, v5, v10
	v_fmac_f32_e32 v9, v4, v10
	s_cbranch_execz .LBB3_19
.LBB3_17:                               ;   in Loop: Header=BB3_9 Depth=1
	s_andn2_b32 vcc_lo, exec_lo, s5
	s_cbranch_vccnz .LBB3_20
	s_branch .LBB3_23
.LBB3_18:                               ;   in Loop: Header=BB3_9 Depth=1
	s_andn2_b32 vcc_lo, exec_lo, s6
	s_cbranch_vccnz .LBB3_17
.LBB3_19:                               ;   in Loop: Header=BB3_9 Depth=1
	v_mov_b32_e32 v9, v4
	v_mov_b32_e32 v7, v6
	s_waitcnt vmcnt(0)
	v_mov_b32_e32 v8, v5
	s_add_i32 s1, s17, -1
	s_mov_b32 s20, s10
	s_cbranch_execz .LBB3_23
.LBB3_20:                               ;   in Loop: Header=BB3_9 Depth=1
	v_mov_b32_e32 v4, v9
	v_mov_b32_e32 v6, v7
	s_waitcnt vmcnt(0)
	v_mov_b32_e32 v5, v8
	s_mov_b32 s10, s20
	s_mov_b32 s17, s1
	s_branch .LBB3_9
.LBB3_21:
                                        ; implicit-def: $sgpr10_sgpr11
	s_load_dwordx4 s[12:15], s[4:5], 0x44
	s_branch .LBB3_2
.LBB3_22:
                                        ; implicit-def: $sgpr18_sgpr19
	s_branch .LBB3_5
.LBB3_23:
	v_div_scale_f32 v0, null, v9, v9, v8
	v_rcp_f32_e32 v3, v0
	v_fma_f32 v4, -v0, v3, 1.0
	v_fmac_f32_e32 v3, v4, v3
	v_div_scale_f32 v4, vcc_lo, v8, v9, v8
	s_waitcnt vmcnt(0)
	v_mul_f32_e32 v5, v4, v3
	v_fma_f32 v6, -v0, v5, v4
	v_fmac_f32_e32 v5, v6, v3
	v_fma_f32 v0, -v0, v5, v4
	v_div_fmas_f32 v0, v0, v3, v5
	v_div_fixup_f32 v0, v0, v9, v8
	global_store_dword v[1:2], v0, off
.LBB3_24:
	s_endpgm
	.section	.rodata,"a",@progbits
	.p2align	6, 0x0
	.amdhsa_kernel _ZL33flash_attn_stream_k_fixup_generalILi72ELi8ELi8EEvPfPK15HIP_vector_typeIfLj2EEiiiiS1_IjLj3EES5_S5_S5_
		.amdhsa_group_segment_fixed_size 0
		.amdhsa_private_segment_fixed_size 0
		.amdhsa_kernarg_size 336
		.amdhsa_user_sgpr_count 6
		.amdhsa_user_sgpr_private_segment_buffer 1
		.amdhsa_user_sgpr_dispatch_ptr 0
		.amdhsa_user_sgpr_queue_ptr 0
		.amdhsa_user_sgpr_kernarg_segment_ptr 1
		.amdhsa_user_sgpr_dispatch_id 0
		.amdhsa_user_sgpr_flat_scratch_init 0
		.amdhsa_user_sgpr_private_segment_size 0
		.amdhsa_wavefront_size32 1
		.amdhsa_uses_dynamic_stack 0
		.amdhsa_system_sgpr_private_segment_wavefront_offset 0
		.amdhsa_system_sgpr_workgroup_id_x 1
		.amdhsa_system_sgpr_workgroup_id_y 1
		.amdhsa_system_sgpr_workgroup_id_z 1
		.amdhsa_system_sgpr_workgroup_info 0
		.amdhsa_system_vgpr_workitem_id 0
		.amdhsa_next_free_vgpr 17
		.amdhsa_next_free_sgpr 31
		.amdhsa_reserve_vcc 1
		.amdhsa_reserve_flat_scratch 0
		.amdhsa_float_round_mode_32 0
		.amdhsa_float_round_mode_16_64 0
		.amdhsa_float_denorm_mode_32 3
		.amdhsa_float_denorm_mode_16_64 3
		.amdhsa_dx10_clamp 1
		.amdhsa_ieee_mode 1
		.amdhsa_fp16_overflow 0
		.amdhsa_workgroup_processor_mode 1
		.amdhsa_memory_ordered 1
		.amdhsa_forward_progress 1
		.amdhsa_shared_vgpr_count 0
		.amdhsa_exception_fp_ieee_invalid_op 0
		.amdhsa_exception_fp_denorm_src 0
		.amdhsa_exception_fp_ieee_div_zero 0
		.amdhsa_exception_fp_ieee_overflow 0
		.amdhsa_exception_fp_ieee_underflow 0
		.amdhsa_exception_fp_ieee_inexact 0
		.amdhsa_exception_int_div_zero 0
	.end_amdhsa_kernel
	.section	.text._ZL33flash_attn_stream_k_fixup_generalILi72ELi8ELi8EEvPfPK15HIP_vector_typeIfLj2EEiiiiS1_IjLj3EES5_S5_S5_,"axG",@progbits,_ZL33flash_attn_stream_k_fixup_generalILi72ELi8ELi8EEvPfPK15HIP_vector_typeIfLj2EEiiiiS1_IjLj3EES5_S5_S5_,comdat
.Lfunc_end3:
	.size	_ZL33flash_attn_stream_k_fixup_generalILi72ELi8ELi8EEvPfPK15HIP_vector_typeIfLj2EEiiiiS1_IjLj3EES5_S5_S5_, .Lfunc_end3-_ZL33flash_attn_stream_k_fixup_generalILi72ELi8ELi8EEvPfPK15HIP_vector_typeIfLj2EEiiiiS1_IjLj3EES5_S5_S5_
                                        ; -- End function
	.set _ZL33flash_attn_stream_k_fixup_generalILi72ELi8ELi8EEvPfPK15HIP_vector_typeIfLj2EEiiiiS1_IjLj3EES5_S5_S5_.num_vgpr, 17
	.set _ZL33flash_attn_stream_k_fixup_generalILi72ELi8ELi8EEvPfPK15HIP_vector_typeIfLj2EEiiiiS1_IjLj3EES5_S5_S5_.num_agpr, 0
	.set _ZL33flash_attn_stream_k_fixup_generalILi72ELi8ELi8EEvPfPK15HIP_vector_typeIfLj2EEiiiiS1_IjLj3EES5_S5_S5_.numbered_sgpr, 31
	.set _ZL33flash_attn_stream_k_fixup_generalILi72ELi8ELi8EEvPfPK15HIP_vector_typeIfLj2EEiiiiS1_IjLj3EES5_S5_S5_.num_named_barrier, 0
	.set _ZL33flash_attn_stream_k_fixup_generalILi72ELi8ELi8EEvPfPK15HIP_vector_typeIfLj2EEiiiiS1_IjLj3EES5_S5_S5_.private_seg_size, 0
	.set _ZL33flash_attn_stream_k_fixup_generalILi72ELi8ELi8EEvPfPK15HIP_vector_typeIfLj2EEiiiiS1_IjLj3EES5_S5_S5_.uses_vcc, 1
	.set _ZL33flash_attn_stream_k_fixup_generalILi72ELi8ELi8EEvPfPK15HIP_vector_typeIfLj2EEiiiiS1_IjLj3EES5_S5_S5_.uses_flat_scratch, 0
	.set _ZL33flash_attn_stream_k_fixup_generalILi72ELi8ELi8EEvPfPK15HIP_vector_typeIfLj2EEiiiiS1_IjLj3EES5_S5_S5_.has_dyn_sized_stack, 0
	.set _ZL33flash_attn_stream_k_fixup_generalILi72ELi8ELi8EEvPfPK15HIP_vector_typeIfLj2EEiiiiS1_IjLj3EES5_S5_S5_.has_recursion, 0
	.set _ZL33flash_attn_stream_k_fixup_generalILi72ELi8ELi8EEvPfPK15HIP_vector_typeIfLj2EEiiiiS1_IjLj3EES5_S5_S5_.has_indirect_call, 0
	.section	.AMDGPU.csdata,"",@progbits
; Kernel info:
; codeLenInByte = 2948
; TotalNumSgprs: 33
; NumVgprs: 17
; ScratchSize: 0
; MemoryBound: 0
; FloatMode: 240
; IeeeMode: 1
; LDSByteSize: 0 bytes/workgroup (compile time only)
; SGPRBlocks: 0
; VGPRBlocks: 2
; NumSGPRsForWavesPerEU: 33
; NumVGPRsForWavesPerEU: 17
; Occupancy: 16
; WaveLimiterHint : 0
; COMPUTE_PGM_RSRC2:SCRATCH_EN: 0
; COMPUTE_PGM_RSRC2:USER_SGPR: 6
; COMPUTE_PGM_RSRC2:TRAP_HANDLER: 0
; COMPUTE_PGM_RSRC2:TGID_X_EN: 1
; COMPUTE_PGM_RSRC2:TGID_Y_EN: 1
; COMPUTE_PGM_RSRC2:TGID_Z_EN: 1
; COMPUTE_PGM_RSRC2:TIDIG_COMP_CNT: 0
	.section	.text._ZL26flash_attn_combine_resultsILi72EEvPKfPK15HIP_vector_typeIfLj2EEPfi,"axG",@progbits,_ZL26flash_attn_combine_resultsILi72EEvPKfPK15HIP_vector_typeIfLj2EEPfi,comdat
	.globl	_ZL26flash_attn_combine_resultsILi72EEvPKfPK15HIP_vector_typeIfLj2EEPfi ; -- Begin function _ZL26flash_attn_combine_resultsILi72EEvPKfPK15HIP_vector_typeIfLj2EEPfi
	.p2align	8
	.type	_ZL26flash_attn_combine_resultsILi72EEvPKfPK15HIP_vector_typeIfLj2EEPfi,@function
_ZL26flash_attn_combine_resultsILi72EEvPKfPK15HIP_vector_typeIfLj2EEPfi: ; @_ZL26flash_attn_combine_resultsILi72EEvPKfPK15HIP_vector_typeIfLj2EEPfi
; %bb.0:
	s_clause 0x3
	s_load_dwordx2 s[2:3], s[4:5], 0x20
	s_load_dword s16, s[4:5], 0x18
	s_load_dwordx4 s[12:15], s[4:5], 0x0
	s_load_dwordx2 s[10:11], s[4:5], 0x10
	v_lshlrev_b32_e32 v7, 2, v0
	s_mov_b32 s4, exec_lo
	s_waitcnt lgkmcnt(0)
	s_mul_i32 s0, s2, s8
	s_lshl_b32 s1, s16, 1
	s_add_i32 s0, s0, s6
	s_mul_i32 s0, s0, s3
	s_add_i32 s7, s0, s7
	s_mul_i32 s2, s7, s16
	v_cmpx_gt_i32_e64 s1, v0
	s_cbranch_execz .LBB4_3
; %bb.1:
	s_ashr_i32 s3, s2, 31
	v_add_nc_u32_e32 v3, 0, v7
	s_lshl_b64 s[8:9], s[2:3], 3
	v_mov_b32_e32 v4, v0
	s_add_u32 s0, s14, s8
	s_addc_u32 s3, s15, s9
	v_add_co_u32 v1, s0, s0, v7
	v_add_co_ci_u32_e64 v2, null, s3, 0, s0
	s_mov_b32 s3, 0
	.p2align	6
.LBB4_2:                                ; =>This Inner Loop Header: Depth=1
	global_load_dword v5, v[1:2], off
	v_add_nc_u32_e32 v4, 0x48, v4
	v_add_co_u32 v1, vcc_lo, 0x120, v1
	v_add_co_ci_u32_e64 v2, null, 0, v2, vcc_lo
	v_cmp_le_i32_e64 s0, s1, v4
	s_or_b32 s3, s0, s3
	s_waitcnt vmcnt(0)
	ds_write_b32 v3, v5
	v_add_nc_u32_e32 v3, 0x120, v3
	s_andn2_b32 exec_lo, exec_lo, s3
	s_cbranch_execnz .LBB4_2
.LBB4_3:
	s_or_b32 exec_lo, exec_lo, s4
	v_mov_b32_e32 v1, 0
	s_waitcnt lgkmcnt(0)
	s_barrier
	buffer_gl0_inv
	s_cmp_lt_i32 s16, 2
	ds_read_b32 v8, v1
	s_cbranch_scc1 .LBB4_11
; %bb.4:
	s_add_i32 s1, s16, -2
	s_add_i32 s0, s16, -1
	s_cmp_lt_u32 s1, 7
	s_cbranch_scc1 .LBB4_8
; %bb.5:
	s_mov_b32 s3, 0
	s_add_i32 s1, 0, 8
	s_and_b32 s4, s0, -8
	.p2align	6
.LBB4_6:                                ; =>This Inner Loop Header: Depth=1
	v_mov_b32_e32 v9, s1
	s_mov_b32 s5, s3
	s_add_i32 s3, s3, 8
	s_add_i32 s1, s1, 64
	s_cmp_eq_u32 s4, s3
	ds_read2_b32 v[1:2], v9 offset1:2
	ds_read2_b32 v[3:4], v9 offset0:4 offset1:6
	ds_read2_b32 v[5:6], v9 offset0:8 offset1:10
	;; [unrolled: 1-line block ×3, first 2 shown]
	s_waitcnt lgkmcnt(3)
	v_max3_f32 v1, v8, v1, v2
	s_waitcnt lgkmcnt(2)
	v_max3_f32 v1, v1, v3, v4
	;; [unrolled: 2-line block ×4, first 2 shown]
	s_cbranch_scc0 .LBB4_6
; %bb.7:
	s_add_i32 s1, s5, 9
	s_and_b32 s0, s0, 7
	s_cmp_eq_u32 s0, 0
	s_cbranch_scc0 .LBB4_9
	s_branch .LBB4_11
.LBB4_8:
	s_mov_b32 s1, 1
	s_and_b32 s0, s0, 7
	s_cmp_eq_u32 s0, 0
	s_cbranch_scc1 .LBB4_11
.LBB4_9:
	s_lshl_b32 s1, s1, 3
	s_add_i32 s1, s1, 0
.LBB4_10:                               ; =>This Inner Loop Header: Depth=1
	v_mov_b32_e32 v1, s1
	s_waitcnt lgkmcnt(0)
	v_max_f32_e32 v2, v8, v8
	s_add_i32 s0, s0, -1
	s_add_i32 s1, s1, 8
	s_cmp_lg_u32 s0, 0
	ds_read_b32 v1, v1
	s_waitcnt lgkmcnt(0)
	v_max_f32_e32 v1, v1, v1
	v_max_f32_e32 v8, v2, v1
	s_cbranch_scc1 .LBB4_10
.LBB4_11:
	s_cmp_lt_i32 s16, 1
	s_cbranch_scc1 .LBB4_16
; %bb.12:
	s_mul_i32 s8, s2, 0x48
	s_ashr_i32 s9, s8, 31
	s_cmp_lt_u32 s16, 8
	s_cbranch_scc1 .LBB4_17
; %bb.13:
	s_lshl_b64 s[0:1], s[8:9], 2
	v_add_nc_u32_e32 v1, 0x120, v0
	s_add_u32 s15, s12, s0
	s_addc_u32 s17, s13, s1
	v_add_co_u32 v5, s0, s15, v7
	v_mov_b32_e32 v4, 0
	v_add_co_ci_u32_e64 v6, null, s17, 0, s0
	v_mov_b32_e32 v9, 0
	v_mov_b32_e32 v10, 0
	s_and_b32 s14, s16, 0x7ffffff8
	s_mov_b32 s18, 0
	s_mov_b32 s19, 0
.LBB4_14:                               ; =>This Inner Loop Header: Depth=1
	v_add_nc_u32_e32 v3, 0xffffff70, v1
	v_mov_b32_e32 v2, v4
	s_clause 0x1
	global_load_dword v27, v[5:6], off
	global_load_dword v28, v[5:6], off offset:288
	s_add_i32 s18, s18, 8
	v_lshlrev_b64 v[11:12], 2, v[3:4]
	v_add_nc_u32_e32 v3, 0xffffffb8, v1
	v_lshlrev_b64 v[13:14], 2, v[1:2]
	v_lshlrev_b64 v[15:16], 2, v[3:4]
	v_add_co_u32 v11, vcc_lo, s15, v11
	v_add_nc_u32_e32 v3, 0x48, v1
	v_add_co_ci_u32_e64 v12, null, s17, v12, vcc_lo
	v_add_co_u32 v13, vcc_lo, s15, v13
	v_add_co_ci_u32_e64 v14, null, s17, v14, vcc_lo
	v_add_co_u32 v15, vcc_lo, s15, v15
	v_lshlrev_b64 v[17:18], 2, v[3:4]
	v_add_nc_u32_e32 v3, 0x90, v1
	v_add_co_ci_u32_e64 v16, null, s17, v16, vcc_lo
	s_clause 0x1
	global_load_dword v29, v[11:12], off
	global_load_dword v31, v[13:14], off
	v_lshlrev_b64 v[11:12], 2, v[3:4]
	v_add_nc_u32_e32 v3, 0xd8, v1
	global_load_dword v30, v[15:16], off
	v_add_co_u32 v15, vcc_lo, s15, v17
	v_add_co_ci_u32_e64 v16, null, s17, v18, vcc_lo
	v_lshlrev_b64 v[2:3], 2, v[3:4]
	v_add_co_u32 v11, vcc_lo, s15, v11
	global_load_dword v32, v[15:16], off
	v_add_co_ci_u32_e64 v12, null, s17, v12, vcc_lo
	v_add_co_u32 v2, vcc_lo, s15, v2
	v_add_co_ci_u32_e64 v3, null, s17, v3, vcc_lo
	s_clause 0x1
	global_load_dword v33, v[11:12], off
	global_load_dword v2, v[2:3], off
	v_mov_b32_e32 v3, s19
	ds_read2_b64 v[11:14], v3 offset1:1
	ds_read2_b64 v[15:18], v3 offset0:2 offset1:3
	ds_read2_b64 v[19:22], v3 offset0:4 offset1:5
	ds_read2_b64 v[23:26], v3 offset0:6 offset1:7
	v_add_nc_u32_e32 v1, 0x240, v1
	s_add_i32 s19, s19, 64
	s_cmp_eq_u32 s14, s18
	s_waitcnt lgkmcnt(3)
	v_sub_f32_e32 v3, v11, v8
	v_sub_f32_e32 v11, v13, v8
	s_waitcnt lgkmcnt(2)
	v_sub_f32_e32 v13, v15, v8
	v_sub_f32_e32 v15, v17, v8
	;; [unrolled: 3-line block ×4, first 2 shown]
	v_mul_f32_e32 v25, 0x3fb8aa3b, v3
	v_mul_f32_e32 v34, 0x3fb8aa3b, v11
	v_mul_f32_e32 v35, 0x3fb8aa3b, v13
	v_mul_f32_e32 v36, 0x3fb8aa3b, v15
	v_mul_f32_e32 v37, 0x3fb8aa3b, v17
	v_fma_f32 v41, 0x3fb8aa3b, v3, -v25
	v_rndne_f32_e32 v42, v25
	v_fma_f32 v43, 0x3fb8aa3b, v11, -v34
	v_rndne_f32_e32 v44, v34
	v_fma_f32 v45, 0x3fb8aa3b, v13, -v35
	v_fmac_f32_e32 v41, 0x32a5705f, v3
	v_sub_f32_e32 v25, v25, v42
	v_fmac_f32_e32 v43, 0x32a5705f, v11
	v_sub_f32_e32 v34, v34, v44
	v_rndne_f32_e32 v46, v35
	v_fma_f32 v47, 0x3fb8aa3b, v15, -v36
	v_add_f32_e32 v25, v25, v41
	v_rndne_f32_e32 v48, v36
	v_add_f32_e32 v34, v34, v43
	v_fmac_f32_e32 v45, 0x32a5705f, v13
	v_sub_f32_e32 v35, v35, v46
	v_exp_f32_e32 v25, v25
	v_mul_f32_e32 v38, 0x3fb8aa3b, v19
	v_exp_f32_e32 v34, v34
	v_fma_f32 v49, 0x3fb8aa3b, v17, -v37
	v_rndne_f32_e32 v50, v37
	v_add_f32_e32 v35, v35, v45
	v_fmac_f32_e32 v47, 0x32a5705f, v15
	v_sub_f32_e32 v36, v36, v48
	v_cvt_i32_f32_e32 v42, v42
	v_cvt_i32_f32_e32 v44, v44
	v_mul_f32_e32 v39, 0x3fb8aa3b, v21
	v_fma_f32 v51, 0x3fb8aa3b, v19, -v38
	v_rndne_f32_e32 v41, v38
	v_add_f32_e32 v36, v36, v47
	v_fmac_f32_e32 v49, 0x32a5705f, v17
	v_sub_f32_e32 v37, v37, v50
	v_exp_f32_e32 v35, v35
	v_ldexp_f32 v25, v25, v42
	v_ldexp_f32 v34, v34, v44
	v_cmp_ngt_f32_e32 vcc_lo, 0xc2ce8ed0, v11
	v_cmp_ngt_f32_e64 s6, 0xc2ce8ed0, v3
	v_mul_f32_e32 v40, 0x3fb8aa3b, v23
	v_fma_f32 v43, 0x3fb8aa3b, v21, -v39
	v_rndne_f32_e32 v45, v39
	v_add_f32_e32 v37, v37, v49
	v_cvt_i32_f32_e32 v46, v46
	v_fmac_f32_e32 v51, 0x32a5705f, v19
	v_sub_f32_e32 v38, v38, v41
	v_exp_f32_e32 v36, v36
	v_cndmask_b32_e64 v25, 0, v25, s6
	v_cndmask_b32_e32 v34, 0, v34, vcc_lo
	v_cmp_nlt_f32_e32 vcc_lo, 0x42b17218, v3
	v_fma_f32 v47, 0x3fb8aa3b, v23, -v40
	v_rndne_f32_e32 v49, v40
	v_cvt_i32_f32_e32 v48, v48
	v_fmac_f32_e32 v43, 0x32a5705f, v21
	v_sub_f32_e32 v39, v39, v45
	v_add_f32_e32 v38, v38, v51
	v_exp_f32_e32 v37, v37
	v_ldexp_f32 v35, v35, v46
	v_cmp_ngt_f32_e64 s0, 0xc2ce8ed0, v13
	v_cndmask_b32_e32 v3, 0x7f800000, v25, vcc_lo
	v_cmp_nlt_f32_e32 vcc_lo, 0x42b17218, v11
	v_cvt_i32_f32_e32 v50, v50
	v_fmac_f32_e32 v47, 0x32a5705f, v23
	v_sub_f32_e32 v40, v40, v49
	v_add_f32_e32 v39, v39, v43
	v_exp_f32_e32 v38, v38
	v_ldexp_f32 v36, v36, v48
	v_cmp_ngt_f32_e64 s1, 0xc2ce8ed0, v15
	v_cndmask_b32_e64 v35, 0, v35, s0
	v_cndmask_b32_e32 v11, 0x7f800000, v34, vcc_lo
	v_fmac_f32_e32 v9, v3, v12
	v_cmp_nlt_f32_e32 vcc_lo, 0x42b17218, v13
	v_cvt_i32_f32_e32 v41, v41
	v_add_f32_e32 v40, v40, v47
	v_exp_f32_e32 v39, v39
	v_ldexp_f32 v37, v37, v50
	v_cmp_ngt_f32_e64 s2, 0xc2ce8ed0, v17
	v_cndmask_b32_e64 v36, 0, v36, s1
	v_fmac_f32_e32 v9, v11, v14
	v_cvt_i32_f32_e32 v45, v45
	v_exp_f32_e32 v40, v40
	v_ldexp_f32 v38, v38, v41
	v_cmp_ngt_f32_e64 s3, 0xc2ce8ed0, v19
	v_cndmask_b32_e64 v37, 0, v37, s2
	v_cvt_i32_f32_e32 v49, v49
	v_ldexp_f32 v39, v39, v45
	v_cmp_ngt_f32_e64 s4, 0xc2ce8ed0, v21
	v_cndmask_b32_e64 v38, 0, v38, s3
	v_cmp_ngt_f32_e64 s5, 0xc2ce8ed0, v23
	v_cmp_nlt_f32_e64 s0, 0x42b17218, v23
	v_ldexp_f32 v40, v40, v49
	v_cndmask_b32_e64 v39, 0, v39, s4
	v_cndmask_b32_e64 v40, 0, v40, s5
	s_waitcnt vmcnt(7)
	v_fmac_f32_e32 v10, v27, v3
	v_cndmask_b32_e32 v3, 0x7f800000, v35, vcc_lo
	v_cmp_nlt_f32_e32 vcc_lo, 0x42b17218, v15
	s_waitcnt vmcnt(6)
	v_fmac_f32_e32 v10, v28, v11
	v_fmac_f32_e32 v9, v3, v16
	v_cndmask_b32_e32 v11, 0x7f800000, v36, vcc_lo
	v_cmp_nlt_f32_e32 vcc_lo, 0x42b17218, v17
	v_fmac_f32_e32 v9, v11, v18
	s_waitcnt vmcnt(5)
	v_fmac_f32_e32 v10, v29, v3
	v_cndmask_b32_e32 v3, 0x7f800000, v37, vcc_lo
	v_cmp_nlt_f32_e32 vcc_lo, 0x42b17218, v19
	s_waitcnt vmcnt(3)
	v_fmac_f32_e32 v10, v30, v11
	v_fmac_f32_e32 v9, v3, v20
	v_cndmask_b32_e32 v11, 0x7f800000, v38, vcc_lo
	v_cmp_nlt_f32_e32 vcc_lo, 0x42b17218, v21
	v_fmac_f32_e32 v10, v31, v3
	v_fmac_f32_e32 v9, v11, v22
	v_cndmask_b32_e32 v3, 0x7f800000, v39, vcc_lo
	v_add_co_u32 v5, vcc_lo, 0x900, v5
	s_waitcnt vmcnt(2)
	v_fmac_f32_e32 v10, v32, v11
	v_cndmask_b32_e64 v11, 0x7f800000, v40, s0
	v_fmac_f32_e32 v9, v3, v24
	v_add_co_ci_u32_e64 v6, null, 0, v6, vcc_lo
	s_waitcnt vmcnt(1)
	v_fmac_f32_e32 v10, v33, v3
	v_fmac_f32_e32 v9, v11, v26
	s_waitcnt vmcnt(0)
	v_fmac_f32_e32 v10, v2, v11
	s_cbranch_scc0 .LBB4_14
; %bb.15:
	s_and_b32 s1, s16, 7
	s_cmp_eq_u32 s1, 0
	s_cbranch_scc0 .LBB4_18
	s_branch .LBB4_20
.LBB4_16:
	v_mov_b32_e32 v0, 0x7fc00000
	s_branch .LBB4_21
.LBB4_17:
	v_mov_b32_e32 v10, 0
	v_mov_b32_e32 v9, 0
	s_mov_b32 s14, 0
	s_and_b32 s1, s16, 7
	s_cmp_eq_u32 s1, 0
	s_cbranch_scc1 .LBB4_20
.LBB4_18:
	v_mad_u64_u32 v[0:1], null, 0x48, s14, v[0:1]
	v_mov_b32_e32 v1, 0
	s_lshl_b64 s[2:3], s[8:9], 2
	s_add_u32 s0, s12, s2
	s_addc_u32 s2, s13, s3
	v_lshlrev_b64 v[0:1], 2, v[0:1]
	v_add_co_u32 v0, vcc_lo, s0, v0
	v_add_co_ci_u32_e64 v1, null, s2, v1, vcc_lo
	s_lshl_b32 s0, s14, 3
	s_add_i32 s2, s0, 0
	s_inst_prefetch 0x1
	.p2align	6
.LBB4_19:                               ; =>This Inner Loop Header: Depth=1
	global_load_dword v4, v[0:1], off
	v_mov_b32_e32 v2, s2
	s_add_i32 s1, s1, -1
	s_add_i32 s2, s2, 8
	s_cmp_lg_u32 s1, 0
	ds_read_b64 v[2:3], v2
	s_waitcnt lgkmcnt(0)
	v_sub_f32_e32 v2, v2, v8
	v_mul_f32_e32 v5, 0x3fb8aa3b, v2
	v_cmp_ngt_f32_e32 vcc_lo, 0xc2ce8ed0, v2
	v_cmp_nlt_f32_e64 s0, 0x42b17218, v2
	v_fma_f32 v6, 0x3fb8aa3b, v2, -v5
	v_rndne_f32_e32 v11, v5
	v_fmac_f32_e32 v6, 0x32a5705f, v2
	v_sub_f32_e32 v5, v5, v11
	v_add_f32_e32 v5, v5, v6
	v_cvt_i32_f32_e32 v6, v11
	v_exp_f32_e32 v5, v5
	v_ldexp_f32 v5, v5, v6
	v_cndmask_b32_e32 v5, 0, v5, vcc_lo
	v_add_co_u32 v0, vcc_lo, 0x120, v0
	v_add_co_ci_u32_e64 v1, null, 0, v1, vcc_lo
	v_cndmask_b32_e64 v2, 0x7f800000, v5, s0
	v_fmac_f32_e32 v9, v2, v3
	s_waitcnt vmcnt(0)
	v_fmac_f32_e32 v10, v4, v2
	s_cbranch_scc1 .LBB4_19
.LBB4_20:
	s_inst_prefetch 0x2
	v_div_scale_f32 v0, null, v9, v9, v10
	v_rcp_f32_e32 v1, v0
	v_fma_f32 v2, -v0, v1, 1.0
	v_fmac_f32_e32 v1, v2, v1
	v_div_scale_f32 v2, vcc_lo, v10, v9, v10
	v_mul_f32_e32 v3, v2, v1
	v_fma_f32 v4, -v0, v3, v2
	v_fmac_f32_e32 v3, v4, v1
	v_fma_f32 v0, -v0, v3, v2
	v_div_fmas_f32 v0, v0, v1, v3
	v_div_fixup_f32 v0, v0, v9, v10
.LBB4_21:
	s_mul_i32 s0, s7, 0x48
	s_ashr_i32 s1, s0, 31
	s_lshl_b64 s[0:1], s[0:1], 2
	s_add_u32 s0, s10, s0
	s_addc_u32 s1, s11, s1
	global_store_dword v7, v0, s[0:1]
	s_endpgm
	.section	.rodata,"a",@progbits
	.p2align	6, 0x0
	.amdhsa_kernel _ZL26flash_attn_combine_resultsILi72EEvPKfPK15HIP_vector_typeIfLj2EEPfi
		.amdhsa_group_segment_fixed_size 0
		.amdhsa_private_segment_fixed_size 0
		.amdhsa_kernarg_size 288
		.amdhsa_user_sgpr_count 6
		.amdhsa_user_sgpr_private_segment_buffer 1
		.amdhsa_user_sgpr_dispatch_ptr 0
		.amdhsa_user_sgpr_queue_ptr 0
		.amdhsa_user_sgpr_kernarg_segment_ptr 1
		.amdhsa_user_sgpr_dispatch_id 0
		.amdhsa_user_sgpr_flat_scratch_init 0
		.amdhsa_user_sgpr_private_segment_size 0
		.amdhsa_wavefront_size32 1
		.amdhsa_uses_dynamic_stack 0
		.amdhsa_system_sgpr_private_segment_wavefront_offset 0
		.amdhsa_system_sgpr_workgroup_id_x 1
		.amdhsa_system_sgpr_workgroup_id_y 1
		.amdhsa_system_sgpr_workgroup_id_z 1
		.amdhsa_system_sgpr_workgroup_info 0
		.amdhsa_system_vgpr_workitem_id 0
		.amdhsa_next_free_vgpr 52
		.amdhsa_next_free_sgpr 20
		.amdhsa_reserve_vcc 1
		.amdhsa_reserve_flat_scratch 0
		.amdhsa_float_round_mode_32 0
		.amdhsa_float_round_mode_16_64 0
		.amdhsa_float_denorm_mode_32 3
		.amdhsa_float_denorm_mode_16_64 3
		.amdhsa_dx10_clamp 1
		.amdhsa_ieee_mode 1
		.amdhsa_fp16_overflow 0
		.amdhsa_workgroup_processor_mode 1
		.amdhsa_memory_ordered 1
		.amdhsa_forward_progress 1
		.amdhsa_shared_vgpr_count 0
		.amdhsa_exception_fp_ieee_invalid_op 0
		.amdhsa_exception_fp_denorm_src 0
		.amdhsa_exception_fp_ieee_div_zero 0
		.amdhsa_exception_fp_ieee_overflow 0
		.amdhsa_exception_fp_ieee_underflow 0
		.amdhsa_exception_fp_ieee_inexact 0
		.amdhsa_exception_int_div_zero 0
	.end_amdhsa_kernel
	.section	.text._ZL26flash_attn_combine_resultsILi72EEvPKfPK15HIP_vector_typeIfLj2EEPfi,"axG",@progbits,_ZL26flash_attn_combine_resultsILi72EEvPKfPK15HIP_vector_typeIfLj2EEPfi,comdat
.Lfunc_end4:
	.size	_ZL26flash_attn_combine_resultsILi72EEvPKfPK15HIP_vector_typeIfLj2EEPfi, .Lfunc_end4-_ZL26flash_attn_combine_resultsILi72EEvPKfPK15HIP_vector_typeIfLj2EEPfi
                                        ; -- End function
	.set _ZL26flash_attn_combine_resultsILi72EEvPKfPK15HIP_vector_typeIfLj2EEPfi.num_vgpr, 52
	.set _ZL26flash_attn_combine_resultsILi72EEvPKfPK15HIP_vector_typeIfLj2EEPfi.num_agpr, 0
	.set _ZL26flash_attn_combine_resultsILi72EEvPKfPK15HIP_vector_typeIfLj2EEPfi.numbered_sgpr, 20
	.set _ZL26flash_attn_combine_resultsILi72EEvPKfPK15HIP_vector_typeIfLj2EEPfi.num_named_barrier, 0
	.set _ZL26flash_attn_combine_resultsILi72EEvPKfPK15HIP_vector_typeIfLj2EEPfi.private_seg_size, 0
	.set _ZL26flash_attn_combine_resultsILi72EEvPKfPK15HIP_vector_typeIfLj2EEPfi.uses_vcc, 1
	.set _ZL26flash_attn_combine_resultsILi72EEvPKfPK15HIP_vector_typeIfLj2EEPfi.uses_flat_scratch, 0
	.set _ZL26flash_attn_combine_resultsILi72EEvPKfPK15HIP_vector_typeIfLj2EEPfi.has_dyn_sized_stack, 0
	.set _ZL26flash_attn_combine_resultsILi72EEvPKfPK15HIP_vector_typeIfLj2EEPfi.has_recursion, 0
	.set _ZL26flash_attn_combine_resultsILi72EEvPKfPK15HIP_vector_typeIfLj2EEPfi.has_indirect_call, 0
	.section	.AMDGPU.csdata,"",@progbits
; Kernel info:
; codeLenInByte = 2264
; TotalNumSgprs: 22
; NumVgprs: 52
; ScratchSize: 0
; MemoryBound: 0
; FloatMode: 240
; IeeeMode: 1
; LDSByteSize: 0 bytes/workgroup (compile time only)
; SGPRBlocks: 0
; VGPRBlocks: 6
; NumSGPRsForWavesPerEU: 22
; NumVGPRsForWavesPerEU: 52
; Occupancy: 16
; WaveLimiterHint : 1
; COMPUTE_PGM_RSRC2:SCRATCH_EN: 0
; COMPUTE_PGM_RSRC2:USER_SGPR: 6
; COMPUTE_PGM_RSRC2:TRAP_HANDLER: 0
; COMPUTE_PGM_RSRC2:TGID_X_EN: 1
; COMPUTE_PGM_RSRC2:TGID_Y_EN: 1
; COMPUTE_PGM_RSRC2:TGID_Z_EN: 1
; COMPUTE_PGM_RSRC2:TIDIG_COMP_CNT: 0
	.section	.text._ZL15flash_attn_tileILi72ELi72ELi4ELi8ELb0EEvPKcS1_S1_S1_S1_PKiPfP15HIP_vector_typeIfLj2EEffffjfiS5_IjLj3EEiiiiiiiiiiiliiliiiiil,"axG",@progbits,_ZL15flash_attn_tileILi72ELi72ELi4ELi8ELb0EEvPKcS1_S1_S1_S1_PKiPfP15HIP_vector_typeIfLj2EEffffjfiS5_IjLj3EEiiiiiiiiiiiliiliiiiil,comdat
	.globl	_ZL15flash_attn_tileILi72ELi72ELi4ELi8ELb0EEvPKcS1_S1_S1_S1_PKiPfP15HIP_vector_typeIfLj2EEffffjfiS5_IjLj3EEiiiiiiiiiiiliiliiiiil ; -- Begin function _ZL15flash_attn_tileILi72ELi72ELi4ELi8ELb0EEvPKcS1_S1_S1_S1_PKiPfP15HIP_vector_typeIfLj2EEffffjfiS5_IjLj3EEiiiiiiiiiiiliiliiiiil
	.p2align	8
	.type	_ZL15flash_attn_tileILi72ELi72ELi4ELi8ELb0EEvPKcS1_S1_S1_S1_PKiPfP15HIP_vector_typeIfLj2EEffffjfiS5_IjLj3EEiiiiiiiiiiiliiliiiiil,@function
_ZL15flash_attn_tileILi72ELi72ELi4ELi8ELb0EEvPKcS1_S1_S1_S1_PKiPfP15HIP_vector_typeIfLj2EEffffjfiS5_IjLj3EEiiiiiiiiiiiliiliiiiil: ; @_ZL15flash_attn_tileILi72ELi72ELi4ELi8ELb0EEvPKcS1_S1_S1_S1_PKiPfP15HIP_vector_typeIfLj2EEffffjfiS5_IjLj3EEiiiiiiiiiiiliiliiiiil
; %bb.0:
	s_clause 0x1
	s_load_dwordx4 s[24:27], s[4:5], 0x5c
	s_load_dwordx2 s[34:35], s[4:5], 0x80
	s_mov_b64 s[36:37], 0
	s_waitcnt lgkmcnt(0)
	s_ashr_i32 s0, s27, 31
	s_lshr_b32 s0, s0, 29
	s_add_i32 s0, s27, s0
	s_ashr_i32 s0, s0, 3
	v_cvt_f32_u32_e32 v2, s0
	s_sub_i32 s2, 0, s0
	v_rcp_iflag_f32_e32 v2, v2
	v_mul_f32_e32 v2, 0x4f7ffffe, v2
	v_cvt_u32_f32_e32 v2, v2
	v_readfirstlane_b32 s1, v2
	s_mul_i32 s2, s2, s1
	s_mul_hi_u32 s2, s1, s2
	s_add_i32 s1, s1, s2
	s_mul_hi_u32 s1, s8, s1
	s_mul_i32 s2, s1, s0
	s_add_i32 s3, s1, 1
	s_sub_i32 s2, s8, s2
	s_sub_i32 s9, s2, s0
	s_cmp_ge_u32 s2, s0
	s_cselect_b32 s1, s3, s1
	s_cselect_b32 s2, s9, s2
	s_add_i32 s3, s1, 1
	s_cmp_ge_u32 s2, s0
	s_cselect_b32 s33, s3, s1
	s_abs_i32 s0, s35
	s_abs_i32 s3, s27
	v_cvt_f32_u32_e32 v2, s0
	s_sub_i32 s2, 0, s0
	s_lshl_b32 s28, s8, 3
	s_mul_i32 s29, s33, s27
	v_rcp_iflag_f32_e32 v2, v2
	v_mul_f32_e32 v2, 0x4f7ffffe, v2
	v_cvt_u32_f32_e32 v2, v2
	v_readfirstlane_b32 s1, v2
	s_mul_i32 s2, s2, s1
	s_mul_hi_u32 s2, s1, s2
	s_add_i32 s1, s1, s2
	s_xor_b32 s2, s27, s35
	s_mul_hi_u32 s1, s3, s1
	s_ashr_i32 s2, s2, 31
	s_mul_i32 s8, s1, s0
	s_sub_i32 s3, s3, s8
	s_add_i32 s8, s1, 1
	s_sub_i32 s9, s3, s0
	s_cmp_ge_u32 s3, s0
	s_cselect_b32 s1, s8, s1
	s_cselect_b32 s3, s9, s3
	s_add_i32 s8, s1, 1
	s_cmp_ge_u32 s3, s0
	s_cselect_b32 s0, s8, s1
	s_xor_b32 s0, s0, s2
	s_sub_i32 s3, s0, s2
	s_clause 0x1
	s_load_dwordx16 s[8:23], s[4:5], 0x0
	s_load_dwordx2 s[0:1], s[4:5], 0xb8
	s_abs_i32 s2, s3
	v_cvt_f32_u32_e32 v2, s2
	v_rcp_iflag_f32_e32 v2, v2
	v_mul_f32_e32 v2, 0x4f7ffffe, v2
	s_waitcnt lgkmcnt(0)
	s_cmp_eq_u64 s[14:15], 0
	v_cvt_u32_f32_e32 v2, v2
	v_readfirstlane_b32 s35, v2
	s_cbranch_scc1 .LBB5_2
; %bb.1:
	s_abs_i32 s0, s0
	s_abs_i32 s36, s33
	v_cvt_f32_u32_e32 v2, s0
	s_sub_i32 s31, 0, s0
	v_rcp_iflag_f32_e32 v2, v2
	v_mul_f32_e32 v2, 0x4f7ffffe, v2
	v_cvt_u32_f32_e32 v2, v2
	v_readfirstlane_b32 s30, v2
	s_mul_i32 s31, s31, s30
	s_mul_hi_u32 s31, s30, s31
	s_add_i32 s30, s30, s31
	s_mul_hi_u32 s37, s36, s30
	s_load_dwordx2 s[30:31], s[4:5], 0xc8
	s_mul_i32 s37, s37, s0
	s_sub_i32 s36, s36, s37
	s_ashr_i32 s37, s33, 31
	s_sub_i32 s38, s36, s0
	s_cmp_ge_u32 s36, s0
	s_cselect_b32 s36, s38, s36
	s_sub_i32 s38, s36, s0
	s_cmp_ge_u32 s36, s0
	s_cselect_b32 s0, s38, s36
	s_xor_b32 s0, s0, s37
	s_sub_i32 s0, s0, s37
	s_ashr_i32 s36, s0, 31
	s_waitcnt lgkmcnt(0)
	s_mul_hi_u32 s37, s30, s0
	s_mul_i32 s36, s30, s36
	s_mul_i32 s31, s31, s0
	s_add_i32 s36, s37, s36
	s_mul_i32 s0, s30, s0
	s_add_i32 s30, s36, s31
	s_add_u32 s36, s14, s0
	s_addc_u32 s37, s15, s30
.LBB5_2:
	v_lshrrev_b32_e32 v2, 1, v1
	v_lshlrev_b32_e32 v3, 2, v1
	v_cmp_gt_u32_e64 s0, 18, v0
	v_lshlrev_b32_e32 v13, 2, v0
	v_lshlrev_b32_e32 v12, 3, v0
	v_lshl_add_u32 v14, s6, 2, v2
	v_and_b32_e32 v17, 4, v3
	v_mul_hi_u32 v2, s24, v14
	s_sub_i32 s24, s28, s29
	v_add_nc_u32_e32 v2, v14, v2
	v_lshrrev_b32_e32 v2, s25, v2
	v_mul_lo_u32 v2, v2, s26
	v_sub_nc_u32_e32 v2, v14, v2
	s_and_saveexec_b32 s14, s0
	s_cbranch_execz .LBB5_4
; %bb.3:
	s_load_dwordx4 s[28:31], s[4:5], 0x70
	v_or_b32_e32 v26, 1, v3
	v_or_b32_e32 v5, 3, v3
	;; [unrolled: 1-line block ×3, first 2 shown]
	v_and_b32_e32 v20, 5, v26
	v_and_b32_e32 v22, 7, v5
	;; [unrolled: 1-line block ×3, first 2 shown]
	s_waitcnt lgkmcnt(0)
	s_mul_i32 s15, s33, s30
	s_mul_i32 s25, s24, s29
	s_ashr_i32 s31, s15, 31
	s_add_u32 s8, s8, s15
	s_addc_u32 s9, s9, s31
	s_ashr_i32 s15, s25, 31
	s_add_u32 s25, s8, s25
	s_mov_b32 s30, s28
	s_mov_b32 s38, s29
	s_addc_u32 s15, s9, s15
	s_ashr_i32 s31, s28, 31
	s_ashr_i32 s39, s29, 31
	s_lshr_b64 s[8:9], s[30:31], 2
	s_lshr_b64 s[28:29], s[38:39], 2
	v_mad_u64_u32 v[4:5], null, s8, v2, 0
	v_mad_u64_u32 v[6:7], null, s28, v20, 0
	;; [unrolled: 1-line block ×3, first 2 shown]
	s_lshr_b32 s9, s31, 2
	v_mad_u64_u32 v[8:9], null, s28, v21, 0
	s_lshr_b32 s29, s39, 2
	v_mad_u64_u32 v[18:19], null, s9, v2, v[5:6]
	v_mov_b32_e32 v5, v11
	v_mul_lo_u32 v23, s29, v17
	v_mad_u64_u32 v[15:16], null, s28, v17, 0
	v_mad_u64_u32 v[19:20], null, s29, v20, v[7:8]
	;; [unrolled: 1-line block ×4, first 2 shown]
	v_mov_b32_e32 v5, v18
	v_or_b32_e32 v16, v16, v23
	v_lshlrev_b32_e32 v18, 2, v13
	v_mov_b32_e32 v7, v19
	v_mov_b32_e32 v9, v20
	v_lshlrev_b64 v[4:5], 2, v[4:5]
	v_lshlrev_b64 v[15:16], 2, v[15:16]
	v_mov_b32_e32 v11, v21
	v_lshlrev_b64 v[6:7], 2, v[6:7]
	v_lshlrev_b64 v[8:9], 2, v[8:9]
	s_load_dword s8, s[4:5], 0x40
	v_add_co_u32 v4, vcc_lo, s25, v4
	v_add_co_ci_u32_e64 v5, null, s15, v5, vcc_lo
	v_add_co_u32 v20, vcc_lo, v4, v18
	v_add_co_ci_u32_e64 v21, null, 0, v5, vcc_lo
	v_lshlrev_b64 v[18:19], 2, v[10:11]
	v_add_co_u32 v4, vcc_lo, v20, v15
	v_add_co_ci_u32_e64 v5, null, v21, v16, vcc_lo
	v_add_co_u32 v10, vcc_lo, v20, v6
	v_add_co_ci_u32_e64 v11, null, v21, v7, vcc_lo
	;; [unrolled: 2-line block ×4, first 2 shown]
	s_clause 0x3
	global_load_dwordx4 v[4:7], v[4:5], off
	global_load_dwordx4 v[8:11], v[10:11], off
	;; [unrolled: 1-line block ×4, first 2 shown]
	v_add_nc_u32_e32 v15, 0x14e0, v12
	v_mad_u32_u24 v16, 0x240, v1, v15
	v_mad_u32_u24 v15, 0x90, v26, v15
	s_waitcnt vmcnt(3) lgkmcnt(0)
	v_fma_mixlo_f16 v4, s8, v4, 0
	v_fma_mixlo_f16 v5, s8, v5, 0
	;; [unrolled: 1-line block ×4, first 2 shown]
	s_waitcnt vmcnt(2)
	v_fma_mixlo_f16 v8, s8, v8, 0
	v_fma_mixlo_f16 v9, s8, v9, 0
	s_waitcnt vmcnt(1)
	v_fma_mixlo_f16 v18, s8, v18, 0
	v_fma_mixlo_f16 v19, s8, v19, 0
	;; [unrolled: 1-line block ×4, first 2 shown]
	s_waitcnt vmcnt(0)
	v_fma_mixlo_f16 v22, s8, v22, 0
	v_fma_mixlo_f16 v23, s8, v23, 0
	v_lshlrev_b32_e32 v5, 16, v5
	v_and_b32_e32 v4, 0xffff, v4
	v_fma_mixlo_f16 v20, s8, v20, 0
	v_fma_mixlo_f16 v21, s8, v21, 0
	v_lshlrev_b32_e32 v7, 16, v7
	v_and_b32_e32 v6, 0xffff, v6
	v_lshlrev_b32_e32 v9, 16, v9
	v_and_b32_e32 v8, 0xffff, v8
	;; [unrolled: 2-line block ×3, first 2 shown]
	v_fma_mixlo_f16 v24, s8, v24, 0
	v_fma_mixlo_f16 v25, s8, v25, 0
	v_lshlrev_b32_e32 v11, 16, v11
	v_and_b32_e32 v10, 0xffff, v10
	v_lshlrev_b32_e32 v23, 16, v23
	v_and_b32_e32 v22, 0xffff, v22
	v_or_b32_e32 v4, v5, v4
	v_lshlrev_b32_e32 v21, 16, v21
	v_and_b32_e32 v20, 0xffff, v20
	v_or3_b32 v5, v7, v6, 0
	v_or_b32_e32 v6, v9, v8
	v_or_b32_e32 v8, v19, v18
	v_lshlrev_b32_e32 v25, 16, v25
	v_and_b32_e32 v24, 0xffff, v24
	v_or3_b32 v7, v11, v10, 0
	v_or_b32_e32 v10, v23, v22
	v_or3_b32 v4, 0, 0, v4
	v_or3_b32 v9, v21, v20, 0
	;; [unrolled: 1-line block ×6, first 2 shown]
	ds_write_b64 v16, v[4:5]
	ds_write2_b64 v15, v[6:7], v[8:9] offset1:18
	ds_write_b64 v15, v[10:11] offset:288
.LBB5_4:
	s_or_b32 exec_lo, exec_lo, s14
	s_cmp_eq_u64 s[18:19], 0
	s_waitcnt lgkmcnt(0)
	s_barrier
	buffer_gl0_inv
	s_cbranch_scc1 .LBB5_6
; %bb.5:
	s_load_dword s8, s[4:5], 0xd0
	s_mov_b32 s9, 0
	s_waitcnt lgkmcnt(0)
	s_mul_i32 s8, s8, s33
	s_add_i32 s8, s8, s6
	s_lshl_b64 s[8:9], s[8:9], 2
	s_add_u32 s8, s18, s8
	s_addc_u32 s9, s19, s9
	s_load_dword s34, s[8:9], 0x0
.LBB5_6:
	v_mbcnt_lo_u32_b32 v20, -1, 0
	s_lshl_b32 s18, s7, 5
	s_waitcnt lgkmcnt(0)
	s_cmp_lt_i32 s18, s34
	s_cbranch_scc1 .LBB5_9
; %bb.7:
	v_mbcnt_lo_u32_b32 v5, -1, 0
	v_mov_b32_e32 v21, 32
	v_xor_b32_e32 v28, 16, v5
	v_xor_b32_e32 v27, 8, v5
	;; [unrolled: 1-line block ×5, first 2 shown]
	s_cbranch_execz .LBB5_10
; %bb.8:
	v_mov_b32_e32 v38, 0
	v_mov_b32_e32 v47, 0
	;; [unrolled: 1-line block ×16, first 2 shown]
	s_branch .LBB5_18
.LBB5_9:
                                        ; implicit-def: $vgpr5
                                        ; implicit-def: $vgpr21
                                        ; implicit-def: $vgpr28
                                        ; implicit-def: $vgpr27
                                        ; implicit-def: $vgpr26
                                        ; implicit-def: $vgpr25
                                        ; implicit-def: $vgpr22
.LBB5_10:
	s_clause 0x1
	s_load_dwordx4 s[28:31], s[4:5], 0x98
	s_load_dwordx2 s[8:9], s[4:5], 0x8c
	s_sub_i32 s6, 0, s2
	s_abs_i32 s38, s24
	s_mul_i32 s6, s6, s35
	s_ashr_i32 s39, s24, 31
	s_mul_hi_u32 s6, s35, s6
	s_ashr_i32 s3, s3, 31
	s_add_i32 s35, s35, s6
	s_load_dwordx2 s[14:15], s[4:5], 0xa8
	s_mul_hi_u32 s6, s38, s35
	s_ashr_i32 s35, s33, 31
	s_ashr_i32 s1, s1, 1
	s_mul_i32 s40, s6, s2
	v_lshrrev_b32_e32 v4, 3, v0
	v_lshl_add_u32 v16, v1, 5, v0
	v_and_b32_e32 v19, 28, v13
	v_mad_u64_u32 v[5:6], null, v2, s1, v[0:1]
	v_add_nc_u32_e32 v9, v4, v3
	s_waitcnt lgkmcnt(0)
	s_ashr_i32 s19, s30, 2
	s_ashr_i32 s25, s8, 2
	s_mul_hi_u32 s8, s28, s33
	s_mul_i32 s30, s28, s35
	s_mul_i32 s29, s29, s33
	s_add_i32 s8, s8, s30
	s_mul_i32 s28, s28, s33
	s_add_i32 s8, s8, s29
	s_add_u32 s10, s10, s28
	s_addc_u32 s8, s11, s8
	s_sub_i32 s11, s38, s40
	s_xor_b32 s3, s39, s3
	s_add_i32 s28, s6, 1
	s_sub_i32 s29, s11, s2
	s_cmp_ge_u32 s11, s2
	v_mul_lo_u32 v3, s25, v9
	s_cselect_b32 s6, s28, s6
	s_cselect_b32 s11, s29, s11
	s_add_i32 s28, s6, 1
	s_cmp_ge_u32 s11, s2
	s_mul_i32 s11, s15, s33
	s_cselect_b32 s2, s28, s6
	s_mul_hi_u32 s6, s14, s33
	s_xor_b32 s2, s2, s3
	v_mul_lo_u32 v7, s25, v16
	s_sub_i32 s2, s2, s3
	s_mul_i32 s3, s14, s35
	s_mul_i32 s9, s2, s9
	v_mul_lo_u32 v10, s19, v16
	s_ashr_i32 s15, s9, 31
	s_add_u32 s28, s10, s9
	v_mul_lo_u32 v15, s19, v9
	s_addc_u32 s29, s8, s15
	s_add_i32 s3, s6, s3
	s_mul_i32 s6, s14, s33
	s_add_i32 s3, s3, s11
	s_mul_i32 s2, s2, s31
	s_add_u32 s6, s12, s6
	s_addc_u32 s3, s13, s3
	s_ashr_i32 s8, s2, 31
	s_add_u32 s13, s6, s2
	s_movk_i32 s2, 0x80
	s_movk_i32 s1, 0x90
	v_lshlrev_b32_e32 v21, 2, v19
	v_cmp_gt_u32_e32 vcc_lo, 32, v16
	v_ashrrev_i32_e32 v4, 31, v3
	v_ashrrev_i32_e32 v8, 31, v7
	v_mad_u32_u24 v33, 0xa0, v16, s2
	v_ashrrev_i32_e32 v11, 31, v10
	v_mad_u32_u24 v36, v16, s1, 0x80
	v_ashrrev_i32_e32 v16, 31, v15
	v_lshl_add_u32 v35, v1, 8, 0x26e0
	s_movk_i32 s2, 0x240
	v_mad_u32_u24 v31, 0xa0, v9, v21
	v_mad_u32_u24 v37, 0x90, v9, v21
	v_lshlrev_b64 v[6:7], 2, v[7:8]
	v_lshlrev_b64 v[8:9], 2, v[3:4]
	;; [unrolled: 1-line block ×4, first 2 shown]
	v_mov_b32_e32 v18, 0
	v_mul_u32_u24_e32 v32, 0xa0, v0
	v_mad_u32_u24 v34, v1, s2, 0x14e0
	v_mov_b32_e32 v51, 0xfeffffff
	v_lshlrev_b32_e32 v39, 2, v19
	v_mov_b32_e32 v21, 32
	v_xor_b32_e32 v28, 16, v20
	v_xor_b32_e32 v27, 8, v20
	;; [unrolled: 1-line block ×5, first 2 shown]
	v_add_nc_u32_e32 v40, v35, v12
	v_mov_b32_e32 v41, 0x10001
	v_mov_b32_e32 v19, 0
	;; [unrolled: 1-line block ×15, first 2 shown]
	s_addc_u32 s30, s3, s8
	s_add_u32 s14, s4, 0xd0
	s_addc_u32 s15, s5, 0
.LBB5_11:                               ; =>This Inner Loop Header: Depth=1
	s_mul_hi_i32 s3, s18, s25
	s_mul_i32 s2, s18, s25
	s_lshl_b64 s[2:3], s[2:3], 2
	s_add_u32 s2, s28, s2
	s_addc_u32 s3, s29, s3
	s_and_saveexec_b32 s6, vcc_lo
	s_cbranch_execz .LBB5_13
; %bb.12:                               ;   in Loop: Header=BB5_11 Depth=1
	v_add_co_u32 v1, s1, s2, v6
	v_add_co_ci_u32_e64 v2, null, s3, v7, s1
	global_load_dwordx4 v[1:4], v[1:2], off offset:128
	s_waitcnt vmcnt(0)
	ds_write_b128 v33, v[1:4]
.LBB5_13:                               ;   in Loop: Header=BB5_11 Depth=1
	s_or_b32 exec_lo, exec_lo, s6
	v_add_co_u32 v1, s1, s2, v8
	v_add_co_ci_u32_e64 v2, null, s3, v9, s1
	v_max_f32_e32 v54, v55, v55
	v_add_co_u32 v1, s1, v1, v39
	v_add_co_ci_u32_e64 v2, null, 0, v2, s1
	s_mul_hi_i32 s39, s18, s19
	s_mul_i32 s38, s18, s19
	s_lshl_b64 s[38:39], s[38:39], 2
	global_load_dwordx4 v[1:4], v[1:2], off
	s_add_u32 s31, s13, s38
	s_addc_u32 s35, s30, s39
	s_waitcnt vmcnt(0)
	ds_write_b128 v31, v[1:4]
	s_waitcnt lgkmcnt(0)
	s_barrier
	buffer_gl0_inv
	ds_read_b128 v[47:50], v32
	ds_read_b128 v[56:59], v34
	ds_read_b128 v[60:63], v34 offset:144
	ds_read_b128 v[64:67], v34 offset:288
	;; [unrolled: 1-line block ×3, first 2 shown]
	v_mov_b32_e32 v2, 0
	v_mov_b32_e32 v1, 0
	;; [unrolled: 1-line block ×4, first 2 shown]
	s_waitcnt lgkmcnt(3)
	;;#ASMSTART
	v_dot2_f32_f16 v2, v47, v56, v2
	;;#ASMEND
	;;#ASMSTART
	v_dot2_f32_f16 v2, v48, v57, v2
	;;#ASMEND
	;;#ASMSTART
	v_dot2_f32_f16 v2, v49, v58, v2
	;;#ASMEND
	;;#ASMSTART
	v_dot2_f32_f16 v2, v50, v59, v2
	;;#ASMEND
	s_waitcnt lgkmcnt(2)
	;;#ASMSTART
	v_dot2_f32_f16 v1, v47, v60, v1
	;;#ASMEND
	;;#ASMSTART
	v_dot2_f32_f16 v1, v48, v61, v1
	;;#ASMEND
	;;#ASMSTART
	v_dot2_f32_f16 v1, v49, v62, v1
	;;#ASMEND
	;;#ASMSTART
	v_dot2_f32_f16 v1, v50, v63, v1
	;;#ASMEND
	s_waitcnt lgkmcnt(1)
	;;#ASMSTART
	v_dot2_f32_f16 v3, v47, v64, v3
	;;#ASMEND
	;;#ASMSTART
	v_dot2_f32_f16 v3, v48, v65, v3
	;;#ASMEND
	;;#ASMSTART
	v_dot2_f32_f16 v3, v49, v66, v3
	;;#ASMEND
	;;#ASMSTART
	v_dot2_f32_f16 v3, v50, v67, v3
	;;#ASMEND
	s_waitcnt lgkmcnt(0)
	;;#ASMSTART
	v_dot2_f32_f16 v4, v47, v68, v4
	;;#ASMEND
	;;#ASMSTART
	v_dot2_f32_f16 v4, v48, v69, v4
	;;#ASMEND
	;;#ASMSTART
	v_dot2_f32_f16 v4, v49, v70, v4
	;;#ASMEND
	;;#ASMSTART
	v_dot2_f32_f16 v4, v50, v71, v4
	;;#ASMEND
	ds_read_b128 v[47:50], v32 offset:16
	ds_read_b128 v[56:59], v34 offset:16
	ds_read_b128 v[60:63], v34 offset:160
	ds_read_b128 v[64:67], v34 offset:304
	ds_read_b128 v[68:71], v34 offset:448
	s_waitcnt lgkmcnt(3)
	;;#ASMSTART
	v_dot2_f32_f16 v2, v47, v56, v2
	;;#ASMEND
	;;#ASMSTART
	v_dot2_f32_f16 v2, v48, v57, v2
	;;#ASMEND
	;;#ASMSTART
	v_dot2_f32_f16 v2, v49, v58, v2
	;;#ASMEND
	;;#ASMSTART
	v_dot2_f32_f16 v2, v50, v59, v2
	;;#ASMEND
	s_waitcnt lgkmcnt(2)
	;;#ASMSTART
	v_dot2_f32_f16 v1, v47, v60, v1
	;;#ASMEND
	;;#ASMSTART
	v_dot2_f32_f16 v1, v48, v61, v1
	;;#ASMEND
	;;#ASMSTART
	v_dot2_f32_f16 v1, v49, v62, v1
	;;#ASMEND
	;;#ASMSTART
	v_dot2_f32_f16 v1, v50, v63, v1
	;;#ASMEND
	s_waitcnt lgkmcnt(1)
	;;#ASMSTART
	v_dot2_f32_f16 v3, v47, v64, v3
	;;#ASMEND
	;;#ASMSTART
	v_dot2_f32_f16 v3, v48, v65, v3
	;;#ASMEND
	;;#ASMSTART
	v_dot2_f32_f16 v3, v49, v66, v3
	;;#ASMEND
	;;#ASMSTART
	v_dot2_f32_f16 v3, v50, v67, v3
	;;#ASMEND
	s_waitcnt lgkmcnt(0)
	;;#ASMSTART
	v_dot2_f32_f16 v4, v47, v68, v4
	;;#ASMEND
	;;#ASMSTART
	v_dot2_f32_f16 v4, v48, v69, v4
	;;#ASMEND
	;;#ASMSTART
	v_dot2_f32_f16 v4, v49, v70, v4
	;;#ASMEND
	;;#ASMSTART
	v_dot2_f32_f16 v4, v50, v71, v4
	;;#ASMEND
	ds_read_b128 v[47:50], v32 offset:32
	ds_read_b128 v[56:59], v34 offset:32
	ds_read_b128 v[60:63], v34 offset:176
	ds_read_b128 v[64:67], v34 offset:320
	ds_read_b128 v[68:71], v34 offset:464
	;; [unrolled: 57-line block ×7, first 2 shown]
	s_waitcnt lgkmcnt(3)
	;;#ASMSTART
	v_dot2_f32_f16 v2, v47, v56, v2
	;;#ASMEND
	;;#ASMSTART
	v_dot2_f32_f16 v2, v48, v57, v2
	;;#ASMEND
	;;#ASMSTART
	v_dot2_f32_f16 v2, v49, v58, v2
	;;#ASMEND
	;;#ASMSTART
	v_dot2_f32_f16 v2, v50, v59, v2
	;;#ASMEND
	s_waitcnt lgkmcnt(2)
	;;#ASMSTART
	v_dot2_f32_f16 v1, v47, v60, v1
	;;#ASMEND
	;;#ASMSTART
	v_dot2_f32_f16 v1, v48, v61, v1
	;;#ASMEND
	;;#ASMSTART
	v_dot2_f32_f16 v1, v49, v62, v1
	;;#ASMEND
	;;#ASMSTART
	v_dot2_f32_f16 v1, v50, v63, v1
	;;#ASMEND
	;; [unrolled: 13-line block ×4, first 2 shown]
	ds_read_b128 v[47:50], v32 offset:128
	ds_read_b128 v[56:59], v34 offset:128
	v_add_nc_u32_e32 v68, s18, v5
	ds_read_b128 v[60:63], v34 offset:272
	ds_read_b128 v[64:67], v34 offset:416
	v_ashrrev_i32_e32 v69, 31, v68
	v_lshlrev_b64 v[72:73], 1, v[68:69]
	ds_read_b128 v[68:71], v34 offset:560
	s_waitcnt lgkmcnt(3)
	;;#ASMSTART
	v_dot2_f32_f16 v2, v47, v56, v2
	;;#ASMEND
	;;#ASMSTART
	v_dot2_f32_f16 v2, v48, v57, v2
	;;#ASMEND
	;; [unrolled: 3-line block ×4, first 2 shown]
	s_waitcnt lgkmcnt(2)
	;;#ASMSTART
	v_dot2_f32_f16 v1, v47, v60, v1
	;;#ASMEND
	;;#ASMSTART
	v_dot2_f32_f16 v1, v48, v61, v1
	;;#ASMEND
	v_add_co_u32 v72, s1, s36, v72
	;;#ASMSTART
	v_dot2_f32_f16 v1, v49, v62, v1
	;;#ASMEND
	;;#ASMSTART
	v_dot2_f32_f16 v1, v50, v63, v1
	;;#ASMEND
	s_waitcnt lgkmcnt(1)
	;;#ASMSTART
	v_dot2_f32_f16 v3, v47, v64, v3
	;;#ASMEND
	v_add_co_ci_u32_e64 v73, null, s37, v73, s1
	;;#ASMSTART
	v_dot2_f32_f16 v3, v48, v65, v3
	;;#ASMEND
	;;#ASMSTART
	v_dot2_f32_f16 v3, v49, v66, v3
	;;#ASMEND
	;; [unrolled: 3-line block ×3, first 2 shown]
	s_waitcnt lgkmcnt(0)
	;;#ASMSTART
	v_dot2_f32_f16 v4, v47, v68, v4
	;;#ASMEND
	;;#ASMSTART
	v_dot2_f32_f16 v4, v48, v69, v4
	;;#ASMEND
	;; [unrolled: 3-line block ×4, first 2 shown]
	global_load_ushort v47, v[72:73], off
	v_cmp_gt_i32_e64 s1, 32, v28
	v_max_f32_e32 v49, v51, v51
	v_max_f32_e32 v50, v52, v52
	s_waitcnt vmcnt(0)
	s_barrier
	v_cndmask_b32_e64 v48, v20, v28, s1
	v_cmp_gt_i32_e64 s1, 32, v27
	buffer_gl0_inv
	v_cvt_f32_f16_e32 v47, v47
	v_add_f32_e32 v56, v2, v47
	v_add_f32_e32 v57, v1, v47
	;; [unrolled: 1-line block ×4, first 2 shown]
	v_max_f32_e32 v2, v53, v53
	v_add_f32_e32 v1, 0x40051340, v56
	v_lshlrev_b32_e32 v3, 2, v48
	v_add_f32_e32 v4, 0x40051340, v57
	v_add_f32_e32 v48, 0x40051340, v58
	;; [unrolled: 1-line block ×3, first 2 shown]
	v_max_f32_e32 v1, v49, v1
	v_max_f32_e32 v4, v50, v4
	;; [unrolled: 1-line block ×4, first 2 shown]
	ds_bpermute_b32 v49, v3, v1
	v_cndmask_b32_e64 v59, v20, v27, s1
	ds_bpermute_b32 v50, v3, v4
	ds_bpermute_b32 v54, v3, v48
	;; [unrolled: 1-line block ×3, first 2 shown]
	v_cmp_gt_i32_e64 s1, 32, v26
	v_lshlrev_b32_e32 v59, 2, v59
	s_waitcnt lgkmcnt(3)
	v_max_f32_e32 v49, v49, v49
	s_waitcnt lgkmcnt(2)
	v_max_f32_e32 v50, v50, v50
	s_waitcnt lgkmcnt(1)
	v_max_f32_e32 v54, v54, v54
	s_waitcnt lgkmcnt(0)
	v_max_f32_e32 v3, v3, v3
	v_max_f32_e32 v1, v1, v49
	v_max_f32_e32 v4, v4, v50
	v_max_f32_e32 v48, v48, v54
	v_max_f32_e32 v2, v2, v3
	ds_bpermute_b32 v3, v59, v1
	ds_bpermute_b32 v49, v59, v4
	ds_bpermute_b32 v50, v59, v48
	ds_bpermute_b32 v54, v59, v2
	v_cndmask_b32_e64 v59, v20, v26, s1
	v_cmp_gt_i32_e64 s1, 32, v25
	v_lshlrev_b32_e32 v59, 2, v59
	s_waitcnt lgkmcnt(3)
	v_max_f32_e32 v3, v3, v3
	s_waitcnt lgkmcnt(2)
	v_max_f32_e32 v49, v49, v49
	s_waitcnt lgkmcnt(1)
	v_max_f32_e32 v50, v50, v50
	s_waitcnt lgkmcnt(0)
	v_max_f32_e32 v54, v54, v54
	v_max_f32_e32 v1, v1, v3
	v_max_f32_e32 v3, v4, v49
	v_max_f32_e32 v4, v48, v50
	v_max_f32_e32 v2, v2, v54
	ds_bpermute_b32 v48, v59, v1
	ds_bpermute_b32 v49, v59, v3
	ds_bpermute_b32 v50, v59, v4
	ds_bpermute_b32 v54, v59, v2
	v_cndmask_b32_e64 v59, v20, v25, s1
	;; [unrolled: 19-line block ×3, first 2 shown]
	v_lshlrev_b32_e32 v59, 2, v59
	s_waitcnt lgkmcnt(3)
	v_max_f32_e32 v48, v48, v48
	s_waitcnt lgkmcnt(2)
	v_max_f32_e32 v49, v49, v49
	;; [unrolled: 2-line block ×4, first 2 shown]
	v_max_f32_e32 v1, v1, v48
	v_max_f32_e32 v3, v3, v49
	;; [unrolled: 1-line block ×4, first 2 shown]
	ds_bpermute_b32 v2, v59, v1
	ds_bpermute_b32 v49, v59, v3
	;; [unrolled: 1-line block ×4, first 2 shown]
	s_waitcnt lgkmcnt(3)
	v_max_f32_e32 v2, v2, v2
	s_waitcnt lgkmcnt(2)
	v_max_f32_e32 v49, v49, v49
	;; [unrolled: 2-line block ×4, first 2 shown]
	v_max_f32_e32 v1, v1, v2
	v_max_f32_e32 v2, v3, v49
	;; [unrolled: 1-line block ×4, first 2 shown]
	v_sub_f32_e32 v48, v56, v1
	v_sub_f32_e32 v54, v51, v1
	v_sub_f32_e32 v50, v57, v2
	v_sub_f32_e32 v51, v55, v3
	v_sub_f32_e32 v55, v58, v3
	v_mul_f32_e32 v49, 0x3fb8aa3b, v48
	v_sub_f32_e32 v47, v47, v4
	v_mul_f32_e32 v56, 0x3fb8aa3b, v50
	v_cmp_ngt_f32_e64 s8, 0xc2ce8ed0, v48
	v_mul_f32_e32 v57, 0x3fb8aa3b, v55
	v_fma_f32 v59, 0x3fb8aa3b, v48, -v49
	v_rndne_f32_e32 v60, v49
	v_fma_f32 v61, 0x3fb8aa3b, v50, -v56
	v_rndne_f32_e32 v62, v56
	v_mul_f32_e32 v58, 0x3fb8aa3b, v47
	v_fmac_f32_e32 v59, 0x32a5705f, v48
	v_sub_f32_e32 v49, v49, v60
	v_fma_f32 v63, 0x3fb8aa3b, v55, -v57
	v_rndne_f32_e32 v64, v57
	v_fmac_f32_e32 v61, 0x32a5705f, v50
	v_sub_f32_e32 v56, v56, v62
	v_add_f32_e32 v49, v49, v59
	v_fma_f32 v65, 0x3fb8aa3b, v47, -v58
	v_rndne_f32_e32 v66, v58
	v_fmac_f32_e32 v63, 0x32a5705f, v55
	v_sub_f32_e32 v57, v57, v64
	v_add_f32_e32 v56, v56, v61
	v_exp_f32_e32 v49, v49
	v_fmac_f32_e32 v65, 0x32a5705f, v47
	v_sub_f32_e32 v58, v58, v66
	v_add_f32_e32 v57, v57, v63
	v_exp_f32_e32 v56, v56
	v_cvt_i32_f32_e32 v59, v60
	v_cvt_i32_f32_e32 v60, v62
	v_add_f32_e32 v58, v58, v65
	v_exp_f32_e32 v57, v57
	v_cvt_i32_f32_e32 v61, v64
	v_ldexp_f32 v49, v49, v59
	v_cvt_i32_f32_e32 v62, v66
	v_exp_f32_e32 v58, v58
	v_sub_f32_e32 v52, v52, v2
	v_ldexp_f32 v56, v56, v60
	v_cndmask_b32_e64 v49, 0, v49, s8
	v_cmp_ngt_f32_e64 s8, 0xc2ce8ed0, v50
	v_sub_f32_e32 v53, v53, v4
	v_ldexp_f32 v57, v57, v61
	v_cmp_ngt_f32_e64 s3, 0xc2ce8ed0, v54
	v_cmp_nlt_f32_e64 s6, 0x42b17218, v54
	v_cndmask_b32_e64 v56, 0, v56, s8
	v_cmp_ngt_f32_e64 s8, 0xc2ce8ed0, v55
	v_ldexp_f32 v58, v58, v62
	v_cmp_ngt_f32_e64 s1, 0xc2ce8ed0, v52
	v_cmp_nlt_f32_e64 s2, 0x42b17218, v52
	v_cmp_nlt_f32_e64 s9, 0x42b17218, v51
	v_cndmask_b32_e64 v57, 0, v57, s8
	v_cmp_ngt_f32_e64 s8, 0xc2ce8ed0, v47
	v_cmp_ngt_f32_e64 s10, 0xc2ce8ed0, v53
	v_cmp_nlt_f32_e64 s11, 0x42b17218, v53
	v_cndmask_b32_e64 v58, 0, v58, s8
	v_cmp_nlt_f32_e64 s8, 0x42b17218, v48
	v_cndmask_b32_e64 v49, 0x7f800000, v49, s8
	v_cmp_nlt_f32_e64 s8, 0x42b17218, v55
	v_cvt_f16_f32_e32 v55, v49
	v_cndmask_b32_e64 v48, 0x7f800000, v57, s8
	v_cmp_nlt_f32_e64 s8, 0x42b17218, v47
	v_cndmask_b32_e64 v47, 0x7f800000, v58, s8
	v_cmp_nlt_f32_e64 s8, 0x42b17218, v50
	v_cvt_f16_f32_e32 v57, v47
	v_cndmask_b32_e64 v50, 0x7f800000, v56, s8
	v_cvt_f16_f32_e32 v56, v48
	v_cmp_ngt_f32_e64 s8, 0xc2ce8ed0, v51
	v_cvt_f16_f32_e32 v58, v50
	v_pack_b32_f16 v56, v56, v57
	v_pack_b32_f16 v55, v55, v58
	ds_write_b64 v40, v[55:56]
	s_and_saveexec_b32 s38, vcc_lo
	s_cbranch_execz .LBB5_15
; %bb.14:                               ;   in Loop: Header=BB5_11 Depth=1
	v_add_co_u32 v55, s12, s31, v10
	v_add_co_ci_u32_e64 v56, null, s35, v11, s12
	global_load_dwordx4 v[55:58], v[55:56], off offset:128
	s_waitcnt vmcnt(0)
	ds_write_b128 v36, v[55:58]
.LBB5_15:                               ;   in Loop: Header=BB5_11 Depth=1
	s_or_b32 exec_lo, exec_lo, s38
	v_add_co_u32 v55, s12, s31, v15
	v_add_co_ci_u32_e64 v56, null, s35, v16, s12
	v_add_co_u32 v55, s12, v55, v39
	v_add_co_ci_u32_e64 v56, null, 0, v56, s12
	global_load_dwordx4 v[55:58], v[55:56], off
	s_waitcnt vmcnt(0)
	ds_write_b128 v37, v[55:58]
	s_waitcnt lgkmcnt(0)
	s_barrier
	buffer_gl0_inv
	ds_read_b128 v[55:58], v35
	ds_read_b128 v[59:62], v35 offset:16
	ds_read_b128 v[63:66], v35 offset:32
	ds_read_b128 v[67:70], v35 offset:48
	ds_read_b128 v[71:74], v35 offset:64
	ds_read_b128 v[75:78], v35 offset:80
	ds_read_b128 v[79:82], v35 offset:96
	ds_read_b128 v[90:93], v35 offset:112
	ds_read_b128 v[94:97], v35 offset:128
	ds_read_b128 v[122:125], v35 offset:144
	ds_read_b128 v[126:129], v35 offset:160
	ds_read_b128 v[130:133], v35 offset:176
	s_waitcnt lgkmcnt(11)
	v_mul_u32_u24_sdwa v140, v58, v41 dst_sel:DWORD dst_unused:UNUSED_PAD src0_sel:WORD_0 src1_sel:DWORD
	s_waitcnt lgkmcnt(10)
	v_mul_u32_u24_sdwa v148, v62, v41 dst_sel:DWORD dst_unused:UNUSED_PAD src0_sel:WORD_0 src1_sel:DWORD
	;; [unrolled: 2-line block ×3, first 2 shown]
	v_mul_u32_u24_sdwa v157, v66, v41 dst_sel:DWORD dst_unused:UNUSED_PAD src0_sel:WORD_1 src1_sel:DWORD
	s_waitcnt lgkmcnt(8)
	v_mul_u32_u24_sdwa v158, v67, v41 dst_sel:DWORD dst_unused:UNUSED_PAD src0_sel:WORD_0 src1_sel:DWORD
	v_mul_u32_u24_sdwa v159, v67, v41 dst_sel:DWORD dst_unused:UNUSED_PAD src0_sel:WORD_1 src1_sel:DWORD
	v_mul_u32_u24_sdwa v160, v68, v41 dst_sel:DWORD dst_unused:UNUSED_PAD src0_sel:WORD_0 src1_sel:DWORD
	v_mul_u32_u24_sdwa v161, v68, v41 dst_sel:DWORD dst_unused:UNUSED_PAD src0_sel:WORD_1 src1_sel:DWORD
	s_waitcnt lgkmcnt(7)
	v_mul_u32_u24_sdwa v113, v73, v41 dst_sel:DWORD dst_unused:UNUSED_PAD src0_sel:WORD_0 src1_sel:DWORD
	s_waitcnt lgkmcnt(2)
	v_mul_u32_u24_sdwa v66, v122, v41 dst_sel:DWORD dst_unused:UNUSED_PAD src0_sel:WORD_0 src1_sel:DWORD
	v_mul_u32_u24_sdwa v67, v122, v41 dst_sel:DWORD dst_unused:UNUSED_PAD src0_sel:WORD_1 src1_sel:DWORD
	v_mul_f32_e32 v122, 0x3fb8aa3b, v54
	v_mul_u32_u24_sdwa v110, v73, v41 dst_sel:DWORD dst_unused:UNUSED_PAD src0_sel:WORD_1 src1_sel:DWORD
	v_mul_u32_u24_sdwa v68, v123, v41 dst_sel:DWORD dst_unused:UNUSED_PAD src0_sel:WORD_0 src1_sel:DWORD
	v_mul_u32_u24_sdwa v73, v123, v41 dst_sel:DWORD dst_unused:UNUSED_PAD src0_sel:WORD_1 src1_sel:DWORD
	v_mul_u32_u24_sdwa v149, v62, v41 dst_sel:DWORD dst_unused:UNUSED_PAD src0_sel:WORD_1 src1_sel:DWORD
	v_fma_f32 v123, 0x3fb8aa3b, v54, -v122
	v_mul_u32_u24_sdwa v150, v63, v41 dst_sel:DWORD dst_unused:UNUSED_PAD src0_sel:WORD_0 src1_sel:DWORD
	v_mul_u32_u24_sdwa v151, v63, v41 dst_sel:DWORD dst_unused:UNUSED_PAD src0_sel:WORD_1 src1_sel:DWORD
	v_mul_u32_u24_sdwa v62, v124, v41 dst_sel:DWORD dst_unused:UNUSED_PAD src0_sel:WORD_0 src1_sel:DWORD
	v_mul_u32_u24_sdwa v63, v124, v41 dst_sel:DWORD dst_unused:UNUSED_PAD src0_sel:WORD_1 src1_sel:DWORD
	v_fmac_f32_e32 v123, 0x32a5705f, v54
	v_mul_f32_e32 v54, 0x3fb8aa3b, v52
	v_mul_u32_u24_sdwa v152, v64, v41 dst_sel:DWORD dst_unused:UNUSED_PAD src0_sel:WORD_0 src1_sel:DWORD
	v_mul_u32_u24_sdwa v153, v64, v41 dst_sel:DWORD dst_unused:UNUSED_PAD src0_sel:WORD_1 src1_sel:DWORD
	v_mul_u32_u24_sdwa v121, v69, v41 dst_sel:DWORD dst_unused:UNUSED_PAD src0_sel:WORD_0 src1_sel:DWORD
	v_mul_u32_u24_sdwa v119, v69, v41 dst_sel:DWORD dst_unused:UNUSED_PAD src0_sel:WORD_1 src1_sel:DWORD
	v_fma_f32 v124, 0x3fb8aa3b, v52, -v54
	v_mul_u32_u24_sdwa v64, v125, v41 dst_sel:DWORD dst_unused:UNUSED_PAD src0_sel:WORD_0 src1_sel:DWORD
	v_mul_u32_u24_sdwa v69, v125, v41 dst_sel:DWORD dst_unused:UNUSED_PAD src0_sel:WORD_1 src1_sel:DWORD
	v_mul_u32_u24_sdwa v141, v58, v41 dst_sel:DWORD dst_unused:UNUSED_PAD src0_sel:WORD_1 src1_sel:DWORD
	v_mul_u32_u24_sdwa v142, v59, v41 dst_sel:DWORD dst_unused:UNUSED_PAD src0_sel:WORD_0 src1_sel:DWORD
	v_fmac_f32_e32 v124, 0x32a5705f, v52
	v_mul_f32_e32 v52, 0x3fb8aa3b, v51
	v_mul_u32_u24_sdwa v143, v59, v41 dst_sel:DWORD dst_unused:UNUSED_PAD src0_sel:WORD_1 src1_sel:DWORD
	s_waitcnt lgkmcnt(1)
	v_mul_u32_u24_sdwa v58, v126, v41 dst_sel:DWORD dst_unused:UNUSED_PAD src0_sel:WORD_0 src1_sel:DWORD
	v_mul_u32_u24_sdwa v59, v126, v41 dst_sel:DWORD dst_unused:UNUSED_PAD src0_sel:WORD_1 src1_sel:DWORD
	v_mul_u32_u24_sdwa v134, v55, v41 dst_sel:DWORD dst_unused:UNUSED_PAD src0_sel:WORD_0 src1_sel:DWORD
	v_fma_f32 v125, 0x3fb8aa3b, v51, -v52
	v_mul_u32_u24_sdwa v144, v60, v41 dst_sel:DWORD dst_unused:UNUSED_PAD src0_sel:WORD_0 src1_sel:DWORD
	v_mul_u32_u24_sdwa v145, v60, v41 dst_sel:DWORD dst_unused:UNUSED_PAD src0_sel:WORD_1 src1_sel:DWORD
	v_mul_u32_u24_sdwa v154, v65, v41 dst_sel:DWORD dst_unused:UNUSED_PAD src0_sel:WORD_0 src1_sel:DWORD
	v_mul_u32_u24_sdwa v155, v65, v41 dst_sel:DWORD dst_unused:UNUSED_PAD src0_sel:WORD_1 src1_sel:DWORD
	v_fmac_f32_e32 v125, 0x32a5705f, v51
	v_mul_f32_e32 v51, 0x3fb8aa3b, v53
	v_mul_u32_u24_sdwa v60, v127, v41 dst_sel:DWORD dst_unused:UNUSED_PAD src0_sel:WORD_0 src1_sel:DWORD
	v_mul_u32_u24_sdwa v65, v127, v41 dst_sel:DWORD dst_unused:UNUSED_PAD src0_sel:WORD_1 src1_sel:DWORD
	v_mul_u32_u24_sdwa v135, v55, v41 dst_sel:DWORD dst_unused:UNUSED_PAD src0_sel:WORD_1 src1_sel:DWORD
	v_mul_u32_u24_sdwa v136, v56, v41 dst_sel:DWORD dst_unused:UNUSED_PAD src0_sel:WORD_0 src1_sel:DWORD
	v_fma_f32 v126, 0x3fb8aa3b, v53, -v51
	v_mul_u32_u24_sdwa v137, v56, v41 dst_sel:DWORD dst_unused:UNUSED_PAD src0_sel:WORD_1 src1_sel:DWORD
	v_mul_u32_u24_sdwa v55, v128, v41 dst_sel:DWORD dst_unused:UNUSED_PAD src0_sel:WORD_0 src1_sel:DWORD
	v_mul_u32_u24_sdwa v56, v128, v41 dst_sel:DWORD dst_unused:UNUSED_PAD src0_sel:WORD_1 src1_sel:DWORD
	v_mul_u32_u24_sdwa v138, v57, v41 dst_sel:DWORD dst_unused:UNUSED_PAD src0_sel:WORD_0 src1_sel:DWORD
	v_fmac_f32_e32 v126, 0x32a5705f, v53
	v_rndne_f32_e32 v53, v122
	v_mul_u32_u24_sdwa v139, v57, v41 dst_sel:DWORD dst_unused:UNUSED_PAD src0_sel:WORD_1 src1_sel:DWORD
	v_mul_u32_u24_sdwa v146, v61, v41 dst_sel:DWORD dst_unused:UNUSED_PAD src0_sel:WORD_0 src1_sel:DWORD
	v_mul_u32_u24_sdwa v147, v61, v41 dst_sel:DWORD dst_unused:UNUSED_PAD src0_sel:WORD_1 src1_sel:DWORD
	v_mul_u32_u24_sdwa v57, v129, v41 dst_sel:DWORD dst_unused:UNUSED_PAD src0_sel:WORD_0 src1_sel:DWORD
	v_sub_f32_e32 v122, v122, v53
	v_cvt_i32_f32_e32 v53, v53
	v_mul_u32_u24_sdwa v61, v129, v41 dst_sel:DWORD dst_unused:UNUSED_PAD src0_sel:WORD_1 src1_sel:DWORD
	v_mul_u32_u24_sdwa v118, v70, v41 dst_sel:DWORD dst_unused:UNUSED_PAD src0_sel:WORD_0 src1_sel:DWORD
	v_mul_u32_u24_sdwa v162, v70, v41 dst_sel:DWORD dst_unused:UNUSED_PAD src0_sel:WORD_1 src1_sel:DWORD
	v_add_f32_e32 v122, v122, v123
	v_rndne_f32_e32 v123, v54
	v_mul_u32_u24_sdwa v115, v71, v41 dst_sel:DWORD dst_unused:UNUSED_PAD src0_sel:WORD_0 src1_sel:DWORD
	v_mul_u32_u24_sdwa v116, v71, v41 dst_sel:DWORD dst_unused:UNUSED_PAD src0_sel:WORD_1 src1_sel:DWORD
	v_mul_u32_u24_sdwa v114, v72, v41 dst_sel:DWORD dst_unused:UNUSED_PAD src0_sel:WORD_0 src1_sel:DWORD
	v_exp_f32_e32 v122, v122
	v_sub_f32_e32 v54, v54, v123
	v_mul_u32_u24_sdwa v120, v72, v41 dst_sel:DWORD dst_unused:UNUSED_PAD src0_sel:WORD_1 src1_sel:DWORD
	v_mul_u32_u24_sdwa v111, v74, v41 dst_sel:DWORD dst_unused:UNUSED_PAD src0_sel:WORD_0 src1_sel:DWORD
	v_mul_u32_u24_sdwa v117, v74, v41 dst_sel:DWORD dst_unused:UNUSED_PAD src0_sel:WORD_1 src1_sel:DWORD
	v_mul_u32_u24_sdwa v109, v75, v41 dst_sel:DWORD dst_unused:UNUSED_PAD src0_sel:WORD_0 src1_sel:DWORD
	v_add_f32_e32 v54, v54, v124
	v_rndne_f32_e32 v124, v52
	v_mul_u32_u24_sdwa v106, v75, v41 dst_sel:DWORD dst_unused:UNUSED_PAD src0_sel:WORD_1 src1_sel:DWORD
	v_mul_u32_u24_sdwa v107, v76, v41 dst_sel:DWORD dst_unused:UNUSED_PAD src0_sel:WORD_0 src1_sel:DWORD
	v_ldexp_f32 v53, v122, v53
	v_exp_f32_e32 v54, v54
	v_sub_f32_e32 v52, v52, v124
	v_cvt_i32_f32_e32 v122, v123
	v_mul_u32_u24_sdwa v112, v76, v41 dst_sel:DWORD dst_unused:UNUSED_PAD src0_sel:WORD_1 src1_sel:DWORD
	v_mul_u32_u24_sdwa v105, v77, v41 dst_sel:DWORD dst_unused:UNUSED_PAD src0_sel:WORD_0 src1_sel:DWORD
	v_mul_u32_u24_sdwa v103, v77, v41 dst_sel:DWORD dst_unused:UNUSED_PAD src0_sel:WORD_1 src1_sel:DWORD
	v_add_f32_e32 v52, v52, v125
	v_rndne_f32_e32 v125, v51
	v_mul_u32_u24_sdwa v104, v78, v41 dst_sel:DWORD dst_unused:UNUSED_PAD src0_sel:WORD_0 src1_sel:DWORD
	v_mul_u32_u24_sdwa v108, v78, v41 dst_sel:DWORD dst_unused:UNUSED_PAD src0_sel:WORD_1 src1_sel:DWORD
	v_ldexp_f32 v122, v54, v122
	v_exp_f32_e32 v52, v52
	v_sub_f32_e32 v51, v51, v125
	v_cvt_i32_f32_e32 v54, v124
	v_mul_u32_u24_sdwa v101, v79, v41 dst_sel:DWORD dst_unused:UNUSED_PAD src0_sel:WORD_0 src1_sel:DWORD
	v_cndmask_b32_e64 v122, 0, v122, s1
	v_mul_u32_u24_sdwa v98, v79, v41 dst_sel:DWORD dst_unused:UNUSED_PAD src0_sel:WORD_1 src1_sel:DWORD
	v_add_f32_e32 v51, v51, v126
	v_mul_u32_u24_sdwa v99, v80, v41 dst_sel:DWORD dst_unused:UNUSED_PAD src0_sel:WORD_0 src1_sel:DWORD
	v_mul_u32_u24_sdwa v102, v80, v41 dst_sel:DWORD dst_unused:UNUSED_PAD src0_sel:WORD_1 src1_sel:DWORD
	v_cndmask_b32_e64 v128, 0x7f800000, v122, s2
	v_ldexp_f32 v123, v52, v54
	v_exp_f32_e32 v51, v51
	v_cndmask_b32_e64 v52, 0, v53, s3
	v_cvt_i32_f32_e32 v53, v125
	v_cvt_f16_f32_e32 v122, v128
	v_mul_u32_u24_sdwa v89, v81, v41 dst_sel:DWORD dst_unused:UNUSED_PAD src0_sel:WORD_0 src1_sel:DWORD
	v_mul_u32_u24_sdwa v88, v81, v41 dst_sel:DWORD dst_unused:UNUSED_PAD src0_sel:WORD_1 src1_sel:DWORD
	v_cndmask_b32_e64 v126, 0x7f800000, v52, s6
	v_mul_u32_u24_sdwa v87, v82, v41 dst_sel:DWORD dst_unused:UNUSED_PAD src0_sel:WORD_0 src1_sel:DWORD
	v_mul_u32_u24_sdwa v122, v122, v41 dst_sel:DWORD dst_unused:UNUSED_PAD src0_sel:WORD_0 src1_sel:DWORD
	v_mul_u32_u24_sdwa v100, v82, v41 dst_sel:DWORD dst_unused:UNUSED_PAD src0_sel:WORD_1 src1_sel:DWORD
	v_ldexp_f32 v124, v51, v53
	v_cvt_f16_f32_e32 v51, v126
	v_mul_u32_u24_sdwa v84, v90, v41 dst_sel:DWORD dst_unused:UNUSED_PAD src0_sel:WORD_0 src1_sel:DWORD
	v_pk_mul_f16 v30, v30, v122
	v_mul_u32_u24_sdwa v85, v90, v41 dst_sel:DWORD dst_unused:UNUSED_PAD src0_sel:WORD_1 src1_sel:DWORD
	v_cndmask_b32_e64 v124, 0, v124, s10
	v_mul_u32_u24_sdwa v125, v51, v41 dst_sel:DWORD dst_unused:UNUSED_PAD src0_sel:WORD_0 src1_sel:DWORD
	ds_read2_b64 v[51:54], v12 offset1:18
	v_mul_u32_u24_sdwa v82, v91, v41 dst_sel:DWORD dst_unused:UNUSED_PAD src0_sel:WORD_0 src1_sel:DWORD
	v_mul_u32_u24_sdwa v86, v91, v41 dst_sel:DWORD dst_unused:UNUSED_PAD src0_sel:WORD_1 src1_sel:DWORD
	v_mul_u32_u24_sdwa v78, v92, v41 dst_sel:DWORD dst_unused:UNUSED_PAD src0_sel:WORD_0 src1_sel:DWORD
	v_pk_mul_f16 v42, v42, v125
	v_mul_u32_u24_sdwa v79, v92, v41 dst_sel:DWORD dst_unused:UNUSED_PAD src0_sel:WORD_1 src1_sel:DWORD
	v_mul_u32_u24_sdwa v80, v93, v41 dst_sel:DWORD dst_unused:UNUSED_PAD src0_sel:WORD_0 src1_sel:DWORD
	v_mul_u32_u24_sdwa v83, v93, v41 dst_sel:DWORD dst_unused:UNUSED_PAD src0_sel:WORD_1 src1_sel:DWORD
	v_mul_u32_u24_sdwa v74, v94, v41 dst_sel:DWORD dst_unused:UNUSED_PAD src0_sel:WORD_0 src1_sel:DWORD
	;; [unrolled: 2-line block ×5, first 2 shown]
	v_mul_u32_u24_sdwa v77, v97, v41 dst_sel:DWORD dst_unused:UNUSED_PAD src0_sel:WORD_1 src1_sel:DWORD
	s_waitcnt lgkmcnt(1)
	v_mul_u32_u24_sdwa v90, v130, v41 dst_sel:DWORD dst_unused:UNUSED_PAD src0_sel:WORD_0 src1_sel:DWORD
	v_mul_u32_u24_sdwa v91, v130, v41 dst_sel:DWORD dst_unused:UNUSED_PAD src0_sel:WORD_1 src1_sel:DWORD
	v_mul_u32_u24_sdwa v95, v131, v41 dst_sel:DWORD dst_unused:UNUSED_PAD src0_sel:WORD_0 src1_sel:DWORD
	v_mul_u32_u24_sdwa v97, v131, v41 dst_sel:DWORD dst_unused:UNUSED_PAD src0_sel:WORD_1 src1_sel:DWORD
	s_waitcnt lgkmcnt(0)
	v_pk_mul_f16 v127, v51, v134
	v_pk_fma_f16 v42, v52, v134, v42
	v_pk_fma_f16 v30, v52, v135, v30
	v_mul_u32_u24_sdwa v92, v132, v41 dst_sel:DWORD dst_unused:UNUSED_PAD src0_sel:WORD_0 src1_sel:DWORD
	v_mul_u32_u24_sdwa v93, v132, v41 dst_sel:DWORD dst_unused:UNUSED_PAD src0_sel:WORD_1 src1_sel:DWORD
	v_pk_fma_f16 v38, v38, v125, v127
	v_cndmask_b32_e64 v127, 0x7f800000, v124, s11
	v_mul_u32_u24_sdwa v94, v133, v41 dst_sel:DWORD dst_unused:UNUSED_PAD src0_sel:WORD_0 src1_sel:DWORD
	v_mul_u32_u24_sdwa v96, v133, v41 dst_sel:DWORD dst_unused:UNUSED_PAD src0_sel:WORD_1 src1_sel:DWORD
	v_pk_fma_f16 v42, v54, v138, v42
	v_pk_fma_f16 v30, v54, v139, v30
	v_cvt_f16_f32_e32 v124, v127
	v_pk_fma_f16 v38, v53, v138, v38
	v_fmac_f32_e32 v49, v43, v126
	v_fmac_f32_e32 v50, v44, v128
	;; [unrolled: 1-line block ×3, first 2 shown]
	v_mul_u32_u24_sdwa v124, v124, v41 dst_sel:DWORD dst_unused:UNUSED_PAD src0_sel:WORD_0 src1_sel:DWORD
	v_add_nc_u32_e32 v126, 0x400, v12
	v_add_nc_u32_e32 v127, 0x800, v12
	v_pk_mul_f16 v19, v19, v124
	v_pk_mul_f16 v18, v18, v124
	;; [unrolled: 1-line block ×3, first 2 shown]
	v_pk_fma_f16 v19, v51, v137, v19
	v_pk_fma_f16 v18, v52, v137, v18
	v_pk_fma_f16 v29, v29, v122, v124
	v_cndmask_b32_e64 v122, 0, v123, s8
	v_pk_mul_f16 v123, v51, v136
	v_pk_fma_f16 v19, v53, v141, v19
	v_pk_fma_f16 v18, v54, v141, v18
	;; [unrolled: 1-line block ×3, first 2 shown]
	v_cndmask_b32_e64 v129, 0x7f800000, v122, s9
	v_cvt_f16_f32_e32 v122, v129
	v_fmac_f32_e32 v48, v45, v129
	v_mul_u32_u24_sdwa v122, v122, v41 dst_sel:DWORD dst_unused:UNUSED_PAD src0_sel:WORD_0 src1_sel:DWORD
	v_pk_fma_f16 v23, v23, v122, v123
	v_pk_mul_f16 v24, v24, v122
	ds_read_b128 v[122:125], v35 offset:192
	v_pk_fma_f16 v23, v53, v140, v23
	v_pk_fma_f16 v24, v52, v136, v24
	;; [unrolled: 1-line block ×3, first 2 shown]
	ds_read_b128 v[51:54], v35 offset:208
	s_waitcnt lgkmcnt(1)
	v_mul_u32_u24_sdwa v130, v122, v41 dst_sel:DWORD dst_unused:UNUSED_PAD src0_sel:WORD_0 src1_sel:DWORD
	v_mul_u32_u24_sdwa v131, v122, v41 dst_sel:DWORD dst_unused:UNUSED_PAD src0_sel:WORD_1 src1_sel:DWORD
	v_mul_u32_u24_sdwa v132, v123, v41 dst_sel:DWORD dst_unused:UNUSED_PAD src0_sel:WORD_0 src1_sel:DWORD
	v_mul_u32_u24_sdwa v133, v123, v41 dst_sel:DWORD dst_unused:UNUSED_PAD src0_sel:WORD_1 src1_sel:DWORD
	;; [unrolled: 2-line block ×4, first 2 shown]
	ds_read2_b64 v[122:125], v12 offset0:36 offset1:54
	s_waitcnt lgkmcnt(1)
	v_mul_u32_u24_sdwa v139, v51, v41 dst_sel:DWORD dst_unused:UNUSED_PAD src0_sel:WORD_0 src1_sel:DWORD
	v_mul_u32_u24_sdwa v140, v51, v41 dst_sel:DWORD dst_unused:UNUSED_PAD src0_sel:WORD_1 src1_sel:DWORD
	v_mul_u32_u24_sdwa v141, v52, v41 dst_sel:DWORD dst_unused:UNUSED_PAD src0_sel:WORD_0 src1_sel:DWORD
	s_waitcnt lgkmcnt(0)
	v_pk_fma_f16 v19, v122, v145, v19
	v_pk_fma_f16 v18, v123, v145, v18
	;; [unrolled: 1-line block ×16, first 2 shown]
	v_mul_u32_u24_sdwa v142, v52, v41 dst_sel:DWORD dst_unused:UNUSED_PAD src0_sel:WORD_1 src1_sel:DWORD
	v_mul_u32_u24_sdwa v143, v53, v41 dst_sel:DWORD dst_unused:UNUSED_PAD src0_sel:WORD_0 src1_sel:DWORD
	v_mul_u32_u24_sdwa v144, v53, v41 dst_sel:DWORD dst_unused:UNUSED_PAD src0_sel:WORD_1 src1_sel:DWORD
	v_mul_u32_u24_sdwa v145, v54, v41 dst_sel:DWORD dst_unused:UNUSED_PAD src0_sel:WORD_0 src1_sel:DWORD
	v_mul_u32_u24_sdwa v146, v54, v41 dst_sel:DWORD dst_unused:UNUSED_PAD src0_sel:WORD_1 src1_sel:DWORD
	ds_read_b128 v[51:54], v35 offset:224
	ds_read_b128 v[122:125], v35 offset:240
	ds_read2_b64 v[42:45], v12 offset0:72 offset1:90
	s_waitcnt lgkmcnt(2)
	v_mul_u32_u24_sdwa v147, v51, v41 dst_sel:DWORD dst_unused:UNUSED_PAD src0_sel:WORD_0 src1_sel:DWORD
	v_mul_u32_u24_sdwa v148, v51, v41 dst_sel:DWORD dst_unused:UNUSED_PAD src0_sel:WORD_1 src1_sel:DWORD
	s_waitcnt lgkmcnt(0)
	v_pk_fma_f16 v19, v42, v153, v19
	v_pk_fma_f16 v18, v43, v153, v18
	;; [unrolled: 1-line block ×16, first 2 shown]
	ds_read2_b64 v[42:45], v12 offset0:108 offset1:126
	v_mul_u32_u24_sdwa v149, v52, v41 dst_sel:DWORD dst_unused:UNUSED_PAD src0_sel:WORD_0 src1_sel:DWORD
	v_mul_u32_u24_sdwa v163, v52, v41 dst_sel:DWORD dst_unused:UNUSED_PAD src0_sel:WORD_1 src1_sel:DWORD
	v_mul_u32_u24_sdwa v164, v53, v41 dst_sel:DWORD dst_unused:UNUSED_PAD src0_sel:WORD_0 src1_sel:DWORD
	v_mul_u32_u24_sdwa v165, v53, v41 dst_sel:DWORD dst_unused:UNUSED_PAD src0_sel:WORD_1 src1_sel:DWORD
	;; [unrolled: 2-line block ×3, first 2 shown]
	ds_read2_b64 v[51:54], v12 offset0:144 offset1:162
	v_add_nc_u32_e32 v138, 0xc00, v12
	v_add_nc_u32_e32 v150, 0x1000, v12
	s_waitcnt lgkmcnt(1)
	v_pk_fma_f16 v19, v42, v161, v19
	v_pk_fma_f16 v18, v43, v161, v18
	;; [unrolled: 1-line block ×16, first 2 shown]
	ds_read2_b64 v[42:45], v12 offset0:180 offset1:198
	s_waitcnt lgkmcnt(1)
	v_pk_fma_f16 v19, v51, v120, v19
	v_pk_fma_f16 v18, v52, v120, v18
	;; [unrolled: 1-line block ×6, first 2 shown]
	ds_read2_b64 v[118:121], v12 offset0:216 offset1:234
	v_pk_fma_f16 v24, v52, v114, v24
	v_pk_fma_f16 v23, v51, v114, v23
	;; [unrolled: 1-line block ×10, first 2 shown]
	ds_read2_b64 v[113:116], v126 offset0:124 offset1:142
	ds_read2_b64 v[51:54], v127 offset0:32 offset1:50
	s_waitcnt lgkmcnt(3)
	v_pk_fma_f16 v19, v42, v112, v19
	v_pk_fma_f16 v18, v43, v112, v18
	;; [unrolled: 1-line block ×16, first 2 shown]
	s_waitcnt lgkmcnt(2)
	v_pk_fma_f16 v19, v118, v102, v19
	v_pk_fma_f16 v18, v119, v102, v18
	v_pk_fma_f16 v46, v119, v101, v46
	v_pk_fma_f16 v38, v118, v101, v38
	v_pk_fma_f16 v30, v119, v98, v30
	v_pk_fma_f16 v24, v119, v99, v24
	v_pk_fma_f16 v29, v118, v98, v29
	v_pk_fma_f16 v23, v118, v99, v23
	v_pk_fma_f16 v19, v120, v100, v19
	v_pk_fma_f16 v18, v121, v100, v18
	v_pk_fma_f16 v46, v121, v89, v46
	v_pk_fma_f16 v38, v120, v89, v38
	v_pk_fma_f16 v30, v121, v88, v30
	v_pk_fma_f16 v29, v120, v88, v29
	v_pk_fma_f16 v24, v121, v87, v24
	v_pk_fma_f16 v23, v120, v87, v23
	ds_read2_b64 v[109:112], v127 offset0:68 offset1:86
	s_waitcnt lgkmcnt(2)
	v_pk_fma_f16 v19, v113, v86, v19
	v_pk_fma_f16 v18, v114, v86, v18
	v_pk_fma_f16 v46, v114, v84, v46
	v_pk_fma_f16 v30, v114, v85, v30
	v_pk_fma_f16 v38, v113, v84, v38
	v_pk_fma_f16 v29, v113, v85, v29
	v_pk_fma_f16 v24, v114, v82, v24
	v_pk_fma_f16 v23, v113, v82, v23
	v_pk_fma_f16 v19, v115, v83, v19
	v_pk_fma_f16 v18, v116, v83, v18
	v_pk_fma_f16 v46, v116, v78, v46
	v_pk_fma_f16 v30, v116, v79, v30
	v_pk_fma_f16 v24, v116, v80, v24
	v_pk_fma_f16 v38, v115, v78, v38
	v_pk_fma_f16 v29, v115, v79, v29
	v_pk_fma_f16 v23, v115, v80, v23
	ds_read2_b64 v[105:108], v127 offset0:104 offset1:122
	;; [unrolled: 18-line block ×7, first 2 shown]
	s_waitcnt lgkmcnt(2)
	v_pk_fma_f16 v19, v126, v142, v19
	v_pk_fma_f16 v42, v127, v139, v42
	v_pk_fma_f16 v30, v127, v140, v30
	v_pk_fma_f16 v24, v127, v141, v24
	v_pk_fma_f16 v18, v127, v142, v18
	v_pk_fma_f16 v38, v126, v139, v38
	v_pk_fma_f16 v29, v126, v140, v29
	v_pk_fma_f16 v23, v126, v141, v23
	s_waitcnt lgkmcnt(0)
	s_barrier
	buffer_gl0_inv
	s_load_dword s1, s[14:15], 0x4
	v_pk_fma_f16 v19, v128, v146, v19
	v_pk_fma_f16 v42, v129, v143, v42
	v_pk_fma_f16 v30, v129, v144, v30
	v_pk_fma_f16 v24, v129, v145, v24
	v_pk_fma_f16 v18, v129, v146, v18
	v_pk_fma_f16 v38, v128, v143, v38
	v_pk_fma_f16 v29, v128, v144, v29
	v_pk_fma_f16 v23, v128, v145, v23
	v_pk_fma_f16 v19, v117, v163, v19
	v_pk_fma_f16 v42, v118, v147, v42
	v_pk_fma_f16 v30, v118, v148, v30
	v_pk_fma_f16 v24, v118, v149, v24
	v_pk_fma_f16 v18, v118, v163, v18
	v_pk_fma_f16 v38, v117, v147, v38
	v_pk_fma_f16 v29, v117, v148, v29
	v_pk_fma_f16 v23, v117, v149, v23
	v_mul_u32_u24_sdwa v89, v122, v41 dst_sel:DWORD dst_unused:UNUSED_PAD src0_sel:WORD_0 src1_sel:DWORD
	v_mul_u32_u24_sdwa v88, v122, v41 dst_sel:DWORD dst_unused:UNUSED_PAD src0_sel:WORD_1 src1_sel:DWORD
	v_mul_u32_u24_sdwa v98, v123, v41 dst_sel:DWORD dst_unused:UNUSED_PAD src0_sel:WORD_0 src1_sel:DWORD
	v_mul_u32_u24_sdwa v99, v123, v41 dst_sel:DWORD dst_unused:UNUSED_PAD src0_sel:WORD_1 src1_sel:DWORD
	v_pk_fma_f16 v19, v119, v167, v19
	v_pk_fma_f16 v42, v120, v164, v42
	;; [unrolled: 1-line block ×8, first 2 shown]
	v_mul_u32_u24_sdwa v100, v124, v41 dst_sel:DWORD dst_unused:UNUSED_PAD src0_sel:WORD_0 src1_sel:DWORD
	v_mul_u32_u24_sdwa v121, v124, v41 dst_sel:DWORD dst_unused:UNUSED_PAD src0_sel:WORD_1 src1_sel:DWORD
	v_mul_u32_u24_sdwa v122, v125, v41 dst_sel:DWORD dst_unused:UNUSED_PAD src0_sel:WORD_0 src1_sel:DWORD
	v_mul_u32_u24_sdwa v123, v125, v41 dst_sel:DWORD dst_unused:UNUSED_PAD src0_sel:WORD_1 src1_sel:DWORD
	v_pk_fma_f16 v19, v84, v99, v19
	v_pk_fma_f16 v42, v85, v89, v42
	;; [unrolled: 1-line block ×8, first 2 shown]
	s_waitcnt lgkmcnt(0)
	s_lshl_b32 s1, s1, 5
	v_pk_fma_f16 v19, v86, v123, v19
	v_pk_fma_f16 v42, v87, v100, v42
	;; [unrolled: 1-line block ×8, first 2 shown]
	s_add_i32 s18, s1, s18
	s_cmp_ge_i32 s18, s34
	s_cbranch_scc1 .LBB5_17
; %bb.16:                               ;   in Loop: Header=BB5_11 Depth=1
	v_mov_b32_e32 v51, v1
	v_mov_b32_e32 v52, v2
	v_mov_b32_e32 v55, v3
	v_mov_b32_e32 v53, v4
	v_mov_b32_e32 v43, v49
	v_mov_b32_e32 v44, v50
	v_mov_b32_e32 v45, v48
	v_mov_b32_e32 v46, v47
	s_branch .LBB5_11
.LBB5_17:
	v_mov_b32_e32 v5, v20
.LBB5_18:
	v_cmp_lt_i32_e32 vcc_lo, v28, v21
	s_cmp_lg_u64 s[16:17], 0
	s_cselect_b32 s1, -1, 0
	s_cmp_eq_u32 s7, 0
	v_cndmask_b32_e32 v6, v5, v28, vcc_lo
	v_cmp_lt_i32_e32 vcc_lo, v27, v21
	s_cselect_b32 s2, -1, 0
	s_and_b32 s1, s2, s1
	v_lshlrev_b32_e32 v6, 2, v6
	v_cndmask_b32_e32 v10, v5, v27, vcc_lo
	v_cmp_lt_i32_e32 vcc_lo, v26, v21
	ds_bpermute_b32 v7, v6, v49
	ds_bpermute_b32 v8, v6, v50
	;; [unrolled: 1-line block ×4, first 2 shown]
	v_lshlrev_b32_e32 v10, 2, v10
	v_cndmask_b32_e32 v16, v5, v26, vcc_lo
	v_cmp_lt_i32_e32 vcc_lo, v25, v21
	v_lshlrev_b32_e32 v16, 2, v16
	s_waitcnt lgkmcnt(3)
	v_add_f32_e32 v7, v49, v7
	s_waitcnt lgkmcnt(2)
	v_add_f32_e32 v8, v50, v8
	s_waitcnt lgkmcnt(1)
	v_add_f32_e32 v9, v48, v9
	s_waitcnt lgkmcnt(0)
	v_add_f32_e32 v6, v47, v6
	ds_bpermute_b32 v11, v10, v7
	ds_bpermute_b32 v12, v10, v8
	ds_bpermute_b32 v15, v10, v9
	ds_bpermute_b32 v10, v10, v6
	s_waitcnt lgkmcnt(3)
	v_add_f32_e32 v7, v7, v11
	s_waitcnt lgkmcnt(2)
	v_add_f32_e32 v8, v8, v12
	;; [unrolled: 2-line block ×4, first 2 shown]
	ds_bpermute_b32 v10, v16, v7
	ds_bpermute_b32 v11, v16, v8
	;; [unrolled: 1-line block ×4, first 2 shown]
	v_cndmask_b32_e32 v16, v5, v25, vcc_lo
	v_cmp_lt_i32_e32 vcc_lo, v22, v21
	v_lshlrev_b32_e32 v16, 2, v16
	v_cndmask_b32_e32 v5, v5, v22, vcc_lo
	s_and_b32 vcc_lo, exec_lo, s1
	v_lshlrev_b32_e32 v5, 2, v5
	s_waitcnt lgkmcnt(3)
	v_add_f32_e32 v7, v7, v10
	s_waitcnt lgkmcnt(2)
	v_add_f32_e32 v8, v8, v11
	;; [unrolled: 2-line block ×4, first 2 shown]
	ds_bpermute_b32 v10, v16, v7
	ds_bpermute_b32 v11, v16, v8
	;; [unrolled: 1-line block ×4, first 2 shown]
	s_waitcnt lgkmcnt(3)
	v_add_f32_e32 v7, v7, v10
	s_waitcnt lgkmcnt(2)
	v_add_f32_e32 v8, v8, v11
	;; [unrolled: 2-line block ×4, first 2 shown]
	ds_bpermute_b32 v6, v5, v7
	ds_bpermute_b32 v11, v5, v8
	;; [unrolled: 1-line block ×4, first 2 shown]
	s_waitcnt lgkmcnt(3)
	v_add_f32_e32 v5, v7, v6
	s_waitcnt lgkmcnt(2)
	v_add_f32_e32 v6, v8, v11
	;; [unrolled: 2-line block ×4, first 2 shown]
	s_cbranch_vccz .LBB5_21
; %bb.19:
	v_add_nc_u32_e32 v9, s24, v17
	v_max_f32_e32 v15, v1, v1
	v_max_f32_e32 v16, v2, v2
	;; [unrolled: 1-line block ×4, first 2 shown]
	v_ashrrev_i32_e32 v10, 31, v9
	v_lshlrev_b64 v[9:10], 2, v[9:10]
	v_add_co_u32 v9, vcc_lo, s16, v9
	v_add_co_ci_u32_e64 v10, null, s17, v10, vcc_lo
	global_load_dwordx4 v[9:12], v[9:10], off
	s_waitcnt vmcnt(0)
	v_max_f32_e32 v21, v9, v9
	v_max_f32_e32 v26, v10, v10
	;; [unrolled: 1-line block ×8, first 2 shown]
	v_mov_b32_e32 v15, 0x10001
	v_sub_f32_e32 v16, v1, v25
	v_sub_f32_e32 v20, v2, v26
	;; [unrolled: 1-line block ×4, first 2 shown]
	v_mov_b32_e32 v1, v25
	v_sub_f32_e32 v9, v9, v25
	v_mov_b32_e32 v2, v26
	v_mov_b32_e32 v3, v27
	;; [unrolled: 1-line block ×3, first 2 shown]
	v_mul_f32_e32 v25, 0x3fb8aa3b, v16
	v_sub_f32_e32 v10, v10, v26
	v_mul_f32_e32 v26, 0x3fb8aa3b, v9
	v_sub_f32_e32 v11, v11, v27
	v_mul_f32_e32 v27, 0x3fb8aa3b, v20
	v_fma_f32 v35, 0x3fb8aa3b, v16, -v25
	v_rndne_f32_e32 v36, v25
	v_fma_f32 v37, 0x3fb8aa3b, v9, -v26
	v_rndne_f32_e32 v39, v26
	v_sub_f32_e32 v12, v12, v28
	v_fmac_f32_e32 v35, 0x32a5705f, v16
	v_sub_f32_e32 v25, v25, v36
	v_mul_f32_e32 v28, 0x3fb8aa3b, v10
	v_fma_f32 v40, 0x3fb8aa3b, v20, -v27
	v_rndne_f32_e32 v41, v27
	v_fmac_f32_e32 v37, 0x32a5705f, v9
	v_sub_f32_e32 v26, v26, v39
	v_add_f32_e32 v25, v25, v35
	v_mul_f32_e32 v31, 0x3fb8aa3b, v21
	v_fma_f32 v43, 0x3fb8aa3b, v10, -v28
	v_rndne_f32_e32 v44, v28
	v_fmac_f32_e32 v40, 0x32a5705f, v20
	v_sub_f32_e32 v27, v27, v41
	v_add_f32_e32 v26, v26, v37
	v_exp_f32_e32 v25, v25
	v_mul_f32_e32 v32, 0x3fb8aa3b, v11
	v_fma_f32 v45, 0x3fb8aa3b, v21, -v31
	v_rndne_f32_e32 v46, v31
	v_cvt_i32_f32_e32 v36, v36
	v_fmac_f32_e32 v43, 0x32a5705f, v10
	v_sub_f32_e32 v28, v28, v44
	v_add_f32_e32 v27, v27, v40
	v_exp_f32_e32 v26, v26
	v_mul_f32_e32 v33, 0x3fb8aa3b, v22
	v_fma_f32 v47, 0x3fb8aa3b, v11, -v32
	v_rndne_f32_e32 v48, v32
	v_cvt_i32_f32_e32 v39, v39
	v_fmac_f32_e32 v45, 0x32a5705f, v21
	v_sub_f32_e32 v31, v31, v46
	v_add_f32_e32 v28, v28, v43
	v_exp_f32_e32 v27, v27
	v_ldexp_f32 v25, v25, v36
	v_cmp_ngt_f32_e32 vcc_lo, 0xc2ce8ed0, v16
	v_mul_f32_e32 v34, 0x3fb8aa3b, v12
	v_fma_f32 v49, 0x3fb8aa3b, v22, -v33
	v_rndne_f32_e32 v50, v33
	v_cvt_i32_f32_e32 v41, v41
	v_fmac_f32_e32 v47, 0x32a5705f, v11
	v_sub_f32_e32 v32, v32, v48
	v_add_f32_e32 v31, v31, v45
	v_exp_f32_e32 v28, v28
	v_ldexp_f32 v26, v26, v39
	v_cndmask_b32_e32 v25, 0, v25, vcc_lo
	v_cmp_ngt_f32_e32 vcc_lo, 0xc2ce8ed0, v9
	v_fma_f32 v51, 0x3fb8aa3b, v12, -v34
	v_rndne_f32_e32 v52, v34
	v_cvt_i32_f32_e32 v44, v44
	v_fmac_f32_e32 v49, 0x32a5705f, v22
	v_sub_f32_e32 v33, v33, v50
	v_add_f32_e32 v32, v32, v47
	v_exp_f32_e32 v31, v31
	v_ldexp_f32 v27, v27, v41
	v_cndmask_b32_e32 v26, 0, v26, vcc_lo
	v_cmp_ngt_f32_e32 vcc_lo, 0xc2ce8ed0, v20
	v_cvt_i32_f32_e32 v46, v46
	v_fmac_f32_e32 v51, 0x32a5705f, v12
	v_sub_f32_e32 v34, v34, v52
	v_add_f32_e32 v33, v33, v49
	v_exp_f32_e32 v32, v32
	v_ldexp_f32 v28, v28, v44
	v_cndmask_b32_e32 v27, 0, v27, vcc_lo
	v_cmp_ngt_f32_e32 vcc_lo, 0xc2ce8ed0, v10
	v_cvt_i32_f32_e32 v48, v48
	v_add_f32_e32 v34, v34, v51
	v_exp_f32_e32 v33, v33
	v_ldexp_f32 v31, v31, v46
	v_cndmask_b32_e32 v28, 0, v28, vcc_lo
	v_cmp_ngt_f32_e32 vcc_lo, 0xc2ce8ed0, v21
	v_exp_f32_e32 v34, v34
	v_cvt_i32_f32_e32 v35, v50
	v_ldexp_f32 v32, v32, v48
	v_cvt_i32_f32_e32 v37, v52
	v_cndmask_b32_e32 v31, 0, v31, vcc_lo
	v_cmp_ngt_f32_e32 vcc_lo, 0xc2ce8ed0, v11
	v_ldexp_f32 v33, v33, v35
	v_cndmask_b32_e32 v32, 0, v32, vcc_lo
	v_cmp_ngt_f32_e32 vcc_lo, 0xc2ce8ed0, v22
	v_ldexp_f32 v34, v34, v37
	v_cndmask_b32_e32 v33, 0, v33, vcc_lo
	v_cmp_ngt_f32_e32 vcc_lo, 0xc2ce8ed0, v12
	v_cndmask_b32_e32 v34, 0, v34, vcc_lo
	v_cmp_nlt_f32_e32 vcc_lo, 0x42b17218, v16
	v_cndmask_b32_e32 v16, 0x7f800000, v25, vcc_lo
	v_cmp_nlt_f32_e32 vcc_lo, 0x42b17218, v9
	;; [unrolled: 2-line block ×3, first 2 shown]
	v_fmac_f32_e32 v9, v5, v16
	v_cndmask_b32_e32 v20, 0x7f800000, v27, vcc_lo
	v_cmp_nlt_f32_e32 vcc_lo, 0x42b17218, v10
	v_cvt_f16_f32_e32 v5, v16
	v_cndmask_b32_e32 v10, 0x7f800000, v28, vcc_lo
	v_cmp_nlt_f32_e32 vcc_lo, 0x42b17218, v21
	v_fmac_f32_e32 v10, v6, v20
	v_cndmask_b32_e32 v21, 0x7f800000, v31, vcc_lo
	v_cmp_nlt_f32_e32 vcc_lo, 0x42b17218, v11
	v_cvt_f16_f32_e32 v6, v20
	v_cndmask_b32_e32 v11, 0x7f800000, v32, vcc_lo
	v_cmp_nlt_f32_e32 vcc_lo, 0x42b17218, v22
	v_mul_u32_u24_sdwa v20, v6, v15 dst_sel:DWORD dst_unused:UNUSED_PAD src0_sel:WORD_0 src1_sel:DWORD
	v_mov_b32_e32 v6, v10
	v_fmac_f32_e32 v11, v7, v21
	v_cndmask_b32_e32 v22, 0x7f800000, v33, vcc_lo
	v_cmp_nlt_f32_e32 vcc_lo, 0x42b17218, v12
	v_cvt_f16_f32_e32 v7, v21
	v_pk_mul_f16 v29, v29, v20
	v_pk_mul_f16 v30, v30, v20
	v_cvt_f16_f32_e32 v16, v22
	v_cndmask_b32_e32 v12, 0x7f800000, v34, vcc_lo
	v_mul_u32_u24_sdwa v21, v7, v15 dst_sel:DWORD dst_unused:UNUSED_PAD src0_sel:WORD_0 src1_sel:DWORD
	v_mov_b32_e32 v7, v11
	v_fmac_f32_e32 v12, v8, v22
	v_mul_u32_u24_sdwa v8, v5, v15 dst_sel:DWORD dst_unused:UNUSED_PAD src0_sel:WORD_0 src1_sel:DWORD
	v_mul_u32_u24_sdwa v15, v16, v15 dst_sel:DWORD dst_unused:UNUSED_PAD src0_sel:WORD_0 src1_sel:DWORD
	v_mov_b32_e32 v5, v9
	v_pk_mul_f16 v23, v23, v21
	v_pk_mul_f16 v24, v24, v21
	;; [unrolled: 1-line block ×6, first 2 shown]
	v_mov_b32_e32 v8, v12
	s_mov_b32 s1, exec_lo
	v_cmpx_gt_i32_e64 s26, v14
	s_cbranch_execnz .LBB5_22
.LBB5_20:
	s_endpgm
.LBB5_21:
	v_mov_b32_e32 v12, v8
	v_mov_b32_e32 v11, v7
	;; [unrolled: 1-line block ×4, first 2 shown]
	s_mov_b32 s1, exec_lo
	v_cmpx_gt_i32_e64 s26, v14
	s_cbranch_execz .LBB5_20
.LBB5_22:
	s_load_dword s1, s[4:5], 0xd4
	v_mov_b32_e32 v15, 1.0
	s_waitcnt lgkmcnt(0)
	s_cmp_lg_u32 s1, 1
	s_cselect_b32 s2, -1, 0
	s_cmp_eq_u32 s1, 1
	s_cselect_b32 s3, -1, 0
	s_and_b32 vcc_lo, exec_lo, s2
	s_cbranch_vccnz .LBB5_24
; %bb.23:
	v_div_scale_f32 v15, null, v5, v5, 1.0
	v_rcp_f32_e32 v16, v15
	v_fma_f32 v20, -v15, v16, 1.0
	v_fmac_f32_e32 v16, v20, v16
	v_div_scale_f32 v20, vcc_lo, 1.0, v5, 1.0
	v_mul_f32_e32 v21, v20, v16
	v_fma_f32 v22, -v15, v21, v20
	v_fmac_f32_e32 v21, v22, v16
	v_fma_f32 v15, -v15, v21, v20
	v_div_fmas_f32 v15, v15, v16, v21
	v_div_fixup_f32 v15, v15, v5, 1.0
.LBB5_24:
	v_mad_u64_u32 v[20:21], null, s33, s26, v[14:15]
	v_mul_lo_u32 v5, v20, s27
	v_add3_u32 v5, s24, v17, v5
	v_mul_lo_u32 v16, s1, v5
	v_add_nc_u32_e32 v14, s7, v16
	s_and_saveexec_b32 s4, s0
	s_cbranch_execz .LBB5_26
; %bb.25:
	v_mad_u64_u32 v[20:21], null, 0x48, v14, v[13:14]
	v_mov_b32_e32 v21, 0
	v_cvt_f32_f16_sdwa v5, v42 dst_sel:DWORD dst_unused:UNUSED_PAD src0_sel:WORD_1
	v_cvt_f32_f16_e32 v17, v42
	v_cvt_f32_f16_sdwa v22, v38 dst_sel:DWORD dst_unused:UNUSED_PAD src0_sel:WORD_1
	v_cvt_f32_f16_e32 v25, v38
	v_mul_f32_e32 v28, v15, v5
	v_lshlrev_b64 v[20:21], 2, v[20:21]
	v_mul_f32_e32 v27, v15, v17
	v_mul_f32_e32 v26, v15, v22
	;; [unrolled: 1-line block ×3, first 2 shown]
	v_add_co_u32 v20, vcc_lo, s20, v20
	v_add_co_ci_u32_e64 v21, null, s21, v21, vcc_lo
	global_store_dwordx4 v[20:21], v[25:28], off
.LBB5_26:
	s_or_b32 exec_lo, exec_lo, s4
	v_cmp_eq_u32_e32 vcc_lo, 0, v0
	s_and_b32 s2, vcc_lo, s2
	s_and_saveexec_b32 s4, s2
	s_cbranch_execz .LBB5_28
; %bb.27:
	v_ashrrev_i32_e32 v15, 31, v14
	v_mov_b32_e32 v0, v1
	v_mov_b32_e32 v1, v9
	v_lshlrev_b64 v[14:15], 3, v[14:15]
	v_add_co_u32 v14, vcc_lo, s22, v14
	v_add_co_ci_u32_e64 v15, null, s23, v15, vcc_lo
	global_store_dwordx2 v[14:15], v[0:1], off
.LBB5_28:
	s_or_b32 exec_lo, exec_lo, s4
	v_cndmask_b32_e64 v5, 0, 1, s3
	v_mov_b32_e32 v1, 1.0
	s_andn2_b32 vcc_lo, exec_lo, s3
	s_cbranch_vccz .LBB5_39
; %bb.29:
	v_add_nc_u32_e32 v6, s1, v16
	v_add_nc_u32_e32 v0, s7, v6
	s_and_saveexec_b32 s3, s0
	s_cbranch_execnz .LBB5_40
.LBB5_30:
	s_or_b32 exec_lo, exec_lo, s3
	s_and_saveexec_b32 s3, s2
	s_cbranch_execz .LBB5_32
.LBB5_31:
	v_ashrrev_i32_e32 v1, 31, v0
	v_mov_b32_e32 v9, v2
	v_lshlrev_b64 v[0:1], 3, v[0:1]
	v_add_co_u32 v0, vcc_lo, s22, v0
	v_add_co_ci_u32_e64 v1, null, s23, v1, vcc_lo
	global_store_dwordx2 v[0:1], v[9:10], off
.LBB5_32:
	s_or_b32 exec_lo, exec_lo, s3
	v_cmp_ne_u32_e32 vcc_lo, 1, v5
	v_mov_b32_e32 v1, 1.0
	s_cbranch_vccz .LBB5_41
; %bb.33:
	v_add_nc_u32_e32 v2, s1, v6
	v_add_nc_u32_e32 v0, s7, v2
	s_and_saveexec_b32 s3, s0
	s_cbranch_execnz .LBB5_42
.LBB5_34:
	s_or_b32 exec_lo, exec_lo, s3
	s_and_saveexec_b32 s3, s2
	s_cbranch_execz .LBB5_36
.LBB5_35:
	v_ashrrev_i32_e32 v1, 31, v0
	v_mov_b32_e32 v10, v3
	v_lshlrev_b64 v[0:1], 3, v[0:1]
	v_add_co_u32 v0, vcc_lo, s22, v0
	v_add_co_ci_u32_e64 v1, null, s23, v1, vcc_lo
	global_store_dwordx2 v[0:1], v[10:11], off
.LBB5_36:
	s_or_b32 exec_lo, exec_lo, s3
	v_cmp_ne_u32_e32 vcc_lo, 1, v5
	v_mov_b32_e32 v1, 1.0
	s_cbranch_vccz .LBB5_43
; %bb.37:
	v_add3_u32 v0, s7, s1, v2
	s_and_saveexec_b32 s1, s0
	s_cbranch_execnz .LBB5_44
.LBB5_38:
	s_or_b32 exec_lo, exec_lo, s1
	s_and_b32 exec_lo, exec_lo, s2
	s_cbranch_execz .LBB5_20
	s_branch .LBB5_45
.LBB5_39:
	v_div_scale_f32 v0, null, v6, v6, 1.0
	v_rcp_f32_e32 v1, v0
	v_fma_f32 v9, -v0, v1, 1.0
	v_fmac_f32_e32 v1, v9, v1
	v_div_scale_f32 v9, vcc_lo, 1.0, v6, 1.0
	v_mul_f32_e32 v14, v9, v1
	v_fma_f32 v15, -v0, v14, v9
	v_fmac_f32_e32 v14, v15, v1
	v_fma_f32 v0, -v0, v14, v9
	v_div_fmas_f32 v0, v0, v1, v14
	v_div_fixup_f32 v1, v0, v6, 1.0
	v_add_nc_u32_e32 v6, s1, v16
	v_add_nc_u32_e32 v0, s7, v6
	s_and_saveexec_b32 s3, s0
	s_cbranch_execz .LBB5_30
.LBB5_40:
	v_mad_u64_u32 v[14:15], null, 0x48, v0, v[13:14]
	v_mov_b32_e32 v15, 0
	v_cvt_f32_f16_sdwa v9, v30 dst_sel:DWORD dst_unused:UNUSED_PAD src0_sel:WORD_1
	v_cvt_f32_f16_e32 v16, v30
	v_cvt_f32_f16_sdwa v22, v29 dst_sel:DWORD dst_unused:UNUSED_PAD src0_sel:WORD_1
	v_mul_f32_e32 v17, v1, v9
	v_lshlrev_b64 v[20:21], 2, v[14:15]
	v_cvt_f32_f16_e32 v14, v29
	v_mul_f32_e32 v16, v1, v16
	v_mul_f32_e32 v15, v1, v22
	;; [unrolled: 1-line block ×3, first 2 shown]
	v_add_co_u32 v20, vcc_lo, s20, v20
	v_add_co_ci_u32_e64 v21, null, s21, v21, vcc_lo
	global_store_dwordx4 v[20:21], v[14:17], off
	s_or_b32 exec_lo, exec_lo, s3
	s_and_saveexec_b32 s3, s2
	s_cbranch_execnz .LBB5_31
	s_branch .LBB5_32
.LBB5_41:
	v_div_scale_f32 v0, null, v7, v7, 1.0
	v_rcp_f32_e32 v1, v0
	v_fma_f32 v2, -v0, v1, 1.0
	v_fmac_f32_e32 v1, v2, v1
	v_div_scale_f32 v2, vcc_lo, 1.0, v7, 1.0
	v_mul_f32_e32 v9, v2, v1
	v_fma_f32 v10, -v0, v9, v2
	v_fmac_f32_e32 v9, v10, v1
	v_fma_f32 v0, -v0, v9, v2
	v_div_fmas_f32 v0, v0, v1, v9
	v_div_fixup_f32 v1, v0, v7, 1.0
	v_add_nc_u32_e32 v2, s1, v6
	v_add_nc_u32_e32 v0, s7, v2
	s_and_saveexec_b32 s3, s0
	s_cbranch_execz .LBB5_34
.LBB5_42:
	v_mad_u64_u32 v[6:7], null, 0x48, v0, v[13:14]
	v_mov_b32_e32 v7, 0
	v_cvt_f32_f16_sdwa v9, v24 dst_sel:DWORD dst_unused:UNUSED_PAD src0_sel:WORD_1
	v_cvt_f32_f16_e32 v10, v24
	v_cvt_f32_f16_sdwa v14, v23 dst_sel:DWORD dst_unused:UNUSED_PAD src0_sel:WORD_1
	v_cvt_f32_f16_e32 v20, v23
	v_mul_f32_e32 v17, v1, v9
	v_lshlrev_b64 v[6:7], 2, v[6:7]
	v_mul_f32_e32 v16, v1, v10
	v_mul_f32_e32 v15, v1, v14
	;; [unrolled: 1-line block ×3, first 2 shown]
	v_add_co_u32 v6, vcc_lo, s20, v6
	v_add_co_ci_u32_e64 v7, null, s21, v7, vcc_lo
	global_store_dwordx4 v[6:7], v[14:17], off
	s_or_b32 exec_lo, exec_lo, s3
	s_and_saveexec_b32 s3, s2
	s_cbranch_execnz .LBB5_35
	s_branch .LBB5_36
.LBB5_43:
	v_div_scale_f32 v0, null, v8, v8, 1.0
	v_rcp_f32_e32 v1, v0
	v_fma_f32 v3, -v0, v1, 1.0
	v_fmac_f32_e32 v1, v3, v1
	v_div_scale_f32 v3, vcc_lo, 1.0, v8, 1.0
	v_mul_f32_e32 v5, v3, v1
	v_fma_f32 v6, -v0, v5, v3
	v_fmac_f32_e32 v5, v6, v1
	v_fma_f32 v0, -v0, v5, v3
	v_div_fmas_f32 v0, v0, v1, v5
	v_div_fixup_f32 v1, v0, v8, 1.0
	v_add3_u32 v0, s7, s1, v2
	s_and_saveexec_b32 s1, s0
	s_cbranch_execz .LBB5_38
.LBB5_44:
	v_mad_u64_u32 v[2:3], null, 0x48, v0, v[13:14]
	v_mov_b32_e32 v3, 0
	v_cvt_f32_f16_sdwa v5, v18 dst_sel:DWORD dst_unused:UNUSED_PAD src0_sel:WORD_1
	v_cvt_f32_f16_e32 v6, v18
	v_cvt_f32_f16_sdwa v9, v19 dst_sel:DWORD dst_unused:UNUSED_PAD src0_sel:WORD_1
	v_cvt_f32_f16_e32 v10, v19
	v_mul_f32_e32 v8, v1, v5
	v_lshlrev_b64 v[2:3], 2, v[2:3]
	v_mul_f32_e32 v7, v1, v6
	v_mul_f32_e32 v6, v1, v9
	;; [unrolled: 1-line block ×3, first 2 shown]
	v_add_co_u32 v2, vcc_lo, s20, v2
	v_add_co_ci_u32_e64 v3, null, s21, v3, vcc_lo
	global_store_dwordx4 v[2:3], v[5:8], off
	s_or_b32 exec_lo, exec_lo, s1
	s_and_b32 exec_lo, exec_lo, s2
	s_cbranch_execz .LBB5_20
.LBB5_45:
	v_ashrrev_i32_e32 v1, 31, v0
	v_mov_b32_e32 v11, v4
	v_lshlrev_b64 v[0:1], 3, v[0:1]
	v_add_co_u32 v0, vcc_lo, s22, v0
	v_add_co_ci_u32_e64 v1, null, s23, v1, vcc_lo
	global_store_dwordx2 v[0:1], v[11:12], off
	s_endpgm
	.section	.rodata,"a",@progbits
	.p2align	6, 0x0
	.amdhsa_kernel _ZL15flash_attn_tileILi72ELi72ELi4ELi8ELb0EEvPKcS1_S1_S1_S1_PKiPfP15HIP_vector_typeIfLj2EEffffjfiS5_IjLj3EEiiiiiiiiiiiliiliiiiil
		.amdhsa_group_segment_fixed_size 12000
		.amdhsa_private_segment_fixed_size 0
		.amdhsa_kernarg_size 464
		.amdhsa_user_sgpr_count 6
		.amdhsa_user_sgpr_private_segment_buffer 1
		.amdhsa_user_sgpr_dispatch_ptr 0
		.amdhsa_user_sgpr_queue_ptr 0
		.amdhsa_user_sgpr_kernarg_segment_ptr 1
		.amdhsa_user_sgpr_dispatch_id 0
		.amdhsa_user_sgpr_flat_scratch_init 0
		.amdhsa_user_sgpr_private_segment_size 0
		.amdhsa_wavefront_size32 1
		.amdhsa_uses_dynamic_stack 0
		.amdhsa_system_sgpr_private_segment_wavefront_offset 0
		.amdhsa_system_sgpr_workgroup_id_x 1
		.amdhsa_system_sgpr_workgroup_id_y 1
		.amdhsa_system_sgpr_workgroup_id_z 1
		.amdhsa_system_sgpr_workgroup_info 0
		.amdhsa_system_vgpr_workitem_id 1
		.amdhsa_next_free_vgpr 168
		.amdhsa_next_free_sgpr 41
		.amdhsa_reserve_vcc 1
		.amdhsa_reserve_flat_scratch 0
		.amdhsa_float_round_mode_32 0
		.amdhsa_float_round_mode_16_64 0
		.amdhsa_float_denorm_mode_32 3
		.amdhsa_float_denorm_mode_16_64 3
		.amdhsa_dx10_clamp 1
		.amdhsa_ieee_mode 1
		.amdhsa_fp16_overflow 0
		.amdhsa_workgroup_processor_mode 1
		.amdhsa_memory_ordered 1
		.amdhsa_forward_progress 1
		.amdhsa_shared_vgpr_count 0
		.amdhsa_exception_fp_ieee_invalid_op 0
		.amdhsa_exception_fp_denorm_src 0
		.amdhsa_exception_fp_ieee_div_zero 0
		.amdhsa_exception_fp_ieee_overflow 0
		.amdhsa_exception_fp_ieee_underflow 0
		.amdhsa_exception_fp_ieee_inexact 0
		.amdhsa_exception_int_div_zero 0
	.end_amdhsa_kernel
	.section	.text._ZL15flash_attn_tileILi72ELi72ELi4ELi8ELb0EEvPKcS1_S1_S1_S1_PKiPfP15HIP_vector_typeIfLj2EEffffjfiS5_IjLj3EEiiiiiiiiiiiliiliiiiil,"axG",@progbits,_ZL15flash_attn_tileILi72ELi72ELi4ELi8ELb0EEvPKcS1_S1_S1_S1_PKiPfP15HIP_vector_typeIfLj2EEffffjfiS5_IjLj3EEiiiiiiiiiiiliiliiiiil,comdat
.Lfunc_end5:
	.size	_ZL15flash_attn_tileILi72ELi72ELi4ELi8ELb0EEvPKcS1_S1_S1_S1_PKiPfP15HIP_vector_typeIfLj2EEffffjfiS5_IjLj3EEiiiiiiiiiiiliiliiiiil, .Lfunc_end5-_ZL15flash_attn_tileILi72ELi72ELi4ELi8ELb0EEvPKcS1_S1_S1_S1_PKiPfP15HIP_vector_typeIfLj2EEffffjfiS5_IjLj3EEiiiiiiiiiiiliiliiiiil
                                        ; -- End function
	.set _ZL15flash_attn_tileILi72ELi72ELi4ELi8ELb0EEvPKcS1_S1_S1_S1_PKiPfP15HIP_vector_typeIfLj2EEffffjfiS5_IjLj3EEiiiiiiiiiiiliiliiiiil.num_vgpr, 168
	.set _ZL15flash_attn_tileILi72ELi72ELi4ELi8ELb0EEvPKcS1_S1_S1_S1_PKiPfP15HIP_vector_typeIfLj2EEffffjfiS5_IjLj3EEiiiiiiiiiiiliiliiiiil.num_agpr, 0
	.set _ZL15flash_attn_tileILi72ELi72ELi4ELi8ELb0EEvPKcS1_S1_S1_S1_PKiPfP15HIP_vector_typeIfLj2EEffffjfiS5_IjLj3EEiiiiiiiiiiiliiliiiiil.numbered_sgpr, 41
	.set _ZL15flash_attn_tileILi72ELi72ELi4ELi8ELb0EEvPKcS1_S1_S1_S1_PKiPfP15HIP_vector_typeIfLj2EEffffjfiS5_IjLj3EEiiiiiiiiiiiliiliiiiil.num_named_barrier, 0
	.set _ZL15flash_attn_tileILi72ELi72ELi4ELi8ELb0EEvPKcS1_S1_S1_S1_PKiPfP15HIP_vector_typeIfLj2EEffffjfiS5_IjLj3EEiiiiiiiiiiiliiliiiiil.private_seg_size, 0
	.set _ZL15flash_attn_tileILi72ELi72ELi4ELi8ELb0EEvPKcS1_S1_S1_S1_PKiPfP15HIP_vector_typeIfLj2EEffffjfiS5_IjLj3EEiiiiiiiiiiiliiliiiiil.uses_vcc, 1
	.set _ZL15flash_attn_tileILi72ELi72ELi4ELi8ELb0EEvPKcS1_S1_S1_S1_PKiPfP15HIP_vector_typeIfLj2EEffffjfiS5_IjLj3EEiiiiiiiiiiiliiliiiiil.uses_flat_scratch, 0
	.set _ZL15flash_attn_tileILi72ELi72ELi4ELi8ELb0EEvPKcS1_S1_S1_S1_PKiPfP15HIP_vector_typeIfLj2EEffffjfiS5_IjLj3EEiiiiiiiiiiiliiliiiiil.has_dyn_sized_stack, 0
	.set _ZL15flash_attn_tileILi72ELi72ELi4ELi8ELb0EEvPKcS1_S1_S1_S1_PKiPfP15HIP_vector_typeIfLj2EEffffjfiS5_IjLj3EEiiiiiiiiiiiliiliiiiil.has_recursion, 0
	.set _ZL15flash_attn_tileILi72ELi72ELi4ELi8ELb0EEvPKcS1_S1_S1_S1_PKiPfP15HIP_vector_typeIfLj2EEffffjfiS5_IjLj3EEiiiiiiiiiiiliiliiiiil.has_indirect_call, 0
	.section	.AMDGPU.csdata,"",@progbits
; Kernel info:
; codeLenInByte = 13500
; TotalNumSgprs: 43
; NumVgprs: 168
; ScratchSize: 0
; MemoryBound: 0
; FloatMode: 240
; IeeeMode: 1
; LDSByteSize: 12000 bytes/workgroup (compile time only)
; SGPRBlocks: 0
; VGPRBlocks: 20
; NumSGPRsForWavesPerEU: 43
; NumVGPRsForWavesPerEU: 168
; Occupancy: 5
; WaveLimiterHint : 1
; COMPUTE_PGM_RSRC2:SCRATCH_EN: 0
; COMPUTE_PGM_RSRC2:USER_SGPR: 6
; COMPUTE_PGM_RSRC2:TRAP_HANDLER: 0
; COMPUTE_PGM_RSRC2:TGID_X_EN: 1
; COMPUTE_PGM_RSRC2:TGID_Y_EN: 1
; COMPUTE_PGM_RSRC2:TGID_Z_EN: 1
; COMPUTE_PGM_RSRC2:TIDIG_COMP_CNT: 1
	.section	.text._ZL25flash_attn_mask_to_KV_maxILi4EEvPK7__half2Piiii,"axG",@progbits,_ZL25flash_attn_mask_to_KV_maxILi4EEvPK7__half2Piiii,comdat
	.globl	_ZL25flash_attn_mask_to_KV_maxILi4EEvPK7__half2Piiii ; -- Begin function _ZL25flash_attn_mask_to_KV_maxILi4EEvPK7__half2Piiii
	.p2align	8
	.type	_ZL25flash_attn_mask_to_KV_maxILi4EEvPK7__half2Piiii,@function
_ZL25flash_attn_mask_to_KV_maxILi4EEvPK7__half2Piiii: ; @_ZL25flash_attn_mask_to_KV_maxILi4EEvPK7__half2Piiii
; %bb.0:
	s_load_dwordx4 s[8:11], s[4:5], 0x0
	s_mov_b32 s0, exec_lo
	v_cmpx_gt_u32_e32 32, v0
; %bb.1:
	v_lshlrev_b32_e32 v1, 2, v0
	v_mov_b32_e32 v2, 1
	ds_write_b32 v1, v2
; %bb.2:
	s_or_b32 exec_lo, exec_lo, s0
	s_clause 0x1
	s_load_dwordx4 s[12:15], s[4:5], 0x10
	s_load_dword s1, s[4:5], 0x20
	v_and_b32_e32 v1, 31, v0
	v_lshrrev_b32_e32 v5, 3, v0
	v_mov_b32_e32 v2, 0
	v_mov_b32_e32 v6, 0x204
	s_waitcnt lgkmcnt(0)
	v_lshlrev_b32_e32 v7, 2, v1
	s_barrier
	buffer_gl0_inv
	s_mul_i32 s0, s6, s13
	s_mul_i32 s2, s14, s7
	s_lshl_b32 s0, s0, 2
	s_add_i32 s2, s2, s0
	v_cmp_eq_u32_e64 s0, 0, v1
	s_ashr_i32 s3, s2, 31
	s_lshl_b64 s[4:5], s[2:3], 2
	s_add_u32 s3, s8, s4
	s_addc_u32 s4, s9, s5
	s_lshl_b32 s5, s12, 8
	s_branch .LBB6_4
.LBB6_3:                                ;   in Loop: Header=BB6_4 Depth=1
	s_or_b32 exec_lo, exec_lo, s8
	s_waitcnt lgkmcnt(0)
	s_barrier
	buffer_gl0_inv
	ds_read_b32 v1, v7
	s_waitcnt lgkmcnt(0)
	s_barrier
	buffer_gl0_inv
	v_cmp_ne_u32_e32 vcc_lo, 0, v1
	s_cmp_lg_u32 vcc_lo, exec_lo
	s_cselect_b32 s8, -1, 0
	s_and_b32 vcc_lo, exec_lo, s8
	s_cbranch_vccnz .LBB6_20
.LBB6_4:                                ; =>This Inner Loop Header: Depth=1
	s_mov_b32 s2, s5
	s_addk_i32 s5, 0xff00
	s_cmp_lt_i32 s5, 0
	s_cbranch_scc1 .LBB6_19
; %bb.5:                                ;   in Loop: Header=BB6_4 Depth=1
	s_lshr_b32 s8, s5, 1
	v_add_nc_u32_e32 v1, s8, v0
	v_lshlrev_b64 v[3:4], 2, v[1:2]
	v_add_co_u32 v3, vcc_lo, s3, v3
	v_add_co_ci_u32_e64 v4, null, s4, v4, vcc_lo
	global_load_dword v3, v[3:4], off
	s_waitcnt vmcnt(0)
	v_cmp_class_f16_e64 s8, v3, 0x204
	v_cmp_class_f16_sdwa s9, v3, v6 src0_sel:WORD_1 src1_sel:DWORD
	s_and_b32 s12, s8, s9
	s_mov_b32 s9, 0
	s_and_saveexec_b32 s8, s12
	s_cbranch_execz .LBB6_17
; %bb.6:                                ;   in Loop: Header=BB6_4 Depth=1
	v_add_nc_u32_e32 v3, s13, v1
	s_mov_b32 s12, 0
	v_ashrrev_i32_e32 v4, 31, v3
	v_lshlrev_b64 v[8:9], 2, v[3:4]
	v_add_co_u32 v8, vcc_lo, s3, v8
	v_add_co_ci_u32_e64 v9, null, s4, v9, vcc_lo
	global_load_dword v1, v[8:9], off
	s_waitcnt vmcnt(0)
	v_cmp_class_f16_e64 s14, v1, 0x204
	s_and_saveexec_b32 s9, s14
	s_cbranch_execz .LBB6_16
; %bb.7:                                ;   in Loop: Header=BB6_4 Depth=1
	v_cmp_class_f16_sdwa s15, v1, v6 src0_sel:WORD_1 src1_sel:DWORD
	s_mov_b32 s14, 0
	s_and_saveexec_b32 s12, s15
	s_cbranch_execz .LBB6_15
; %bb.8:                                ;   in Loop: Header=BB6_4 Depth=1
	v_add_nc_u32_e32 v3, s13, v3
	s_mov_b32 s15, 0
	v_ashrrev_i32_e32 v4, 31, v3
	v_lshlrev_b64 v[8:9], 2, v[3:4]
	v_add_co_u32 v8, vcc_lo, s3, v8
	v_add_co_ci_u32_e64 v9, null, s4, v9, vcc_lo
	global_load_dword v1, v[8:9], off
	s_waitcnt vmcnt(0)
	v_cmp_class_f16_e64 s16, v1, 0x204
	s_and_saveexec_b32 s14, s16
	s_cbranch_execz .LBB6_14
; %bb.9:                                ;   in Loop: Header=BB6_4 Depth=1
	v_cmp_class_f16_sdwa s17, v1, v6 src0_sel:WORD_1 src1_sel:DWORD
	s_mov_b32 s16, 0
	s_and_saveexec_b32 s15, s17
	s_cbranch_execz .LBB6_13
; %bb.10:                               ;   in Loop: Header=BB6_4 Depth=1
	v_add_nc_u32_e32 v3, s13, v3
	v_ashrrev_i32_e32 v4, 31, v3
	v_lshlrev_b64 v[3:4], 2, v[3:4]
	v_add_co_u32 v3, vcc_lo, s3, v3
	v_add_co_ci_u32_e64 v4, null, s4, v4, vcc_lo
	global_load_dword v1, v[3:4], off
	s_waitcnt vmcnt(0)
	v_cmp_class_f16_e64 s18, v1, 0x204
	s_and_saveexec_b32 s17, s18
; %bb.11:                               ;   in Loop: Header=BB6_4 Depth=1
	v_cmp_class_f16_sdwa s16, v1, v6 src0_sel:WORD_1 src1_sel:DWORD
	s_and_b32 s16, s16, exec_lo
; %bb.12:                               ;   in Loop: Header=BB6_4 Depth=1
	s_or_b32 exec_lo, exec_lo, s17
	s_and_b32 s16, s16, exec_lo
.LBB6_13:                               ;   in Loop: Header=BB6_4 Depth=1
	s_or_b32 exec_lo, exec_lo, s15
	s_and_b32 s15, s16, exec_lo
.LBB6_14:                               ;   in Loop: Header=BB6_4 Depth=1
	s_or_b32 exec_lo, exec_lo, s14
	s_and_b32 s14, s15, exec_lo
.LBB6_15:                               ;   in Loop: Header=BB6_4 Depth=1
	s_or_b32 exec_lo, exec_lo, s12
	s_and_b32 s12, s14, exec_lo
.LBB6_16:                               ;   in Loop: Header=BB6_4 Depth=1
	s_or_b32 exec_lo, exec_lo, s9
	s_and_b32 s9, s12, exec_lo
.LBB6_17:                               ;   in Loop: Header=BB6_4 Depth=1
	s_or_b32 exec_lo, exec_lo, s8
	v_cndmask_b32_e64 v1, 0, 1, s9
	s_mov_b32 s12, exec_lo
	v_cmp_ne_u32_e32 vcc_lo, 0, v1
	s_and_saveexec_b32 s8, s0
	s_cbranch_execz .LBB6_3
; %bb.18:                               ;   in Loop: Header=BB6_4 Depth=1
	s_cmp_eq_u32 vcc_lo, s12
	s_cselect_b32 s9, -1, 0
	v_cndmask_b32_e64 v1, 0, 1, s9
	ds_write_b32 v5, v1
	s_branch .LBB6_3
.LBB6_19:                               ;   in Loop: Header=BB6_4 Depth=1
	s_cbranch_execz .LBB6_4
.LBB6_20:
	s_mov_b32 s0, exec_lo
	v_cmpx_eq_u32_e32 0, v0
	s_cbranch_execz .LBB6_22
; %bb.21:
	s_mul_i32 s0, s1, s7
	v_mov_b32_e32 v0, 0
	s_add_i32 s0, s0, s6
	v_mov_b32_e32 v1, s2
	s_ashr_i32 s1, s0, 31
	s_lshl_b64 s[0:1], s[0:1], 2
	s_add_u32 s0, s10, s0
	s_addc_u32 s1, s11, s1
	global_store_dword v0, v1, s[0:1]
.LBB6_22:
	s_endpgm
	.section	.rodata,"a",@progbits
	.p2align	6, 0x0
	.amdhsa_kernel _ZL25flash_attn_mask_to_KV_maxILi4EEvPK7__half2Piiii
		.amdhsa_group_segment_fixed_size 128
		.amdhsa_private_segment_fixed_size 0
		.amdhsa_kernarg_size 288
		.amdhsa_user_sgpr_count 6
		.amdhsa_user_sgpr_private_segment_buffer 1
		.amdhsa_user_sgpr_dispatch_ptr 0
		.amdhsa_user_sgpr_queue_ptr 0
		.amdhsa_user_sgpr_kernarg_segment_ptr 1
		.amdhsa_user_sgpr_dispatch_id 0
		.amdhsa_user_sgpr_flat_scratch_init 0
		.amdhsa_user_sgpr_private_segment_size 0
		.amdhsa_wavefront_size32 1
		.amdhsa_uses_dynamic_stack 0
		.amdhsa_system_sgpr_private_segment_wavefront_offset 0
		.amdhsa_system_sgpr_workgroup_id_x 1
		.amdhsa_system_sgpr_workgroup_id_y 1
		.amdhsa_system_sgpr_workgroup_id_z 0
		.amdhsa_system_sgpr_workgroup_info 0
		.amdhsa_system_vgpr_workitem_id 0
		.amdhsa_next_free_vgpr 10
		.amdhsa_next_free_sgpr 19
		.amdhsa_reserve_vcc 1
		.amdhsa_reserve_flat_scratch 0
		.amdhsa_float_round_mode_32 0
		.amdhsa_float_round_mode_16_64 0
		.amdhsa_float_denorm_mode_32 3
		.amdhsa_float_denorm_mode_16_64 3
		.amdhsa_dx10_clamp 1
		.amdhsa_ieee_mode 1
		.amdhsa_fp16_overflow 0
		.amdhsa_workgroup_processor_mode 1
		.amdhsa_memory_ordered 1
		.amdhsa_forward_progress 1
		.amdhsa_shared_vgpr_count 0
		.amdhsa_exception_fp_ieee_invalid_op 0
		.amdhsa_exception_fp_denorm_src 0
		.amdhsa_exception_fp_ieee_div_zero 0
		.amdhsa_exception_fp_ieee_overflow 0
		.amdhsa_exception_fp_ieee_underflow 0
		.amdhsa_exception_fp_ieee_inexact 0
		.amdhsa_exception_int_div_zero 0
	.end_amdhsa_kernel
	.section	.text._ZL25flash_attn_mask_to_KV_maxILi4EEvPK7__half2Piiii,"axG",@progbits,_ZL25flash_attn_mask_to_KV_maxILi4EEvPK7__half2Piiii,comdat
.Lfunc_end6:
	.size	_ZL25flash_attn_mask_to_KV_maxILi4EEvPK7__half2Piiii, .Lfunc_end6-_ZL25flash_attn_mask_to_KV_maxILi4EEvPK7__half2Piiii
                                        ; -- End function
	.set _ZL25flash_attn_mask_to_KV_maxILi4EEvPK7__half2Piiii.num_vgpr, 10
	.set _ZL25flash_attn_mask_to_KV_maxILi4EEvPK7__half2Piiii.num_agpr, 0
	.set _ZL25flash_attn_mask_to_KV_maxILi4EEvPK7__half2Piiii.numbered_sgpr, 19
	.set _ZL25flash_attn_mask_to_KV_maxILi4EEvPK7__half2Piiii.num_named_barrier, 0
	.set _ZL25flash_attn_mask_to_KV_maxILi4EEvPK7__half2Piiii.private_seg_size, 0
	.set _ZL25flash_attn_mask_to_KV_maxILi4EEvPK7__half2Piiii.uses_vcc, 1
	.set _ZL25flash_attn_mask_to_KV_maxILi4EEvPK7__half2Piiii.uses_flat_scratch, 0
	.set _ZL25flash_attn_mask_to_KV_maxILi4EEvPK7__half2Piiii.has_dyn_sized_stack, 0
	.set _ZL25flash_attn_mask_to_KV_maxILi4EEvPK7__half2Piiii.has_recursion, 0
	.set _ZL25flash_attn_mask_to_KV_maxILi4EEvPK7__half2Piiii.has_indirect_call, 0
	.section	.AMDGPU.csdata,"",@progbits
; Kernel info:
; codeLenInByte = 708
; TotalNumSgprs: 21
; NumVgprs: 10
; ScratchSize: 0
; MemoryBound: 0
; FloatMode: 240
; IeeeMode: 1
; LDSByteSize: 128 bytes/workgroup (compile time only)
; SGPRBlocks: 0
; VGPRBlocks: 1
; NumSGPRsForWavesPerEU: 21
; NumVGPRsForWavesPerEU: 10
; Occupancy: 16
; WaveLimiterHint : 0
; COMPUTE_PGM_RSRC2:SCRATCH_EN: 0
; COMPUTE_PGM_RSRC2:USER_SGPR: 6
; COMPUTE_PGM_RSRC2:TRAP_HANDLER: 0
; COMPUTE_PGM_RSRC2:TGID_X_EN: 1
; COMPUTE_PGM_RSRC2:TGID_Y_EN: 1
; COMPUTE_PGM_RSRC2:TGID_Z_EN: 0
; COMPUTE_PGM_RSRC2:TIDIG_COMP_CNT: 0
	.section	.text._ZL33flash_attn_stream_k_fixup_uniformILi72ELi4ELi8EEvPfPK15HIP_vector_typeIfLj2EEiiiiiiS1_IjLj3EES5_S5_,"axG",@progbits,_ZL33flash_attn_stream_k_fixup_uniformILi72ELi4ELi8EEvPfPK15HIP_vector_typeIfLj2EEiiiiiiS1_IjLj3EES5_S5_,comdat
	.globl	_ZL33flash_attn_stream_k_fixup_uniformILi72ELi4ELi8EEvPfPK15HIP_vector_typeIfLj2EEiiiiiiS1_IjLj3EES5_S5_ ; -- Begin function _ZL33flash_attn_stream_k_fixup_uniformILi72ELi4ELi8EEvPfPK15HIP_vector_typeIfLj2EEiiiiiiS1_IjLj3EES5_S5_
	.p2align	8
	.type	_ZL33flash_attn_stream_k_fixup_uniformILi72ELi4ELi8EEvPfPK15HIP_vector_typeIfLj2EEiiiiiiS1_IjLj3EES5_S5_,@function
_ZL33flash_attn_stream_k_fixup_uniformILi72ELi4ELi8EEvPfPK15HIP_vector_typeIfLj2EEiiiiiiS1_IjLj3EES5_S5_: ; @_ZL33flash_attn_stream_k_fixup_uniformILi72ELi4ELi8EEvPfPK15HIP_vector_typeIfLj2EEiiiiiiS1_IjLj3EES5_S5_
; %bb.0:
	s_clause 0x2
	s_load_dwordx8 s[12:19], s[4:5], 0x1c
	s_load_dwordx4 s[20:23], s[4:5], 0x3c
	s_load_dwordx2 s[10:11], s[4:5], 0x10
	s_waitcnt lgkmcnt(0)
	s_mul_hi_u32 s0, s15, s6
	s_add_i32 s0, s6, s0
	s_lshr_b32 s0, s0, s16
	s_mul_i32 s1, s0, s17
	s_sub_i32 s1, s6, s1
	s_mul_hi_u32 s2, s1, s18
	s_add_i32 s2, s1, s2
	s_lshr_b32 s9, s2, s19
	s_mul_i32 s2, s9, s20
	s_sub_i32 s1, s1, s2
	s_mul_hi_u32 s2, s1, s21
	s_add_i32 s2, s1, s2
	s_lshr_b32 s2, s2, s22
	s_mul_i32 s3, s2, s23
	s_lshl_b32 s16, s2, 3
	s_sub_i32 s15, s1, s3
	s_lshl_b32 s1, s15, 2
	s_add_i32 s1, s1, s7
	s_cmp_lt_i32 s1, s10
	s_cselect_b32 s1, -1, 0
	s_add_i32 s16, s16, s8
	s_cmp_lt_i32 s16, s13
	s_cselect_b32 s2, -1, 0
	s_and_b32 s1, s1, s2
	s_andn2_b32 vcc_lo, exec_lo, s1
	s_cbranch_vccnz .LBB7_6
; %bb.1:
	s_mul_i32 s10, s0, s10
	s_load_dwordx4 s[0:3], s[4:5], 0x0
	s_add_i32 s4, s10, s7
	s_mul_i32 s9, s9, s13
	s_mul_i32 s4, s4, s11
	s_add_i32 s5, s16, s9
	s_mul_i32 s9, s11, s15
	s_add_i32 s4, s5, s4
	s_mulk_i32 s9, 0x120
	s_mulk_i32 s4, 0x48
	s_lshl_b32 s10, s7, 3
	v_add3_u32 v1, s4, s9, v0
	s_mul_i32 s4, s14, s6
	s_add_i32 s11, s4, s14
	v_ashrrev_i32_e32 v2, 31, v1
	v_lshlrev_b64 v[1:2], 2, v[1:2]
	s_waitcnt lgkmcnt(0)
	v_add_co_u32 v1, vcc_lo, s0, v1
	v_add_co_ci_u32_e64 v2, null, s1, v2, vcc_lo
	s_add_i32 s0, s10, s8
	s_lshl_b32 s1, s11, 5
	global_load_dword v5, v[1:2], off
	s_add_i32 s0, s0, s1
	s_sub_i32 s0, s0, 32
	s_ashr_i32 s1, s0, 31
	s_lshl_b64 s[0:1], s[0:1], 3
	s_add_u32 s0, s2, s0
	s_addc_u32 s1, s3, s1
	s_add_i32 s5, s11, -2
	s_load_dword s13, s[0:1], 0x4
	s_cmp_lt_i32 s5, s4
	s_cbranch_scc1 .LBB7_4
; %bb.2:
	s_load_dword s15, s[0:1], 0x0
	s_lshl_b32 s16, s12, 7
	s_mulk_i32 s7, 0x240
	s_ashr_i32 s17, s16, 31
	s_waitcnt lgkmcnt(0)
	v_mov_b32_e32 v6, s13
	s_lshl_b64 s[0:1], s[16:17], 2
	s_add_u32 s5, s2, s0
	s_addc_u32 s9, s3, s1
	s_add_i32 s6, s6, 1
	s_mul_i32 s0, s14, s6
	s_mul_i32 s6, s8, 0x48
	s_lshl_b32 s1, s0, 5
	s_mulk_i32 s0, 0x900
	s_add_i32 s6, s6, s7
	s_add_i32 s1, s8, s1
	s_lshl_b32 s7, s12, 5
	s_add_i32 s6, s6, s0
	s_add_i32 s0, s1, s7
	v_add3_u32 v3, s6, v0, 0xffffee00
	v_mov_b32_e32 v0, s15
	s_add_i32 s0, s0, s10
	s_add_i32 s6, s11, -1
	s_sub_i32 s0, s0, 64
.LBB7_3:                                ; =>This Inner Loop Header: Depth=1
	v_ashrrev_i32_e32 v4, 31, v3
	s_ashr_i32 s1, s0, 31
	s_lshl_b64 s[10:11], s[0:1], 3
	s_add_u32 s10, s2, s10
	v_lshlrev_b64 v[7:8], 2, v[3:4]
	s_addc_u32 s11, s3, s11
	v_add_nc_u32_e32 v3, 0xfffff700, v3
	s_add_i32 s6, s6, -1
	s_sub_i32 s0, s0, 32
	s_cmp_le_i32 s6, s4
	v_add_co_u32 v7, vcc_lo, s5, v7
	v_add_co_ci_u32_e64 v8, null, s9, v8, vcc_lo
	s_load_dwordx2 s[10:11], s[10:11], 0x0
	global_load_dword v4, v[7:8], off
	v_max_f32_e32 v7, v0, v0
	s_waitcnt lgkmcnt(0)
	v_max_f32_e64 v8, s10, s10
	v_max_f32_e32 v7, v7, v8
	v_sub_f32_e32 v8, s10, v7
	v_sub_f32_e32 v0, v0, v7
	v_mul_f32_e32 v9, 0x3fb8aa3b, v8
	v_mul_f32_e32 v12, 0x3fb8aa3b, v0
	v_cmp_ngt_f32_e32 vcc_lo, 0xc2ce8ed0, v8
	v_fma_f32 v10, 0x3fb8aa3b, v8, -v9
	v_rndne_f32_e32 v11, v9
	v_fma_f32 v13, 0x3fb8aa3b, v0, -v12
	v_rndne_f32_e32 v14, v12
	v_fmac_f32_e32 v10, 0x32a5705f, v8
	v_sub_f32_e32 v9, v9, v11
	v_fmac_f32_e32 v13, 0x32a5705f, v0
	v_cvt_i32_f32_e32 v11, v11
	v_add_f32_e32 v9, v9, v10
	v_sub_f32_e32 v10, v12, v14
	v_exp_f32_e32 v9, v9
	v_add_f32_e32 v10, v10, v13
	v_exp_f32_e32 v10, v10
	v_ldexp_f32 v9, v9, v11
	v_cvt_i32_f32_e32 v11, v14
	v_cndmask_b32_e32 v9, 0, v9, vcc_lo
	v_cmp_nlt_f32_e32 vcc_lo, 0x42b17218, v8
	v_ldexp_f32 v10, v10, v11
	v_mov_b32_e32 v11, v6
	v_cndmask_b32_e32 v9, 0x7f800000, v9, vcc_lo
	v_cmp_ngt_f32_e32 vcc_lo, 0xc2ce8ed0, v0
	v_cndmask_b32_e32 v10, 0, v10, vcc_lo
	v_cmp_le_f32_e32 vcc_lo, 0xc1a00000, v8
	v_cndmask_b32_e32 v8, 0, v9, vcc_lo
	v_cmp_nlt_f32_e32 vcc_lo, 0x42b17218, v0
	s_waitcnt vmcnt(1)
	v_mov_b32_e32 v9, v5
	v_cndmask_b32_e32 v5, 0x7f800000, v10, vcc_lo
	v_mul_f32_e32 v10, s11, v8
	v_cmp_le_f32_e32 vcc_lo, 0xc1a00000, v0
	v_mov_b32_e32 v0, v7
	v_mov_b32_e32 v6, v10
	v_cndmask_b32_e32 v12, 0, v5, vcc_lo
	v_fmac_f32_e32 v6, v11, v12
	s_waitcnt vmcnt(0)
	v_mul_f32_e32 v5, v4, v8
	v_fmac_f32_e32 v5, v9, v12
	s_cbranch_scc0 .LBB7_3
	s_branch .LBB7_5
.LBB7_4:
	s_waitcnt lgkmcnt(0)
	v_mov_b32_e32 v6, s13
.LBB7_5:
	s_waitcnt vmcnt(0)
	v_div_scale_f32 v0, null, v6, v6, v5
	v_rcp_f32_e32 v3, v0
	v_fma_f32 v4, -v0, v3, 1.0
	v_fmac_f32_e32 v3, v4, v3
	v_div_scale_f32 v4, vcc_lo, v5, v6, v5
	v_mul_f32_e32 v7, v4, v3
	v_fma_f32 v8, -v0, v7, v4
	v_fmac_f32_e32 v7, v8, v3
	v_fma_f32 v0, -v0, v7, v4
	v_div_fmas_f32 v0, v0, v3, v7
	v_div_fixup_f32 v0, v0, v6, v5
	global_store_dword v[1:2], v0, off
.LBB7_6:
	s_endpgm
	.section	.rodata,"a",@progbits
	.p2align	6, 0x0
	.amdhsa_kernel _ZL33flash_attn_stream_k_fixup_uniformILi72ELi4ELi8EEvPfPK15HIP_vector_typeIfLj2EEiiiiiiS1_IjLj3EES5_S5_
		.amdhsa_group_segment_fixed_size 0
		.amdhsa_private_segment_fixed_size 0
		.amdhsa_kernarg_size 76
		.amdhsa_user_sgpr_count 6
		.amdhsa_user_sgpr_private_segment_buffer 1
		.amdhsa_user_sgpr_dispatch_ptr 0
		.amdhsa_user_sgpr_queue_ptr 0
		.amdhsa_user_sgpr_kernarg_segment_ptr 1
		.amdhsa_user_sgpr_dispatch_id 0
		.amdhsa_user_sgpr_flat_scratch_init 0
		.amdhsa_user_sgpr_private_segment_size 0
		.amdhsa_wavefront_size32 1
		.amdhsa_uses_dynamic_stack 0
		.amdhsa_system_sgpr_private_segment_wavefront_offset 0
		.amdhsa_system_sgpr_workgroup_id_x 1
		.amdhsa_system_sgpr_workgroup_id_y 1
		.amdhsa_system_sgpr_workgroup_id_z 1
		.amdhsa_system_sgpr_workgroup_info 0
		.amdhsa_system_vgpr_workitem_id 0
		.amdhsa_next_free_vgpr 15
		.amdhsa_next_free_sgpr 24
		.amdhsa_reserve_vcc 1
		.amdhsa_reserve_flat_scratch 0
		.amdhsa_float_round_mode_32 0
		.amdhsa_float_round_mode_16_64 0
		.amdhsa_float_denorm_mode_32 3
		.amdhsa_float_denorm_mode_16_64 3
		.amdhsa_dx10_clamp 1
		.amdhsa_ieee_mode 1
		.amdhsa_fp16_overflow 0
		.amdhsa_workgroup_processor_mode 1
		.amdhsa_memory_ordered 1
		.amdhsa_forward_progress 1
		.amdhsa_shared_vgpr_count 0
		.amdhsa_exception_fp_ieee_invalid_op 0
		.amdhsa_exception_fp_denorm_src 0
		.amdhsa_exception_fp_ieee_div_zero 0
		.amdhsa_exception_fp_ieee_overflow 0
		.amdhsa_exception_fp_ieee_underflow 0
		.amdhsa_exception_fp_ieee_inexact 0
		.amdhsa_exception_int_div_zero 0
	.end_amdhsa_kernel
	.section	.text._ZL33flash_attn_stream_k_fixup_uniformILi72ELi4ELi8EEvPfPK15HIP_vector_typeIfLj2EEiiiiiiS1_IjLj3EES5_S5_,"axG",@progbits,_ZL33flash_attn_stream_k_fixup_uniformILi72ELi4ELi8EEvPfPK15HIP_vector_typeIfLj2EEiiiiiiS1_IjLj3EES5_S5_,comdat
.Lfunc_end7:
	.size	_ZL33flash_attn_stream_k_fixup_uniformILi72ELi4ELi8EEvPfPK15HIP_vector_typeIfLj2EEiiiiiiS1_IjLj3EES5_S5_, .Lfunc_end7-_ZL33flash_attn_stream_k_fixup_uniformILi72ELi4ELi8EEvPfPK15HIP_vector_typeIfLj2EEiiiiiiS1_IjLj3EES5_S5_
                                        ; -- End function
	.set _ZL33flash_attn_stream_k_fixup_uniformILi72ELi4ELi8EEvPfPK15HIP_vector_typeIfLj2EEiiiiiiS1_IjLj3EES5_S5_.num_vgpr, 15
	.set _ZL33flash_attn_stream_k_fixup_uniformILi72ELi4ELi8EEvPfPK15HIP_vector_typeIfLj2EEiiiiiiS1_IjLj3EES5_S5_.num_agpr, 0
	.set _ZL33flash_attn_stream_k_fixup_uniformILi72ELi4ELi8EEvPfPK15HIP_vector_typeIfLj2EEiiiiiiS1_IjLj3EES5_S5_.numbered_sgpr, 24
	.set _ZL33flash_attn_stream_k_fixup_uniformILi72ELi4ELi8EEvPfPK15HIP_vector_typeIfLj2EEiiiiiiS1_IjLj3EES5_S5_.num_named_barrier, 0
	.set _ZL33flash_attn_stream_k_fixup_uniformILi72ELi4ELi8EEvPfPK15HIP_vector_typeIfLj2EEiiiiiiS1_IjLj3EES5_S5_.private_seg_size, 0
	.set _ZL33flash_attn_stream_k_fixup_uniformILi72ELi4ELi8EEvPfPK15HIP_vector_typeIfLj2EEiiiiiiS1_IjLj3EES5_S5_.uses_vcc, 1
	.set _ZL33flash_attn_stream_k_fixup_uniformILi72ELi4ELi8EEvPfPK15HIP_vector_typeIfLj2EEiiiiiiS1_IjLj3EES5_S5_.uses_flat_scratch, 0
	.set _ZL33flash_attn_stream_k_fixup_uniformILi72ELi4ELi8EEvPfPK15HIP_vector_typeIfLj2EEiiiiiiS1_IjLj3EES5_S5_.has_dyn_sized_stack, 0
	.set _ZL33flash_attn_stream_k_fixup_uniformILi72ELi4ELi8EEvPfPK15HIP_vector_typeIfLj2EEiiiiiiS1_IjLj3EES5_S5_.has_recursion, 0
	.set _ZL33flash_attn_stream_k_fixup_uniformILi72ELi4ELi8EEvPfPK15HIP_vector_typeIfLj2EEiiiiiiS1_IjLj3EES5_S5_.has_indirect_call, 0
	.section	.AMDGPU.csdata,"",@progbits
; Kernel info:
; codeLenInByte = 848
; TotalNumSgprs: 26
; NumVgprs: 15
; ScratchSize: 0
; MemoryBound: 0
; FloatMode: 240
; IeeeMode: 1
; LDSByteSize: 0 bytes/workgroup (compile time only)
; SGPRBlocks: 0
; VGPRBlocks: 1
; NumSGPRsForWavesPerEU: 26
; NumVGPRsForWavesPerEU: 15
; Occupancy: 16
; WaveLimiterHint : 0
; COMPUTE_PGM_RSRC2:SCRATCH_EN: 0
; COMPUTE_PGM_RSRC2:USER_SGPR: 6
; COMPUTE_PGM_RSRC2:TRAP_HANDLER: 0
; COMPUTE_PGM_RSRC2:TGID_X_EN: 1
; COMPUTE_PGM_RSRC2:TGID_Y_EN: 1
; COMPUTE_PGM_RSRC2:TGID_Z_EN: 1
; COMPUTE_PGM_RSRC2:TIDIG_COMP_CNT: 0
	.section	.text._ZL33flash_attn_stream_k_fixup_generalILi72ELi4ELi8EEvPfPK15HIP_vector_typeIfLj2EEiiiiS1_IjLj3EES5_S5_S5_,"axG",@progbits,_ZL33flash_attn_stream_k_fixup_generalILi72ELi4ELi8EEvPfPK15HIP_vector_typeIfLj2EEiiiiS1_IjLj3EES5_S5_S5_,comdat
	.globl	_ZL33flash_attn_stream_k_fixup_generalILi72ELi4ELi8EEvPfPK15HIP_vector_typeIfLj2EEiiiiS1_IjLj3EES5_S5_S5_ ; -- Begin function _ZL33flash_attn_stream_k_fixup_generalILi72ELi4ELi8EEvPfPK15HIP_vector_typeIfLj2EEiiiiS1_IjLj3EES5_S5_S5_
	.p2align	8
	.type	_ZL33flash_attn_stream_k_fixup_generalILi72ELi4ELi8EEvPfPK15HIP_vector_typeIfLj2EEiiiiS1_IjLj3EES5_S5_S5_,@function
_ZL33flash_attn_stream_k_fixup_generalILi72ELi4ELi8EEvPfPK15HIP_vector_typeIfLj2EEiiiiS1_IjLj3EES5_S5_S5_: ; @_ZL33flash_attn_stream_k_fixup_generalILi72ELi4ELi8EEvPfPK15HIP_vector_typeIfLj2EEiiiiS1_IjLj3EES5_S5_S5_
; %bb.0:
	s_clause 0x1
	s_load_dwordx4 s[0:3], s[4:5], 0x10
	s_load_dword s9, s[4:5], 0x50
	s_mov_b32 s16, 0
	s_waitcnt lgkmcnt(0)
	s_mul_hi_i32 s17, s3, s6
	s_mul_i32 s18, s3, s6
	s_cmp_lg_u64 s[16:17], 0
	s_cbranch_scc0 .LBB8_21
; %bb.1:
	s_add_u32 s10, s9, 0
	s_addc_u32 s11, 0, 0
	s_xor_b64 s[10:11], s[10:11], 0
	v_cvt_f32_u32_e32 v1, s10
	v_cvt_f32_u32_e32 v2, s11
	s_sub_u32 s14, 0, s10
	s_subb_u32 s15, 0, s11
	v_fmamk_f32 v1, v2, 0x4f800000, v1
	v_rcp_f32_e32 v1, v1
	v_mul_f32_e32 v1, 0x5f7ffffc, v1
	v_mul_f32_e32 v2, 0x2f800000, v1
	v_trunc_f32_e32 v2, v2
	v_fmamk_f32 v1, v2, 0xcf800000, v1
	v_cvt_u32_f32_e32 v2, v2
	v_cvt_u32_f32_e32 v1, v1
	v_readfirstlane_b32 s12, v2
	v_readfirstlane_b32 s13, v1
	s_mul_i32 s19, s14, s12
	s_mul_hi_u32 s21, s14, s13
	s_mul_i32 s20, s15, s13
	s_add_i32 s19, s21, s19
	s_mul_i32 s22, s14, s13
	s_add_i32 s19, s19, s20
	s_mul_hi_u32 s21, s13, s22
	s_mul_i32 s24, s13, s19
	s_mul_hi_u32 s23, s12, s22
	s_mul_i32 s20, s12, s22
	s_mul_hi_u32 s22, s13, s19
	s_add_u32 s21, s21, s24
	s_addc_u32 s22, 0, s22
	s_mul_hi_u32 s25, s12, s19
	s_add_u32 s20, s21, s20
	s_mul_i32 s19, s12, s19
	s_addc_u32 s20, s22, s23
	s_addc_u32 s21, s25, 0
	s_add_u32 s19, s20, s19
	s_addc_u32 s20, 0, s21
	s_add_u32 s13, s13, s19
	s_cselect_b32 s19, -1, 0
	s_mul_hi_u32 s21, s14, s13
	s_cmp_lg_u32 s19, 0
	s_mul_i32 s19, s14, s13
	s_addc_u32 s12, s12, s20
	s_mul_i32 s15, s15, s13
	s_mul_i32 s14, s14, s12
	s_mul_hi_u32 s20, s13, s19
	s_add_i32 s14, s21, s14
	s_mul_hi_u32 s21, s12, s19
	s_add_i32 s14, s14, s15
	s_mul_i32 s15, s12, s19
	s_mul_i32 s23, s13, s14
	s_mul_hi_u32 s22, s13, s14
	s_add_u32 s20, s20, s23
	s_addc_u32 s22, 0, s22
	s_mul_hi_u32 s19, s12, s14
	s_add_u32 s15, s20, s15
	s_mul_i32 s14, s12, s14
	s_addc_u32 s15, s22, s21
	s_addc_u32 s19, s19, 0
	s_add_u32 s14, s15, s14
	s_addc_u32 s15, 0, s19
	s_add_u32 s19, s13, s14
	s_cselect_b32 s13, -1, 0
	s_cmp_lg_u32 s13, 0
	s_addc_u32 s20, s12, s15
	s_ashr_i32 s12, s17, 31
	s_add_u32 s14, s18, s12
	s_mov_b32 s13, s12
	s_addc_u32 s15, s17, s12
	s_xor_b64 s[14:15], s[14:15], s[12:13]
	s_mul_i32 s21, s14, s20
	s_mul_hi_u32 s22, s14, s19
	s_mul_hi_u32 s17, s14, s20
	;; [unrolled: 1-line block ×3, first 2 shown]
	s_mul_i32 s19, s15, s19
	s_add_u32 s21, s22, s21
	s_addc_u32 s17, 0, s17
	s_mul_hi_u32 s23, s15, s20
	s_add_u32 s19, s21, s19
	s_mul_i32 s20, s15, s20
	s_addc_u32 s17, s17, s24
	s_addc_u32 s19, s23, 0
	s_add_u32 s17, s17, s20
	s_addc_u32 s19, 0, s19
	s_mul_hi_u32 s20, s10, s17
	s_mul_i32 s21, s10, s19
	s_mul_i32 s22, s11, s17
	s_add_i32 s20, s20, s21
	s_mul_i32 s21, s10, s17
	s_add_i32 s20, s20, s22
	s_sub_i32 s22, s15, s20
	s_sub_u32 s14, s14, s21
	s_cselect_b32 s21, -1, 0
	s_cmp_lg_u32 s21, 0
	s_subb_u32 s22, s22, s11
	s_sub_u32 s23, s14, s10
	s_cselect_b32 s24, -1, 0
	s_cmp_lg_u32 s24, 0
	s_subb_u32 s22, s22, 0
	s_cmp_ge_u32 s22, s11
	s_cselect_b32 s24, -1, 0
	s_cmp_ge_u32 s23, s10
	s_cselect_b32 s23, -1, 0
	s_cmp_eq_u32 s22, s11
	s_cselect_b32 s22, s23, s24
	s_add_u32 s23, s17, 1
	s_addc_u32 s24, s19, 0
	s_add_u32 s25, s17, 2
	s_addc_u32 s26, s19, 0
	s_cmp_lg_u32 s22, 0
	s_cselect_b32 s22, s25, s23
	s_cselect_b32 s23, s26, s24
	s_cmp_lg_u32 s21, 0
	s_subb_u32 s15, s15, s20
	s_cmp_ge_u32 s15, s11
	s_cselect_b32 s20, -1, 0
	s_cmp_ge_u32 s14, s10
	s_cselect_b32 s10, -1, 0
	s_cmp_eq_u32 s15, s11
	s_cselect_b32 s10, s10, s20
	s_cmp_lg_u32 s10, 0
	s_cselect_b32 s11, s23, s19
	s_cselect_b32 s10, s22, s17
	s_xor_b64 s[12:13], s[12:13], 0
	s_xor_b64 s[10:11], s[10:11], s[12:13]
	s_sub_u32 s10, s10, s12
	s_load_dwordx4 s[12:15], s[4:5], 0x44
	s_andn2_b32 vcc_lo, exec_lo, s16
	s_cbranch_vccnz .LBB8_3
.LBB8_2:
	v_cvt_f32_u32_e32 v1, s9
	s_sub_i32 s11, 0, s9
	v_rcp_iflag_f32_e32 v1, v1
	v_mul_f32_e32 v1, 0x4f7ffffe, v1
	v_cvt_u32_f32_e32 v1, v1
	v_readfirstlane_b32 s10, v1
	s_mul_i32 s11, s11, s10
	s_mul_hi_u32 s11, s10, s11
	s_add_i32 s10, s10, s11
	s_mul_hi_u32 s10, s18, s10
	s_mul_i32 s11, s10, s9
	s_waitcnt lgkmcnt(0)
	s_add_i32 s15, s10, 1
	s_sub_i32 s11, s18, s11
	s_sub_i32 s16, s11, s9
	s_cmp_ge_u32 s11, s9
	s_cselect_b32 s10, s15, s10
	s_cselect_b32 s11, s16, s11
	s_add_i32 s15, s10, 1
	s_cmp_ge_u32 s11, s9
	s_cselect_b32 s10, s15, s10
.LBB8_3:
	s_add_i32 s11, s6, 1
	s_mov_b32 s16, 0
	s_mul_hi_i32 s17, s3, s11
	s_mul_i32 s11, s3, s11
	s_cmp_lg_u64 s[16:17], 0
	s_cbranch_scc0 .LBB8_22
; %bb.4:
	s_add_u32 s18, s9, 0
	s_addc_u32 s19, 0, 0
	s_xor_b64 s[18:19], s[18:19], 0
	v_cvt_f32_u32_e32 v1, s18
	v_cvt_f32_u32_e32 v2, s19
	s_sub_u32 s21, 0, s18
	s_subb_u32 s22, 0, s19
	v_fmamk_f32 v1, v2, 0x4f800000, v1
	v_rcp_f32_e32 v1, v1
	v_mul_f32_e32 v1, 0x5f7ffffc, v1
	v_mul_f32_e32 v2, 0x2f800000, v1
	v_trunc_f32_e32 v2, v2
	v_fmamk_f32 v1, v2, 0xcf800000, v1
	v_cvt_u32_f32_e32 v2, v2
	v_cvt_u32_f32_e32 v1, v1
	s_waitcnt lgkmcnt(0)
	v_readfirstlane_b32 s15, v2
	v_readfirstlane_b32 s20, v1
	s_mul_i32 s23, s21, s15
	s_mul_hi_u32 s25, s21, s20
	s_mul_i32 s24, s22, s20
	s_add_i32 s23, s25, s23
	s_mul_i32 s26, s21, s20
	s_add_i32 s23, s23, s24
	s_mul_hi_u32 s25, s20, s26
	s_mul_i32 s28, s20, s23
	s_mul_hi_u32 s27, s15, s26
	s_mul_i32 s24, s15, s26
	s_mul_hi_u32 s26, s20, s23
	s_add_u32 s25, s25, s28
	s_addc_u32 s26, 0, s26
	s_mul_hi_u32 s29, s15, s23
	s_add_u32 s24, s25, s24
	s_mul_i32 s23, s15, s23
	s_addc_u32 s24, s26, s27
	s_addc_u32 s25, s29, 0
	s_add_u32 s23, s24, s23
	s_addc_u32 s24, 0, s25
	s_add_u32 s20, s20, s23
	s_cselect_b32 s23, -1, 0
	s_mul_hi_u32 s25, s21, s20
	s_cmp_lg_u32 s23, 0
	s_mul_i32 s23, s21, s20
	s_addc_u32 s15, s15, s24
	s_mul_i32 s22, s22, s20
	s_mul_i32 s21, s21, s15
	s_mul_hi_u32 s24, s20, s23
	s_add_i32 s21, s25, s21
	s_mul_hi_u32 s25, s15, s23
	s_add_i32 s21, s21, s22
	s_mul_i32 s22, s15, s23
	s_mul_i32 s27, s20, s21
	s_mul_hi_u32 s26, s20, s21
	s_add_u32 s24, s24, s27
	s_addc_u32 s26, 0, s26
	s_mul_hi_u32 s23, s15, s21
	s_add_u32 s22, s24, s22
	s_mul_i32 s21, s15, s21
	s_addc_u32 s22, s26, s25
	s_addc_u32 s23, s23, 0
	s_add_u32 s21, s22, s21
	s_addc_u32 s22, 0, s23
	s_add_u32 s24, s20, s21
	s_cselect_b32 s20, -1, 0
	s_cmp_lg_u32 s20, 0
	s_addc_u32 s15, s15, s22
	s_ashr_i32 s20, s17, 31
	s_add_u32 s22, s11, s20
	s_mov_b32 s21, s20
	s_addc_u32 s23, s17, s20
	s_xor_b64 s[22:23], s[22:23], s[20:21]
	s_mul_i32 s25, s22, s15
	s_mul_hi_u32 s26, s22, s24
	s_mul_hi_u32 s17, s22, s15
	;; [unrolled: 1-line block ×3, first 2 shown]
	s_mul_i32 s24, s23, s24
	s_add_u32 s25, s26, s25
	s_addc_u32 s17, 0, s17
	s_mul_hi_u32 s27, s23, s15
	s_add_u32 s24, s25, s24
	s_mul_i32 s15, s23, s15
	s_addc_u32 s17, s17, s28
	s_addc_u32 s24, s27, 0
	s_add_u32 s15, s17, s15
	s_addc_u32 s17, 0, s24
	s_mul_hi_u32 s24, s18, s15
	s_mul_i32 s25, s18, s17
	s_mul_i32 s26, s19, s15
	s_add_i32 s24, s24, s25
	s_mul_i32 s25, s18, s15
	s_add_i32 s24, s24, s26
	s_sub_i32 s26, s23, s24
	s_sub_u32 s22, s22, s25
	s_cselect_b32 s25, -1, 0
	s_cmp_lg_u32 s25, 0
	s_subb_u32 s26, s26, s19
	s_sub_u32 s27, s22, s18
	s_cselect_b32 s28, -1, 0
	s_cmp_lg_u32 s28, 0
	s_subb_u32 s26, s26, 0
	s_cmp_ge_u32 s26, s19
	s_cselect_b32 s28, -1, 0
	s_cmp_ge_u32 s27, s18
	s_cselect_b32 s27, -1, 0
	s_cmp_eq_u32 s26, s19
	s_cselect_b32 s26, s27, s28
	s_add_u32 s27, s15, 1
	s_addc_u32 s28, s17, 0
	s_add_u32 s29, s15, 2
	s_addc_u32 s30, s17, 0
	s_cmp_lg_u32 s26, 0
	s_cselect_b32 s26, s29, s27
	s_cselect_b32 s27, s30, s28
	s_cmp_lg_u32 s25, 0
	s_subb_u32 s23, s23, s24
	s_cmp_ge_u32 s23, s19
	s_cselect_b32 s24, -1, 0
	s_cmp_ge_u32 s22, s18
	s_cselect_b32 s18, -1, 0
	s_cmp_eq_u32 s23, s19
	s_cselect_b32 s18, s18, s24
	s_cmp_lg_u32 s18, 0
	s_cselect_b32 s19, s27, s17
	s_cselect_b32 s18, s26, s15
	s_xor_b64 s[20:21], s[20:21], 0
	s_xor_b64 s[18:19], s[18:19], s[20:21]
	s_sub_u32 s18, s18, s20
	s_andn2_b32 vcc_lo, exec_lo, s16
	s_cbranch_vccnz .LBB8_6
.LBB8_5:
	v_cvt_f32_u32_e32 v1, s9
	s_sub_i32 s16, 0, s9
	v_rcp_iflag_f32_e32 v1, v1
	v_mul_f32_e32 v1, 0x4f7ffffe, v1
	v_cvt_u32_f32_e32 v1, v1
	s_waitcnt lgkmcnt(0)
	v_readfirstlane_b32 s15, v1
	s_mul_i32 s16, s16, s15
	s_mul_hi_u32 s16, s15, s16
	s_add_i32 s15, s15, s16
	s_mul_hi_u32 s15, s11, s15
	s_mul_i32 s16, s15, s9
	s_sub_i32 s11, s11, s16
	s_add_i32 s16, s15, 1
	s_sub_i32 s17, s11, s9
	s_cmp_ge_u32 s11, s9
	s_cselect_b32 s15, s16, s15
	s_cselect_b32 s11, s17, s11
	s_add_i32 s16, s15, 1
	s_cmp_ge_u32 s11, s9
	s_cselect_b32 s18, s16, s15
.LBB8_6:
	s_cmp_eq_u32 s10, s18
	s_waitcnt lgkmcnt(0)
	s_mul_hi_u32 s11, s10, s12
	s_cselect_b32 s15, -1, 0
	s_add_i32 s11, s11, s10
	s_lshr_b32 s11, s11, s13
	s_mul_i32 s16, s11, s14
	s_cmp_eq_u32 s16, s10
	s_mul_hi_u32 s16, s18, s12
	s_cselect_b32 s17, -1, 0
	s_add_i32 s16, s16, s18
	s_lshr_b32 s16, s16, s13
	s_cmp_eq_u32 s11, s16
	s_mul_i32 s16, s16, s14
	s_cselect_b32 s19, -1, 0
	s_cmp_lg_u32 s16, s18
	s_cselect_b32 s16, -1, 0
	s_or_b32 s15, s15, s17
	s_and_b32 s16, s19, s16
	s_or_b32 s15, s15, s16
	s_and_b32 vcc_lo, exec_lo, s15
	s_cbranch_vccnz .LBB8_24
; %bb.7:
	s_clause 0x1
	s_load_dwordx8 s[20:27], s[4:5], 0x20
	s_load_dword s16, s[4:5], 0x40
	s_waitcnt lgkmcnt(0)
	s_mul_hi_u32 s15, s10, s20
	s_add_i32 s15, s15, s10
	s_lshr_b32 s15, s15, s21
	s_mul_i32 s17, s15, s22
	s_sub_i32 s17, s10, s17
	s_mul_hi_u32 s18, s17, s23
	s_add_i32 s18, s17, s18
	s_lshr_b32 s21, s18, s24
	s_mul_i32 s18, s21, s25
	s_sub_i32 s17, s17, s18
	s_mul_hi_u32 s18, s17, s26
	s_add_i32 s18, s17, s18
	s_lshr_b32 s18, s18, s27
	s_mul_i32 s16, s18, s16
	s_lshl_b32 s22, s18, 3
	s_sub_i32 s16, s17, s16
	s_mul_hi_u32 s17, s16, s12
	s_add_i32 s16, s16, s17
	s_lshr_b32 s20, s16, s13
	s_lshl_b32 s16, s20, 2
	s_add_i32 s16, s16, s7
	s_cmp_lt_i32 s16, s0
	s_cselect_b32 s16, -1, 0
	s_add_i32 s22, s22, s8
	s_cmp_lt_i32 s22, s2
	s_cselect_b32 s17, -1, 0
	s_and_b32 s16, s16, s17
	s_andn2_b32 vcc_lo, exec_lo, s16
	s_cbranch_vccnz .LBB8_24
; %bb.8:
	s_load_dwordx4 s[16:19], s[4:5], 0x0
	s_mov_b32 s4, 0
	s_lshl_b32 s24, s9, 7
	s_mov_b32 s25, s4
	s_lshl_b32 s5, s7, 3
	s_lshl_b64 s[24:25], s[24:25], 2
	s_mul_i32 s21, s21, s2
	s_mul_i32 s0, s15, s0
	s_add_i32 s2, s5, s8
	v_cvt_f32_u32_e32 v3, s9
	v_rcp_iflag_f32_e32 v3, v3
	s_waitcnt lgkmcnt(0)
	s_add_u32 s8, s18, s24
	s_addc_u32 s15, s19, s25
	s_add_i32 s0, s0, s7
	s_add_i32 s5, s22, s21
	s_mul_i32 s0, s0, s1
	s_mul_i32 s1, s1, s20
	s_add_i32 s0, s5, s0
	s_mulk_i32 s1, 0x120
	s_mulk_i32 s0, 0x48
	v_mul_f32_e32 v7, 0x4f7ffffe, v3
	v_add3_u32 v1, s1, s0, v0
	s_lshl_b32 s0, s6, 5
	s_add_i32 s0, s2, s0
	v_ashrrev_i32_e32 v2, 31, v1
	s_ashr_i32 s1, s0, 31
	s_lshl_b64 s[0:1], s[0:1], 3
	v_lshlrev_b64 v[1:2], 2, v[1:2]
	s_add_u32 s0, s18, s0
	s_addc_u32 s1, s19, s1
	s_load_dwordx2 s[0:1], s[0:1], 0x0
	v_add_co_u32 v1, vcc_lo, s16, v1
	v_add_co_ci_u32_e64 v2, null, s17, v2, vcc_lo
	s_add_i32 s17, s6, -1
	v_mad_u64_u32 v[3:4], null, 0x48, s2, v[0:1]
	global_load_dword v5, v[1:2], off
	v_cvt_u32_f32_e32 v0, v7
	s_sub_i32 s16, 0, s9
	s_waitcnt lgkmcnt(0)
	v_mov_b32_e32 v4, s1
	v_mov_b32_e32 v6, s0
.LBB8_9:                                ; =>This Inner Loop Header: Depth=1
	s_mul_hi_i32 s5, s17, s3
	s_mul_i32 s6, s17, s3
	s_cmp_lg_u64 s[4:5], 0
	s_mov_b32 s7, -1
                                        ; implicit-def: $sgpr0_sgpr1
	s_cbranch_scc0 .LBB8_11
; %bb.10:                               ;   in Loop: Header=BB8_9 Depth=1
	s_add_u32 s0, s9, 0
	s_addc_u32 s1, 0, 0
	s_xor_b64 s[0:1], s[0:1], 0
	v_cvt_f32_u32_e32 v7, s0
	v_cvt_f32_u32_e32 v8, s1
	s_sub_u32 s21, 0, s0
	s_subb_u32 s22, 0, s1
	v_fmac_f32_e32 v7, 0x4f800000, v8
	v_rcp_f32_e32 v7, v7
	v_mul_f32_e32 v7, 0x5f7ffffc, v7
	v_mul_f32_e32 v8, 0x2f800000, v7
	v_trunc_f32_e32 v8, v8
	v_fmac_f32_e32 v7, 0xcf800000, v8
	v_cvt_u32_f32_e32 v8, v8
	v_cvt_u32_f32_e32 v7, v7
	v_readfirstlane_b32 s7, v8
	v_readfirstlane_b32 s20, v7
	s_mul_i32 s23, s21, s7
	s_mul_hi_u32 s25, s21, s20
	s_mul_i32 s24, s22, s20
	s_add_i32 s23, s25, s23
	s_mul_i32 s26, s21, s20
	s_add_i32 s23, s23, s24
	s_mul_hi_u32 s25, s20, s26
	s_mul_i32 s28, s20, s23
	s_mul_hi_u32 s27, s7, s26
	s_mul_i32 s24, s7, s26
	s_mul_hi_u32 s26, s20, s23
	s_add_u32 s25, s25, s28
	s_addc_u32 s26, 0, s26
	s_mul_hi_u32 s29, s7, s23
	s_add_u32 s24, s25, s24
	s_mul_i32 s23, s7, s23
	s_addc_u32 s24, s26, s27
	s_addc_u32 s25, s29, 0
	s_add_u32 s23, s24, s23
	s_addc_u32 s24, 0, s25
	s_add_u32 s20, s20, s23
	s_cselect_b32 s23, -1, 0
	s_mul_hi_u32 s25, s21, s20
	s_cmp_lg_u32 s23, 0
	s_mul_i32 s23, s21, s20
	s_addc_u32 s7, s7, s24
	s_mul_i32 s22, s22, s20
	s_mul_i32 s21, s21, s7
	s_mul_hi_u32 s24, s20, s23
	s_add_i32 s21, s25, s21
	s_mul_hi_u32 s25, s7, s23
	s_add_i32 s21, s21, s22
	s_mul_i32 s22, s7, s23
	s_mul_i32 s27, s20, s21
	s_mul_hi_u32 s26, s20, s21
	s_add_u32 s24, s24, s27
	s_addc_u32 s26, 0, s26
	s_mul_hi_u32 s23, s7, s21
	s_add_u32 s22, s24, s22
	s_mul_i32 s21, s7, s21
	s_addc_u32 s22, s26, s25
	s_addc_u32 s23, s23, 0
	s_add_u32 s21, s22, s21
	s_addc_u32 s22, 0, s23
	s_add_u32 s24, s20, s21
	s_cselect_b32 s20, -1, 0
	s_cmp_lg_u32 s20, 0
	s_addc_u32 s7, s7, s22
	s_ashr_i32 s20, s5, 31
	s_add_u32 s22, s6, s20
	s_mov_b32 s21, s20
	s_addc_u32 s23, s5, s20
	s_xor_b64 s[22:23], s[22:23], s[20:21]
	s_mul_i32 s25, s22, s7
	s_mul_hi_u32 s26, s22, s24
	s_mul_hi_u32 s5, s22, s7
	;; [unrolled: 1-line block ×3, first 2 shown]
	s_mul_i32 s24, s23, s24
	s_add_u32 s25, s26, s25
	s_addc_u32 s5, 0, s5
	s_mul_hi_u32 s27, s23, s7
	s_add_u32 s24, s25, s24
	s_mul_i32 s7, s23, s7
	s_addc_u32 s5, s5, s28
	s_addc_u32 s24, s27, 0
	s_add_u32 s5, s5, s7
	s_addc_u32 s7, 0, s24
	s_mul_hi_u32 s24, s0, s5
	s_mul_i32 s25, s0, s7
	s_mul_i32 s26, s1, s5
	s_add_i32 s24, s24, s25
	s_mul_i32 s25, s0, s5
	s_add_i32 s24, s24, s26
	s_sub_i32 s26, s23, s24
	s_sub_u32 s22, s22, s25
	s_cselect_b32 s25, -1, 0
	s_cmp_lg_u32 s25, 0
	s_subb_u32 s26, s26, s1
	s_sub_u32 s27, s22, s0
	s_cselect_b32 s28, -1, 0
	s_cmp_lg_u32 s28, 0
	s_subb_u32 s26, s26, 0
	s_cmp_ge_u32 s26, s1
	s_cselect_b32 s28, -1, 0
	s_cmp_ge_u32 s27, s0
	s_cselect_b32 s27, -1, 0
	s_cmp_eq_u32 s26, s1
	s_cselect_b32 s26, s27, s28
	s_add_u32 s27, s5, 1
	s_addc_u32 s28, s7, 0
	s_add_u32 s29, s5, 2
	s_addc_u32 s30, s7, 0
	s_cmp_lg_u32 s26, 0
	s_cselect_b32 s26, s29, s27
	s_cselect_b32 s27, s30, s28
	s_cmp_lg_u32 s25, 0
	s_subb_u32 s23, s23, s24
	s_cmp_ge_u32 s23, s1
	s_cselect_b32 s24, -1, 0
	s_cmp_ge_u32 s22, s0
	s_cselect_b32 s0, -1, 0
	s_cmp_eq_u32 s23, s1
	s_cselect_b32 s0, s0, s24
	s_cmp_lg_u32 s0, 0
	s_cselect_b32 s1, s27, s7
	s_cselect_b32 s0, s26, s5
	s_xor_b64 s[20:21], s[20:21], 0
	s_mov_b32 s7, 0
	s_xor_b64 s[0:1], s[0:1], s[20:21]
	s_sub_u32 s0, s0, s20
.LBB8_11:                               ;   in Loop: Header=BB8_9 Depth=1
	s_andn2_b32 vcc_lo, exec_lo, s7
	s_cbranch_vccnz .LBB8_13
; %bb.12:                               ;   in Loop: Header=BB8_9 Depth=1
	v_readfirstlane_b32 s0, v0
	s_mul_i32 s1, s16, s0
	s_mul_hi_u32 s1, s0, s1
	s_add_i32 s0, s0, s1
	s_mul_hi_u32 s0, s6, s0
	s_mul_i32 s1, s0, s9
	s_add_i32 s5, s0, 1
	s_sub_i32 s1, s6, s1
	s_sub_i32 s6, s1, s9
	s_cmp_ge_u32 s1, s9
	s_cselect_b32 s0, s5, s0
	s_cselect_b32 s1, s6, s1
	s_add_i32 s5, s0, 1
	s_cmp_ge_u32 s1, s9
	s_cselect_b32 s0, s5, s0
.LBB8_13:                               ;   in Loop: Header=BB8_9 Depth=1
	s_cmp_lg_u32 s10, s0
	s_mov_b32 s6, -1
                                        ; implicit-def: $sgpr5
                                        ; implicit-def: $vgpr8
                                        ; implicit-def: $vgpr7
                                        ; implicit-def: $vgpr9
                                        ; implicit-def: $sgpr1
                                        ; implicit-def: $sgpr20
	s_cbranch_scc0 .LBB8_18
; %bb.14:                               ;   in Loop: Header=BB8_9 Depth=1
	s_add_i32 s1, s17, s9
	s_mov_b32 s7, s4
	s_lshl_b32 s1, s1, 5
	s_mov_b32 s20, s10
	s_add_i32 s6, s1, s2
	s_mul_hi_u32 s1, s0, s12
	s_lshl_b64 s[6:7], s[6:7], 3
	s_add_u32 s6, s18, s6
	s_addc_u32 s7, s19, s7
	s_add_i32 s1, s1, s0
	s_lshr_b32 s1, s1, s13
	s_mul_i32 s5, s1, s14
	s_cmp_eq_u32 s5, s0
	s_cselect_b32 s5, -1, 0
	s_cmp_lt_u32 s1, s11
	s_cselect_b32 s1, -1, 0
	s_or_b32 s1, s1, s5
	s_mov_b32 s5, -1
	s_and_b32 vcc_lo, exec_lo, s1
	s_mov_b32 s1, s17
	s_cbranch_vccnz .LBB8_16
; %bb.15:                               ;   in Loop: Header=BB8_9 Depth=1
	s_add_i32 s1, s17, -1
	s_mov_b32 s5, 0
	s_mov_b32 s20, s0
.LBB8_16:                               ;   in Loop: Header=BB8_9 Depth=1
	v_mad_u64_u32 v[7:8], null, 0x900, s17, v[3:4]
	s_load_dwordx2 s[6:7], s[6:7], 0x0
	v_ashrrev_i32_e32 v8, 31, v7
	v_lshlrev_b64 v[7:8], 2, v[7:8]
	v_add_co_u32 v7, vcc_lo, s8, v7
	v_add_co_ci_u32_e64 v8, null, s15, v8, vcc_lo
	s_waitcnt lgkmcnt(0)
	v_max_f32_e64 v9, s6, s6
	global_load_dword v8, v[7:8], off
	v_max_f32_e32 v7, v6, v6
	v_max_f32_e32 v7, v7, v9
	v_sub_f32_e32 v9, s6, v7
	v_sub_f32_e32 v10, v6, v7
	v_mul_f32_e32 v11, 0x3fb8aa3b, v9
	v_mul_f32_e32 v12, 0x3fb8aa3b, v10
	v_cmp_ngt_f32_e32 vcc_lo, 0xc2ce8ed0, v9
	v_fma_f32 v13, 0x3fb8aa3b, v9, -v11
	v_rndne_f32_e32 v14, v11
	v_fma_f32 v15, 0x3fb8aa3b, v10, -v12
	v_rndne_f32_e32 v16, v12
	v_fmac_f32_e32 v13, 0x32a5705f, v9
	v_sub_f32_e32 v11, v11, v14
	v_fmac_f32_e32 v15, 0x32a5705f, v10
	v_sub_f32_e32 v12, v12, v16
	v_add_f32_e32 v11, v11, v13
	v_cvt_i32_f32_e32 v13, v14
	v_add_f32_e32 v12, v12, v15
	v_cvt_i32_f32_e32 v14, v16
	v_exp_f32_e32 v11, v11
	v_exp_f32_e32 v12, v12
	v_ldexp_f32 v11, v11, v13
	v_ldexp_f32 v12, v12, v14
	v_cndmask_b32_e32 v11, 0, v11, vcc_lo
	v_cmp_ngt_f32_e32 vcc_lo, 0xc2ce8ed0, v10
	v_cndmask_b32_e32 v12, 0, v12, vcc_lo
	v_cmp_nlt_f32_e32 vcc_lo, 0x42b17218, v9
	v_cndmask_b32_e32 v11, 0x7f800000, v11, vcc_lo
	v_cmp_nlt_f32_e32 vcc_lo, 0x42b17218, v10
	v_cndmask_b32_e32 v12, 0x7f800000, v12, vcc_lo
	v_cmp_le_f32_e32 vcc_lo, 0xc1a00000, v9
	v_cndmask_b32_e32 v9, 0, v11, vcc_lo
	v_cmp_le_f32_e32 vcc_lo, 0xc1a00000, v10
	v_cndmask_b32_e32 v10, 0, v12, vcc_lo
	s_waitcnt vmcnt(0)
	v_mul_f32_e32 v8, v8, v9
	v_mul_f32_e32 v9, s7, v9
	v_fmac_f32_e32 v8, v5, v10
	v_fmac_f32_e32 v9, v4, v10
	s_cbranch_execz .LBB8_19
.LBB8_17:                               ;   in Loop: Header=BB8_9 Depth=1
	s_andn2_b32 vcc_lo, exec_lo, s5
	s_cbranch_vccnz .LBB8_20
	s_branch .LBB8_23
.LBB8_18:                               ;   in Loop: Header=BB8_9 Depth=1
	s_andn2_b32 vcc_lo, exec_lo, s6
	s_cbranch_vccnz .LBB8_17
.LBB8_19:                               ;   in Loop: Header=BB8_9 Depth=1
	v_mov_b32_e32 v9, v4
	v_mov_b32_e32 v7, v6
	s_waitcnt vmcnt(0)
	v_mov_b32_e32 v8, v5
	s_add_i32 s1, s17, -1
	s_mov_b32 s20, s10
	s_cbranch_execz .LBB8_23
.LBB8_20:                               ;   in Loop: Header=BB8_9 Depth=1
	v_mov_b32_e32 v4, v9
	v_mov_b32_e32 v6, v7
	s_waitcnt vmcnt(0)
	v_mov_b32_e32 v5, v8
	s_mov_b32 s10, s20
	s_mov_b32 s17, s1
	s_branch .LBB8_9
.LBB8_21:
                                        ; implicit-def: $sgpr10_sgpr11
	s_load_dwordx4 s[12:15], s[4:5], 0x44
	s_branch .LBB8_2
.LBB8_22:
                                        ; implicit-def: $sgpr18_sgpr19
	s_branch .LBB8_5
.LBB8_23:
	v_div_scale_f32 v0, null, v9, v9, v8
	v_rcp_f32_e32 v3, v0
	v_fma_f32 v4, -v0, v3, 1.0
	v_fmac_f32_e32 v3, v4, v3
	v_div_scale_f32 v4, vcc_lo, v8, v9, v8
	s_waitcnt vmcnt(0)
	v_mul_f32_e32 v5, v4, v3
	v_fma_f32 v6, -v0, v5, v4
	v_fmac_f32_e32 v5, v6, v3
	v_fma_f32 v0, -v0, v5, v4
	v_div_fmas_f32 v0, v0, v3, v5
	v_div_fixup_f32 v0, v0, v9, v8
	global_store_dword v[1:2], v0, off
.LBB8_24:
	s_endpgm
	.section	.rodata,"a",@progbits
	.p2align	6, 0x0
	.amdhsa_kernel _ZL33flash_attn_stream_k_fixup_generalILi72ELi4ELi8EEvPfPK15HIP_vector_typeIfLj2EEiiiiS1_IjLj3EES5_S5_S5_
		.amdhsa_group_segment_fixed_size 0
		.amdhsa_private_segment_fixed_size 0
		.amdhsa_kernarg_size 336
		.amdhsa_user_sgpr_count 6
		.amdhsa_user_sgpr_private_segment_buffer 1
		.amdhsa_user_sgpr_dispatch_ptr 0
		.amdhsa_user_sgpr_queue_ptr 0
		.amdhsa_user_sgpr_kernarg_segment_ptr 1
		.amdhsa_user_sgpr_dispatch_id 0
		.amdhsa_user_sgpr_flat_scratch_init 0
		.amdhsa_user_sgpr_private_segment_size 0
		.amdhsa_wavefront_size32 1
		.amdhsa_uses_dynamic_stack 0
		.amdhsa_system_sgpr_private_segment_wavefront_offset 0
		.amdhsa_system_sgpr_workgroup_id_x 1
		.amdhsa_system_sgpr_workgroup_id_y 1
		.amdhsa_system_sgpr_workgroup_id_z 1
		.amdhsa_system_sgpr_workgroup_info 0
		.amdhsa_system_vgpr_workitem_id 0
		.amdhsa_next_free_vgpr 17
		.amdhsa_next_free_sgpr 31
		.amdhsa_reserve_vcc 1
		.amdhsa_reserve_flat_scratch 0
		.amdhsa_float_round_mode_32 0
		.amdhsa_float_round_mode_16_64 0
		.amdhsa_float_denorm_mode_32 3
		.amdhsa_float_denorm_mode_16_64 3
		.amdhsa_dx10_clamp 1
		.amdhsa_ieee_mode 1
		.amdhsa_fp16_overflow 0
		.amdhsa_workgroup_processor_mode 1
		.amdhsa_memory_ordered 1
		.amdhsa_forward_progress 1
		.amdhsa_shared_vgpr_count 0
		.amdhsa_exception_fp_ieee_invalid_op 0
		.amdhsa_exception_fp_denorm_src 0
		.amdhsa_exception_fp_ieee_div_zero 0
		.amdhsa_exception_fp_ieee_overflow 0
		.amdhsa_exception_fp_ieee_underflow 0
		.amdhsa_exception_fp_ieee_inexact 0
		.amdhsa_exception_int_div_zero 0
	.end_amdhsa_kernel
	.section	.text._ZL33flash_attn_stream_k_fixup_generalILi72ELi4ELi8EEvPfPK15HIP_vector_typeIfLj2EEiiiiS1_IjLj3EES5_S5_S5_,"axG",@progbits,_ZL33flash_attn_stream_k_fixup_generalILi72ELi4ELi8EEvPfPK15HIP_vector_typeIfLj2EEiiiiS1_IjLj3EES5_S5_S5_,comdat
.Lfunc_end8:
	.size	_ZL33flash_attn_stream_k_fixup_generalILi72ELi4ELi8EEvPfPK15HIP_vector_typeIfLj2EEiiiiS1_IjLj3EES5_S5_S5_, .Lfunc_end8-_ZL33flash_attn_stream_k_fixup_generalILi72ELi4ELi8EEvPfPK15HIP_vector_typeIfLj2EEiiiiS1_IjLj3EES5_S5_S5_
                                        ; -- End function
	.set _ZL33flash_attn_stream_k_fixup_generalILi72ELi4ELi8EEvPfPK15HIP_vector_typeIfLj2EEiiiiS1_IjLj3EES5_S5_S5_.num_vgpr, 17
	.set _ZL33flash_attn_stream_k_fixup_generalILi72ELi4ELi8EEvPfPK15HIP_vector_typeIfLj2EEiiiiS1_IjLj3EES5_S5_S5_.num_agpr, 0
	.set _ZL33flash_attn_stream_k_fixup_generalILi72ELi4ELi8EEvPfPK15HIP_vector_typeIfLj2EEiiiiS1_IjLj3EES5_S5_S5_.numbered_sgpr, 31
	.set _ZL33flash_attn_stream_k_fixup_generalILi72ELi4ELi8EEvPfPK15HIP_vector_typeIfLj2EEiiiiS1_IjLj3EES5_S5_S5_.num_named_barrier, 0
	.set _ZL33flash_attn_stream_k_fixup_generalILi72ELi4ELi8EEvPfPK15HIP_vector_typeIfLj2EEiiiiS1_IjLj3EES5_S5_S5_.private_seg_size, 0
	.set _ZL33flash_attn_stream_k_fixup_generalILi72ELi4ELi8EEvPfPK15HIP_vector_typeIfLj2EEiiiiS1_IjLj3EES5_S5_S5_.uses_vcc, 1
	.set _ZL33flash_attn_stream_k_fixup_generalILi72ELi4ELi8EEvPfPK15HIP_vector_typeIfLj2EEiiiiS1_IjLj3EES5_S5_S5_.uses_flat_scratch, 0
	.set _ZL33flash_attn_stream_k_fixup_generalILi72ELi4ELi8EEvPfPK15HIP_vector_typeIfLj2EEiiiiS1_IjLj3EES5_S5_S5_.has_dyn_sized_stack, 0
	.set _ZL33flash_attn_stream_k_fixup_generalILi72ELi4ELi8EEvPfPK15HIP_vector_typeIfLj2EEiiiiS1_IjLj3EES5_S5_S5_.has_recursion, 0
	.set _ZL33flash_attn_stream_k_fixup_generalILi72ELi4ELi8EEvPfPK15HIP_vector_typeIfLj2EEiiiiS1_IjLj3EES5_S5_S5_.has_indirect_call, 0
	.section	.AMDGPU.csdata,"",@progbits
; Kernel info:
; codeLenInByte = 2948
; TotalNumSgprs: 33
; NumVgprs: 17
; ScratchSize: 0
; MemoryBound: 0
; FloatMode: 240
; IeeeMode: 1
; LDSByteSize: 0 bytes/workgroup (compile time only)
; SGPRBlocks: 0
; VGPRBlocks: 2
; NumSGPRsForWavesPerEU: 33
; NumVGPRsForWavesPerEU: 17
; Occupancy: 16
; WaveLimiterHint : 0
; COMPUTE_PGM_RSRC2:SCRATCH_EN: 0
; COMPUTE_PGM_RSRC2:USER_SGPR: 6
; COMPUTE_PGM_RSRC2:TRAP_HANDLER: 0
; COMPUTE_PGM_RSRC2:TGID_X_EN: 1
; COMPUTE_PGM_RSRC2:TGID_Y_EN: 1
; COMPUTE_PGM_RSRC2:TGID_Z_EN: 1
; COMPUTE_PGM_RSRC2:TIDIG_COMP_CNT: 0
	.section	.text._ZL15flash_attn_tileILi72ELi72ELi2ELi8ELb0EEvPKcS1_S1_S1_S1_PKiPfP15HIP_vector_typeIfLj2EEffffjfiS5_IjLj3EEiiiiiiiiiiiliiliiiiil,"axG",@progbits,_ZL15flash_attn_tileILi72ELi72ELi2ELi8ELb0EEvPKcS1_S1_S1_S1_PKiPfP15HIP_vector_typeIfLj2EEffffjfiS5_IjLj3EEiiiiiiiiiiiliiliiiiil,comdat
	.globl	_ZL15flash_attn_tileILi72ELi72ELi2ELi8ELb0EEvPKcS1_S1_S1_S1_PKiPfP15HIP_vector_typeIfLj2EEffffjfiS5_IjLj3EEiiiiiiiiiiiliiliiiiil ; -- Begin function _ZL15flash_attn_tileILi72ELi72ELi2ELi8ELb0EEvPKcS1_S1_S1_S1_PKiPfP15HIP_vector_typeIfLj2EEffffjfiS5_IjLj3EEiiiiiiiiiiiliiliiiiil
	.p2align	8
	.type	_ZL15flash_attn_tileILi72ELi72ELi2ELi8ELb0EEvPKcS1_S1_S1_S1_PKiPfP15HIP_vector_typeIfLj2EEffffjfiS5_IjLj3EEiiiiiiiiiiiliiliiiiil,@function
_ZL15flash_attn_tileILi72ELi72ELi2ELi8ELb0EEvPKcS1_S1_S1_S1_PKiPfP15HIP_vector_typeIfLj2EEffffjfiS5_IjLj3EEiiiiiiiiiiiliiliiiiil: ; @_ZL15flash_attn_tileILi72ELi72ELi2ELi8ELb0EEvPKcS1_S1_S1_S1_PKiPfP15HIP_vector_typeIfLj2EEffffjfiS5_IjLj3EEiiiiiiiiiiiliiliiiiil
; %bb.0:
	s_clause 0x1
	s_load_dwordx4 s[24:27], s[4:5], 0x5c
	s_load_dwordx2 s[34:35], s[4:5], 0x80
	s_mov_b64 s[36:37], 0
	s_waitcnt lgkmcnt(0)
	s_ashr_i32 s0, s27, 31
	s_lshr_b32 s0, s0, 29
	s_add_i32 s0, s27, s0
	s_ashr_i32 s0, s0, 3
	v_cvt_f32_u32_e32 v2, s0
	s_sub_i32 s2, 0, s0
	v_rcp_iflag_f32_e32 v2, v2
	v_mul_f32_e32 v2, 0x4f7ffffe, v2
	v_cvt_u32_f32_e32 v2, v2
	v_readfirstlane_b32 s1, v2
	s_mul_i32 s2, s2, s1
	s_mul_hi_u32 s2, s1, s2
	s_add_i32 s1, s1, s2
	s_mul_hi_u32 s1, s8, s1
	s_mul_i32 s2, s1, s0
	s_add_i32 s3, s1, 1
	s_sub_i32 s2, s8, s2
	s_sub_i32 s9, s2, s0
	s_cmp_ge_u32 s2, s0
	s_cselect_b32 s1, s3, s1
	s_cselect_b32 s2, s9, s2
	s_add_i32 s3, s1, 1
	s_cmp_ge_u32 s2, s0
	s_cselect_b32 s33, s3, s1
	s_abs_i32 s0, s35
	s_abs_i32 s3, s27
	v_cvt_f32_u32_e32 v2, s0
	s_sub_i32 s2, 0, s0
	s_lshl_b32 s28, s8, 3
	s_mul_i32 s29, s33, s27
	v_rcp_iflag_f32_e32 v2, v2
	v_mul_f32_e32 v2, 0x4f7ffffe, v2
	v_cvt_u32_f32_e32 v2, v2
	v_readfirstlane_b32 s1, v2
	s_mul_i32 s2, s2, s1
	s_mul_hi_u32 s2, s1, s2
	s_add_i32 s1, s1, s2
	s_xor_b32 s2, s27, s35
	s_mul_hi_u32 s1, s3, s1
	s_ashr_i32 s2, s2, 31
	s_mul_i32 s8, s1, s0
	s_sub_i32 s3, s3, s8
	s_add_i32 s8, s1, 1
	s_sub_i32 s9, s3, s0
	s_cmp_ge_u32 s3, s0
	s_cselect_b32 s1, s8, s1
	s_cselect_b32 s3, s9, s3
	s_add_i32 s8, s1, 1
	s_cmp_ge_u32 s3, s0
	s_cselect_b32 s0, s8, s1
	s_xor_b32 s0, s0, s2
	s_sub_i32 s3, s0, s2
	s_clause 0x1
	s_load_dwordx16 s[8:23], s[4:5], 0x0
	s_load_dwordx2 s[0:1], s[4:5], 0xb8
	s_abs_i32 s2, s3
	v_cvt_f32_u32_e32 v2, s2
	v_rcp_iflag_f32_e32 v2, v2
	v_mul_f32_e32 v2, 0x4f7ffffe, v2
	s_waitcnt lgkmcnt(0)
	s_cmp_eq_u64 s[14:15], 0
	v_cvt_u32_f32_e32 v2, v2
	v_readfirstlane_b32 s35, v2
	s_cbranch_scc1 .LBB9_2
; %bb.1:
	s_abs_i32 s0, s0
	s_abs_i32 s36, s33
	v_cvt_f32_u32_e32 v2, s0
	s_sub_i32 s31, 0, s0
	v_rcp_iflag_f32_e32 v2, v2
	v_mul_f32_e32 v2, 0x4f7ffffe, v2
	v_cvt_u32_f32_e32 v2, v2
	v_readfirstlane_b32 s30, v2
	s_mul_i32 s31, s31, s30
	s_mul_hi_u32 s31, s30, s31
	s_add_i32 s30, s30, s31
	s_mul_hi_u32 s37, s36, s30
	s_load_dwordx2 s[30:31], s[4:5], 0xc8
	s_mul_i32 s37, s37, s0
	s_sub_i32 s36, s36, s37
	s_ashr_i32 s37, s33, 31
	s_sub_i32 s38, s36, s0
	s_cmp_ge_u32 s36, s0
	s_cselect_b32 s36, s38, s36
	s_sub_i32 s38, s36, s0
	s_cmp_ge_u32 s36, s0
	s_cselect_b32 s0, s38, s36
	s_xor_b32 s0, s0, s37
	s_sub_i32 s0, s0, s37
	s_ashr_i32 s36, s0, 31
	s_waitcnt lgkmcnt(0)
	s_mul_hi_u32 s37, s30, s0
	s_mul_i32 s36, s30, s36
	s_mul_i32 s31, s31, s0
	s_add_i32 s36, s37, s36
	s_mul_i32 s0, s30, s0
	s_add_i32 s30, s36, s31
	s_add_u32 s36, s14, s0
	s_addc_u32 s37, s15, s30
.LBB9_2:
	v_lshrrev_b32_e32 v2, 2, v1
	v_lshlrev_b32_e32 v5, 1, v1
	v_cmp_gt_u32_e64 s0, 18, v0
	v_lshlrev_b32_e32 v16, 3, v0
	s_sub_i32 s14, s28, s29
	v_lshl_add_u32 v3, s6, 1, v2
	v_and_b32_e32 v15, 6, v5
	v_mul_hi_u32 v2, s24, v3
	v_add_nc_u32_e32 v2, v3, v2
	v_lshrrev_b32_e32 v2, s25, v2
	v_mul_lo_u32 v4, v2, s26
	v_lshlrev_b32_e32 v2, 2, v0
	v_sub_nc_u32_e32 v4, v3, v4
	s_and_saveexec_b32 s15, s0
	s_cbranch_execz .LBB9_4
; %bb.3:
	s_load_dwordx4 s[28:31], s[4:5], 0x70
	v_or_b32_e32 v14, 1, v5
	v_and_b32_e32 v17, 7, v14
	s_waitcnt lgkmcnt(0)
	s_mul_i32 s25, s33, s30
	s_mul_i32 s30, s14, s29
	s_ashr_i32 s31, s25, 31
	s_add_u32 s8, s8, s25
	s_addc_u32 s9, s9, s31
	s_ashr_i32 s25, s30, 31
	s_add_u32 s30, s8, s30
	s_mov_b32 s24, s28
	s_addc_u32 s31, s9, s25
	s_ashr_i32 s25, s28, 31
	s_lshr_b64 s[8:9], s[24:25], 2
	s_ashr_i32 s9, s29, 31
	v_mad_u64_u32 v[5:6], null, s8, v4, 0
	s_mov_b32 s8, s29
	s_lshr_b64 s[28:29], s[8:9], 2
	s_lshr_b32 s8, s25, 2
	v_mad_u64_u32 v[7:8], null, s28, v15, 0
	v_mad_u64_u32 v[9:10], null, s28, v17, 0
	;; [unrolled: 1-line block ×3, first 2 shown]
	v_mov_b32_e32 v6, v8
	s_lshr_b32 s8, s9, 2
	v_mov_b32_e32 v8, v10
	v_mad_u64_u32 v[12:13], null, s8, v15, v[6:7]
	v_mov_b32_e32 v6, v11
	v_mad_u64_u32 v[10:11], null, s8, v17, v[8:9]
	v_lshlrev_b32_e32 v11, 2, v2
	s_load_dword s8, s[4:5], 0x40
	v_lshlrev_b64 v[5:6], 2, v[5:6]
	v_mov_b32_e32 v8, v12
	v_add_co_u32 v12, vcc_lo, s30, v5
	v_add_co_ci_u32_e64 v13, null, s31, v6, vcc_lo
	v_lshlrev_b64 v[5:6], 2, v[7:8]
	v_add_co_u32 v11, vcc_lo, v12, v11
	v_lshlrev_b64 v[7:8], 2, v[9:10]
	v_add_co_ci_u32_e64 v12, null, 0, v13, vcc_lo
	v_add_co_u32 v5, vcc_lo, v11, v5
	v_add_nc_u32_e32 v13, 0x14e0, v16
	v_add_co_ci_u32_e64 v6, null, v12, v6, vcc_lo
	v_add_co_u32 v9, vcc_lo, v11, v7
	v_add_co_ci_u32_e64 v10, null, v12, v8, vcc_lo
	s_clause 0x1
	global_load_dwordx4 v[5:8], v[5:6], off
	global_load_dwordx4 v[9:12], v[9:10], off
	v_mad_u32_u24 v17, 0x120, v1, v13
	s_waitcnt vmcnt(1) lgkmcnt(0)
	v_fma_mixlo_f16 v5, s8, v5, 0
	v_fma_mixlo_f16 v6, s8, v6, 0
	s_waitcnt vmcnt(0)
	v_fma_mixlo_f16 v9, s8, v9, 0
	v_fma_mixlo_f16 v10, s8, v10, 0
	;; [unrolled: 1-line block ×4, first 2 shown]
	v_lshlrev_b32_e32 v6, 16, v6
	v_and_b32_e32 v5, 0xffff, v5
	v_fma_mixlo_f16 v11, s8, v11, 0
	v_fma_mixlo_f16 v12, s8, v12, 0
	v_lshlrev_b32_e32 v10, 16, v10
	v_and_b32_e32 v9, 0xffff, v9
	v_lshlrev_b32_e32 v8, 16, v8
	v_and_b32_e32 v7, 0xffff, v7
	v_or_b32_e32 v5, v6, v5
	v_lshlrev_b32_e32 v12, 16, v12
	v_and_b32_e32 v11, 0xffff, v11
	v_or_b32_e32 v9, v10, v9
	v_or3_b32 v6, v8, v7, 0
	v_or3_b32 v5, 0, 0, v5
	v_mad_u32_u24 v10, 0x90, v14, v13
	v_or3_b32 v8, v12, v11, 0
	v_or3_b32 v7, 0, 0, v9
	ds_write_b64 v17, v[5:6]
	ds_write_b64 v10, v[7:8]
.LBB9_4:
	s_or_b32 exec_lo, exec_lo, s15
	s_cmp_eq_u64 s[18:19], 0
	s_waitcnt lgkmcnt(0)
	s_barrier
	buffer_gl0_inv
	s_cbranch_scc1 .LBB9_6
; %bb.5:
	s_load_dword s8, s[4:5], 0xd0
	s_mov_b32 s9, 0
	s_waitcnt lgkmcnt(0)
	s_mul_i32 s8, s8, s33
	s_add_i32 s8, s8, s6
	s_lshl_b64 s[8:9], s[8:9], 2
	s_add_u32 s8, s18, s8
	s_addc_u32 s9, s19, s9
	s_load_dword s34, s[8:9], 0x0
.LBB9_6:
	v_mbcnt_lo_u32_b32 v17, -1, 0
	s_lshl_b32 s9, s7, 5
	s_waitcnt lgkmcnt(0)
	s_cmp_lt_i32 s9, s34
	s_cbranch_scc1 .LBB9_9
; %bb.7:
	v_mbcnt_lo_u32_b32 v5, -1, 0
	v_mov_b32_e32 v18, 32
	v_xor_b32_e32 v23, 16, v5
	v_xor_b32_e32 v22, 8, v5
	;; [unrolled: 1-line block ×5, first 2 shown]
	s_cbranch_execz .LBB9_10
; %bb.8:
	v_mov_b32_e32 v24, 0
	v_mov_b32_e32 v37, 0
	;; [unrolled: 1-line block ×8, first 2 shown]
	s_branch .LBB9_18
.LBB9_9:
                                        ; implicit-def: $vgpr5
                                        ; implicit-def: $vgpr18
                                        ; implicit-def: $vgpr23
                                        ; implicit-def: $vgpr22
                                        ; implicit-def: $vgpr21
                                        ; implicit-def: $vgpr20
                                        ; implicit-def: $vgpr19
.LBB9_10:
	s_clause 0x1
	s_load_dwordx4 s[28:31], s[4:5], 0x98
	s_load_dwordx2 s[18:19], s[4:5], 0x8c
	s_sub_i32 s6, 0, s2
	s_ashr_i32 s25, s33, 31
	s_mul_i32 s6, s6, s35
	s_abs_i32 s8, s14
	s_mul_hi_u32 s6, s35, s6
	s_ashr_i32 s24, s14, 31
	s_add_i32 s35, s35, s6
	s_ashr_i32 s3, s3, 31
	s_mul_hi_u32 s6, s8, s35
	s_load_dwordx2 s[38:39], s[4:5], 0xa8
	s_ashr_i32 s1, s1, 1
	s_mul_i32 s35, s6, s2
	v_lshrrev_b32_e32 v5, 3, v0
	v_lshl_add_u32 v14, v1, 5, v0
	v_and_b32_e32 v18, 28, v2
	v_lshl_add_u32 v30, v1, 7, 0x1de0
	v_mov_b32_e32 v28, 0
	v_lshl_add_u32 v6, v1, 2, v5
	s_waitcnt lgkmcnt(0)
	s_ashr_i32 s15, s30, 2
	s_mul_hi_u32 s30, s28, s33
	s_mul_i32 s40, s28, s25
	s_mul_i32 s29, s29, s33
	s_add_i32 s30, s30, s40
	s_mul_i32 s28, s28, s33
	s_ashr_i32 s18, s18, 2
	s_add_i32 s30, s30, s29
	s_add_u32 s10, s10, s28
	s_addc_u32 s11, s11, s30
	s_sub_i32 s8, s8, s35
	s_xor_b32 s3, s24, s3
	s_add_i32 s24, s6, 1
	s_sub_i32 s28, s8, s2
	s_cmp_ge_u32 s8, s2
	v_mul_lo_u32 v7, s18, v6
	s_cselect_b32 s6, s24, s6
	s_cselect_b32 s8, s28, s8
	s_add_i32 s24, s6, 1
	s_cmp_ge_u32 s8, s2
	v_mul_lo_u32 v9, s18, v14
	s_cselect_b32 s2, s24, s6
	s_mul_hi_u32 s6, s38, s33
	s_xor_b32 s2, s2, s3
	v_mul_lo_u32 v11, s15, v14
	s_sub_i32 s2, s2, s3
	s_mul_i32 s3, s38, s25
	s_mul_i32 s8, s2, s19
	v_mul_lo_u32 v13, s15, v6
	s_ashr_i32 s24, s8, 31
	s_add_u32 s19, s10, s8
	s_mul_i32 s25, s39, s33
	s_addc_u32 s24, s11, s24
	s_add_i32 s3, s6, s3
	s_mul_i32 s6, s38, s33
	s_add_i32 s3, s3, s25
	s_mul_i32 s2, s2, s31
	s_add_u32 s6, s12, s6
	s_addc_u32 s3, s13, s3
	s_ashr_i32 s8, s2, 31
	s_add_u32 s12, s6, s2
	s_movk_i32 s2, 0x80
	v_mad_u64_u32 v[4:5], null, v4, s1, v[0:1]
	s_movk_i32 s1, 0x90
	v_lshlrev_b32_e32 v19, 2, v18
	v_cmp_gt_u32_e32 vcc_lo, 32, v14
	v_ashrrev_i32_e32 v8, 31, v7
	v_ashrrev_i32_e32 v10, 31, v9
	v_mad_u32_u24 v27, 0xa0, v14, s2
	v_ashrrev_i32_e32 v12, 31, v11
	v_mad_u32_u24 v31, v14, s1, 0x80
	v_ashrrev_i32_e32 v14, 31, v13
	s_movk_i32 s2, 0x120
	v_mad_u32_u24 v25, 0xa0, v6, v19
	v_mad_u32_u24 v32, 0x90, v6, v19
	v_lshlrev_b64 v[5:6], 2, v[9:10]
	v_lshlrev_b64 v[7:8], 2, v[7:8]
	;; [unrolled: 1-line block ×4, first 2 shown]
	v_mul_u32_u24_e32 v26, 0xa0, v0
	v_mad_u32_u24 v29, v1, s2, 0x14e0
	v_mov_b32_e32 v41, 0xfeffffff
	v_lshlrev_b32_e32 v33, 2, v18
	v_mov_b32_e32 v18, 32
	v_xor_b32_e32 v23, 16, v17
	v_xor_b32_e32 v22, 8, v17
	;; [unrolled: 1-line block ×5, first 2 shown]
	v_add_nc_u32_e32 v34, v30, v2
	v_mov_b32_e32 v35, 0x10001
	v_mov_b32_e32 v1, 0
	;; [unrolled: 1-line block ×7, first 2 shown]
	s_addc_u32 s13, s3, s8
	s_add_u32 s10, s4, 0xd0
	s_addc_u32 s11, s5, 0
.LBB9_11:                               ; =>This Inner Loop Header: Depth=1
	s_mul_hi_i32 s3, s9, s18
	s_mul_i32 s2, s9, s18
	s_lshl_b64 s[2:3], s[2:3], 2
	s_add_u32 s2, s19, s2
	s_addc_u32 s3, s24, s3
	s_and_saveexec_b32 s6, vcc_lo
	s_cbranch_execz .LBB9_13
; %bb.12:                               ;   in Loop: Header=BB9_11 Depth=1
	v_add_co_u32 v13, s1, s2, v5
	v_add_co_ci_u32_e64 v14, null, s3, v6, s1
	global_load_dwordx4 v[43:46], v[13:14], off offset:128
	s_waitcnt vmcnt(0)
	ds_write_b128 v27, v[43:46]
.LBB9_13:                               ;   in Loop: Header=BB9_11 Depth=1
	s_or_b32 exec_lo, exec_lo, s6
	v_add_co_u32 v13, s1, s2, v7
	v_add_co_ci_u32_e64 v14, null, s3, v8, s1
	v_mov_b32_e32 v37, 0
	v_add_co_u32 v13, s1, v13, v33
	v_add_co_ci_u32_e64 v14, null, 0, v14, s1
	v_mov_b32_e32 v38, 0
	s_mul_hi_i32 s29, s9, s15
	s_mul_i32 s28, s9, s15
	global_load_dwordx4 v[43:46], v[13:14], off
	v_add_nc_u32_e32 v13, s9, v4
	s_lshl_b64 s[28:29], s[28:29], 2
	s_add_u32 s25, s12, s28
	s_addc_u32 s28, s13, s29
	v_ashrrev_i32_e32 v14, 31, v13
	v_lshlrev_b64 v[13:14], 1, v[13:14]
	v_add_co_u32 v13, s1, s36, v13
	v_add_co_ci_u32_e64 v14, null, s37, v14, s1
	v_cmp_gt_i32_e64 s1, 32, v23
	s_waitcnt vmcnt(0)
	ds_write_b128 v25, v[43:46]
	s_waitcnt lgkmcnt(0)
	s_barrier
	buffer_gl0_inv
	ds_read_b128 v[43:46], v26
	ds_read_b128 v[47:50], v29
	ds_read_b128 v[51:54], v29 offset:144
	s_waitcnt lgkmcnt(1)
	;;#ASMSTART
	v_dot2_f32_f16 v37, v43, v47, v37
	;;#ASMEND
	;;#ASMSTART
	v_dot2_f32_f16 v37, v44, v48, v37
	;;#ASMEND
	;;#ASMSTART
	v_dot2_f32_f16 v37, v45, v49, v37
	;;#ASMEND
	;;#ASMSTART
	v_dot2_f32_f16 v37, v46, v50, v37
	;;#ASMEND
	s_waitcnt lgkmcnt(0)
	;;#ASMSTART
	v_dot2_f32_f16 v38, v43, v51, v38
	;;#ASMEND
	;;#ASMSTART
	v_dot2_f32_f16 v38, v44, v52, v38
	;;#ASMEND
	;;#ASMSTART
	v_dot2_f32_f16 v38, v45, v53, v38
	;;#ASMEND
	;;#ASMSTART
	v_dot2_f32_f16 v38, v46, v54, v38
	;;#ASMEND
	ds_read_b128 v[43:46], v26 offset:16
	ds_read_b128 v[47:50], v29 offset:16
	ds_read_b128 v[51:54], v29 offset:160
	s_waitcnt lgkmcnt(1)
	;;#ASMSTART
	v_dot2_f32_f16 v37, v43, v47, v37
	;;#ASMEND
	;;#ASMSTART
	v_dot2_f32_f16 v37, v44, v48, v37
	;;#ASMEND
	;;#ASMSTART
	v_dot2_f32_f16 v37, v45, v49, v37
	;;#ASMEND
	;;#ASMSTART
	v_dot2_f32_f16 v37, v46, v50, v37
	;;#ASMEND
	s_waitcnt lgkmcnt(0)
	;;#ASMSTART
	v_dot2_f32_f16 v38, v43, v51, v38
	;;#ASMEND
	;;#ASMSTART
	v_dot2_f32_f16 v38, v44, v52, v38
	;;#ASMEND
	;;#ASMSTART
	v_dot2_f32_f16 v38, v45, v53, v38
	;;#ASMEND
	;;#ASMSTART
	v_dot2_f32_f16 v38, v46, v54, v38
	;;#ASMEND
	ds_read_b128 v[43:46], v26 offset:32
	ds_read_b128 v[47:50], v29 offset:32
	;; [unrolled: 29-line block ×8, first 2 shown]
	ds_read_b128 v[51:54], v29 offset:272
	s_waitcnt lgkmcnt(1)
	;;#ASMSTART
	v_dot2_f32_f16 v37, v43, v47, v37
	;;#ASMEND
	;;#ASMSTART
	v_dot2_f32_f16 v37, v44, v48, v37
	;;#ASMEND
	;; [unrolled: 3-line block ×4, first 2 shown]
	s_waitcnt lgkmcnt(0)
	;;#ASMSTART
	v_dot2_f32_f16 v38, v43, v51, v38
	;;#ASMEND
	;;#ASMSTART
	v_dot2_f32_f16 v38, v44, v52, v38
	;;#ASMEND
	;; [unrolled: 3-line block ×4, first 2 shown]
	global_load_ushort v13, v[13:14], off
	v_max_f32_e32 v14, v41, v41
	v_max_f32_e32 v44, v42, v42
	s_waitcnt vmcnt(0)
	s_barrier
	buffer_gl0_inv
	v_cvt_f32_f16_e32 v13, v13
	v_add_f32_e32 v37, v37, v13
	v_add_f32_e32 v38, v38, v13
	v_cndmask_b32_e64 v13, v17, v23, s1
	v_cmp_gt_i32_e64 s1, 32, v22
	v_add_f32_e32 v43, 0x40051340, v37
	v_add_f32_e32 v45, 0x40051340, v38
	v_lshlrev_b32_e32 v13, 2, v13
	v_max_f32_e32 v14, v14, v43
	v_max_f32_e32 v43, v44, v45
	v_cndmask_b32_e64 v45, v17, v22, s1
	v_cmp_gt_i32_e64 s1, 32, v21
	ds_bpermute_b32 v44, v13, v14
	ds_bpermute_b32 v13, v13, v43
	v_lshlrev_b32_e32 v45, 2, v45
	s_waitcnt lgkmcnt(1)
	v_max_f32_e32 v44, v44, v44
	s_waitcnt lgkmcnt(0)
	v_max_f32_e32 v13, v13, v13
	v_max_f32_e32 v14, v14, v44
	;; [unrolled: 1-line block ×3, first 2 shown]
	ds_bpermute_b32 v43, v45, v14
	ds_bpermute_b32 v44, v45, v13
	v_cndmask_b32_e64 v45, v17, v21, s1
	v_cmp_gt_i32_e64 s1, 32, v20
	v_lshlrev_b32_e32 v45, 2, v45
	s_waitcnt lgkmcnt(1)
	v_max_f32_e32 v43, v43, v43
	s_waitcnt lgkmcnt(0)
	v_max_f32_e32 v44, v44, v44
	v_max_f32_e32 v14, v14, v43
	;; [unrolled: 1-line block ×3, first 2 shown]
	ds_bpermute_b32 v43, v45, v14
	ds_bpermute_b32 v44, v45, v13
	v_cndmask_b32_e64 v45, v17, v20, s1
	v_cmp_gt_i32_e64 s1, 32, v19
	v_lshlrev_b32_e32 v45, 2, v45
	s_waitcnt lgkmcnt(1)
	v_max_f32_e32 v43, v43, v43
	s_waitcnt lgkmcnt(0)
	v_max_f32_e32 v44, v44, v44
	v_max_f32_e32 v14, v14, v43
	;; [unrolled: 1-line block ×3, first 2 shown]
	ds_bpermute_b32 v43, v45, v14
	ds_bpermute_b32 v44, v45, v13
	v_cndmask_b32_e64 v45, v17, v19, s1
	v_lshlrev_b32_e32 v45, 2, v45
	s_waitcnt lgkmcnt(1)
	v_max_f32_e32 v43, v43, v43
	s_waitcnt lgkmcnt(0)
	v_max_f32_e32 v44, v44, v44
	v_max_f32_e32 v14, v14, v43
	v_max_f32_e32 v43, v13, v44
	ds_bpermute_b32 v13, v45, v14
	ds_bpermute_b32 v44, v45, v43
	s_waitcnt lgkmcnt(1)
	v_max_f32_e32 v13, v13, v13
	s_waitcnt lgkmcnt(0)
	v_max_f32_e32 v44, v44, v44
	v_max_f32_e32 v13, v14, v13
	v_max_f32_e32 v14, v43, v44
	v_sub_f32_e32 v37, v37, v13
	v_sub_f32_e32 v43, v38, v14
	;; [unrolled: 1-line block ×4, first 2 shown]
	v_mul_f32_e32 v38, 0x3fb8aa3b, v37
	v_mul_f32_e32 v44, 0x3fb8aa3b, v43
	v_cmp_ngt_f32_e64 s1, 0xc2ce8ed0, v37
	v_cmp_ngt_f32_e64 s2, 0xc2ce8ed0, v41
	;; [unrolled: 1-line block ×3, first 2 shown]
	v_fma_f32 v45, 0x3fb8aa3b, v37, -v38
	v_rndne_f32_e32 v46, v38
	v_fma_f32 v47, 0x3fb8aa3b, v43, -v44
	v_rndne_f32_e32 v48, v44
	v_cmp_nlt_f32_e64 s3, 0x42b17218, v42
	v_fmac_f32_e32 v45, 0x32a5705f, v37
	v_sub_f32_e32 v38, v38, v46
	v_fmac_f32_e32 v47, 0x32a5705f, v43
	v_sub_f32_e32 v44, v44, v48
	v_add_f32_e32 v38, v38, v45
	v_cvt_i32_f32_e32 v45, v46
	v_add_f32_e32 v44, v44, v47
	v_cvt_i32_f32_e32 v46, v48
	v_exp_f32_e32 v38, v38
	v_exp_f32_e32 v44, v44
	v_ldexp_f32 v38, v38, v45
	v_ldexp_f32 v44, v44, v46
	v_cndmask_b32_e64 v38, 0, v38, s1
	v_cmp_ngt_f32_e64 s1, 0xc2ce8ed0, v43
	v_cndmask_b32_e64 v44, 0, v44, s1
	v_cmp_nlt_f32_e64 s1, 0x42b17218, v37
	v_cndmask_b32_e64 v38, 0x7f800000, v38, s1
	v_cmp_nlt_f32_e64 s1, 0x42b17218, v43
	v_cvt_f16_f32_e32 v43, v38
	v_cndmask_b32_e64 v37, 0x7f800000, v44, s1
	v_cmp_nlt_f32_e64 s1, 0x42b17218, v41
	v_cvt_f16_f32_e32 v44, v37
	v_pack_b32_f16 v43, v43, v44
	ds_write_b32 v34, v43
	s_and_saveexec_b32 s29, vcc_lo
	s_cbranch_execz .LBB9_15
; %bb.14:                               ;   in Loop: Header=BB9_11 Depth=1
	v_add_co_u32 v43, s8, s25, v9
	v_add_co_ci_u32_e64 v44, null, s28, v10, s8
	global_load_dwordx4 v[43:46], v[43:44], off offset:128
	s_waitcnt vmcnt(0)
	ds_write_b128 v31, v[43:46]
.LBB9_15:                               ;   in Loop: Header=BB9_11 Depth=1
	s_or_b32 exec_lo, exec_lo, s29
	v_add_co_u32 v43, s8, s25, v11
	v_add_co_ci_u32_e64 v44, null, s28, v12, s8
	v_mul_f32_e32 v47, 0x3fb8aa3b, v41
	v_add_co_u32 v43, s8, v43, v33
	v_add_co_ci_u32_e64 v44, null, 0, v44, s8
	v_mul_f32_e32 v48, 0x3fb8aa3b, v42
	v_fma_f32 v49, 0x3fb8aa3b, v41, -v47
	v_rndne_f32_e32 v50, v47
	global_load_dwordx4 v[43:46], v[43:44], off
	v_add_nc_u32_e32 v85, 0x400, v16
	v_fma_f32 v51, 0x3fb8aa3b, v42, -v48
	v_rndne_f32_e32 v52, v48
	v_fmac_f32_e32 v49, 0x32a5705f, v41
	v_sub_f32_e32 v41, v47, v50
	v_cvt_i32_f32_e32 v47, v50
	v_fmac_f32_e32 v51, 0x32a5705f, v42
	v_sub_f32_e32 v42, v48, v52
	v_cvt_i32_f32_e32 v48, v52
	v_add_f32_e32 v41, v41, v49
	v_add_nc_u32_e32 v109, 0x800, v16
	v_add_nc_u32_e32 v110, 0xc00, v16
	v_add_f32_e32 v42, v42, v51
	v_add_nc_u32_e32 v111, 0x1000, v16
	v_exp_f32_e32 v41, v41
	v_exp_f32_e32 v42, v42
	v_ldexp_f32 v41, v41, v47
	v_ldexp_f32 v42, v42, v48
	v_cndmask_b32_e64 v41, 0, v41, s2
	v_cndmask_b32_e64 v42, 0, v42, s6
	v_cndmask_b32_e64 v47, 0x7f800000, v41, s1
	v_cndmask_b32_e64 v48, 0x7f800000, v42, s3
	v_cvt_f16_f32_e32 v41, v47
	v_fmac_f32_e32 v38, v39, v47
	v_cvt_f16_f32_e32 v42, v48
	v_fmac_f32_e32 v37, v40, v48
	v_mul_u32_u24_sdwa v105, v41, v35 dst_sel:DWORD dst_unused:UNUSED_PAD src0_sel:WORD_0 src1_sel:DWORD
	v_mul_u32_u24_sdwa v106, v42, v35 dst_sel:DWORD dst_unused:UNUSED_PAD src0_sel:WORD_0 src1_sel:DWORD
	v_pk_mul_f16 v36, v36, v105
	v_pk_mul_f16 v28, v28, v106
	s_waitcnt vmcnt(0)
	ds_write_b128 v32, v[43:46]
	s_waitcnt lgkmcnt(0)
	s_barrier
	buffer_gl0_inv
	ds_read_b128 v[41:44], v30
	ds_read_b128 v[45:48], v30 offset:16
	ds_read2_b64 v[49:52], v16 offset1:18
	ds_read_b128 v[53:56], v30 offset:32
	ds_read_b128 v[57:60], v30 offset:48
	ds_read2_b64 v[61:64], v16 offset0:36 offset1:54
	ds_read2_b64 v[65:68], v16 offset0:72 offset1:90
	;; [unrolled: 1-line block ×10, first 2 shown]
	s_waitcnt lgkmcnt(13)
	v_mul_u32_u24_sdwa v119, v45, v35 dst_sel:DWORD dst_unused:UNUSED_PAD src0_sel:WORD_0 src1_sel:DWORD
	v_mul_u32_u24_sdwa v120, v47, v35 dst_sel:DWORD dst_unused:UNUSED_PAD src0_sel:WORD_0 src1_sel:DWORD
	v_mul_u32_u24_sdwa v121, v47, v35 dst_sel:DWORD dst_unused:UNUSED_PAD src0_sel:WORD_1 src1_sel:DWORD
	v_mul_u32_u24_sdwa v122, v48, v35 dst_sel:DWORD dst_unused:UNUSED_PAD src0_sel:WORD_0 src1_sel:DWORD
	v_mul_u32_u24_sdwa v123, v48, v35 dst_sel:DWORD dst_unused:UNUSED_PAD src0_sel:WORD_1 src1_sel:DWORD
	s_waitcnt lgkmcnt(11)
	v_mul_u32_u24_sdwa v124, v55, v35 dst_sel:DWORD dst_unused:UNUSED_PAD src0_sel:WORD_0 src1_sel:DWORD
	v_mul_u32_u24_sdwa v125, v55, v35 dst_sel:DWORD dst_unused:UNUSED_PAD src0_sel:WORD_1 src1_sel:DWORD
	v_mul_u32_u24_sdwa v126, v56, v35 dst_sel:DWORD dst_unused:UNUSED_PAD src0_sel:WORD_0 src1_sel:DWORD
	v_mul_u32_u24_sdwa v127, v56, v35 dst_sel:DWORD dst_unused:UNUSED_PAD src0_sel:WORD_1 src1_sel:DWORD
	;; [unrolled: 2-line block ×5, first 2 shown]
	v_pk_mul_f16 v43, v49, v107
	v_pk_mul_f16 v44, v49, v112
	v_mul_u32_u24_sdwa v113, v42, v35 dst_sel:DWORD dst_unused:UNUSED_PAD src0_sel:WORD_0 src1_sel:DWORD
	v_mul_u32_u24_sdwa v114, v42, v35 dst_sel:DWORD dst_unused:UNUSED_PAD src0_sel:WORD_1 src1_sel:DWORD
	v_pk_fma_f16 v36, v50, v107, v36
	v_pk_fma_f16 v24, v24, v105, v43
	v_pk_fma_f16 v1, v1, v106, v44
	v_pk_fma_f16 v28, v50, v112, v28
	v_mul_u32_u24_sdwa v112, v45, v35 dst_sel:DWORD dst_unused:UNUSED_PAD src0_sel:WORD_1 src1_sel:DWORD
	v_pk_fma_f16 v36, v52, v113, v36
	v_pk_fma_f16 v24, v51, v113, v24
	v_pk_fma_f16 v1, v51, v114, v1
	v_pk_fma_f16 v28, v52, v114, v28
	v_mul_u32_u24_sdwa v113, v46, v35 dst_sel:DWORD dst_unused:UNUSED_PAD src0_sel:WORD_0 src1_sel:DWORD
	s_waitcnt lgkmcnt(9)
	v_pk_fma_f16 v36, v62, v115, v36
	v_pk_fma_f16 v24, v61, v115, v24
	v_pk_fma_f16 v1, v61, v116, v1
	v_pk_fma_f16 v28, v62, v116, v28
	v_mul_u32_u24_sdwa v114, v46, v35 dst_sel:DWORD dst_unused:UNUSED_PAD src0_sel:WORD_1 src1_sel:DWORD
	v_pk_fma_f16 v36, v64, v117, v36
	v_pk_fma_f16 v24, v63, v117, v24
	v_pk_fma_f16 v1, v63, v118, v1
	v_pk_fma_f16 v28, v64, v118, v28
	v_mul_u32_u24_sdwa v115, v53, v35 dst_sel:DWORD dst_unused:UNUSED_PAD src0_sel:WORD_0 src1_sel:DWORD
	s_waitcnt lgkmcnt(8)
	;; [unrolled: 11-line block ×3, first 2 shown]
	v_pk_fma_f16 v36, v70, v120, v36
	v_pk_fma_f16 v24, v69, v120, v24
	v_pk_fma_f16 v1, v69, v121, v1
	v_pk_fma_f16 v28, v70, v121, v28
	v_mul_u32_u24_sdwa v118, v54, v35 dst_sel:DWORD dst_unused:UNUSED_PAD src0_sel:WORD_1 src1_sel:DWORD
	v_pk_fma_f16 v36, v72, v122, v36
	v_pk_fma_f16 v24, v71, v122, v24
	v_pk_fma_f16 v1, v71, v123, v1
	v_pk_fma_f16 v28, v72, v123, v28
	ds_read_b128 v[39:42], v30 offset:64
	ds_read_b128 v[101:104], v30 offset:80
	s_waitcnt lgkmcnt(8)
	v_pk_fma_f16 v36, v74, v115, v36
	v_pk_fma_f16 v24, v73, v115, v24
	;; [unrolled: 1-line block ×4, first 2 shown]
	ds_read2_b64 v[105:108], v109 offset0:140 offset1:158
	v_pk_fma_f16 v36, v76, v117, v36
	v_pk_fma_f16 v24, v75, v117, v24
	;; [unrolled: 1-line block ×4, first 2 shown]
	ds_read2_b64 v[43:46], v109 offset0:176 offset1:194
	s_waitcnt lgkmcnt(9)
	v_pk_fma_f16 v36, v78, v124, v36
	v_pk_fma_f16 v24, v77, v124, v24
	;; [unrolled: 1-line block ×4, first 2 shown]
	ds_read2_b64 v[47:50], v109 offset0:212 offset1:230
	v_mul_u32_u24_sdwa v109, v57, v35 dst_sel:DWORD dst_unused:UNUSED_PAD src0_sel:WORD_0 src1_sel:DWORD
	v_mul_u32_u24_sdwa v67, v57, v35 dst_sel:DWORD dst_unused:UNUSED_PAD src0_sel:WORD_1 src1_sel:DWORD
	v_pk_fma_f16 v36, v80, v126, v36
	v_pk_fma_f16 v28, v80, v127, v28
	;; [unrolled: 1-line block ×4, first 2 shown]
	ds_read2_b64 v[51:54], v110 offset0:120 offset1:138
	v_mul_u32_u24_sdwa v68, v58, v35 dst_sel:DWORD dst_unused:UNUSED_PAD src0_sel:WORD_0 src1_sel:DWORD
	v_mul_u32_u24_sdwa v110, v58, v35 dst_sel:DWORD dst_unused:UNUSED_PAD src0_sel:WORD_1 src1_sel:DWORD
	s_waitcnt lgkmcnt(10)
	v_pk_fma_f16 v36, v82, v109, v36
	v_pk_fma_f16 v28, v82, v67, v28
	;; [unrolled: 1-line block ×4, first 2 shown]
	v_mul_u32_u24_sdwa v112, v59, v35 dst_sel:DWORD dst_unused:UNUSED_PAD src0_sel:WORD_0 src1_sel:DWORD
	v_mul_u32_u24_sdwa v113, v59, v35 dst_sel:DWORD dst_unused:UNUSED_PAD src0_sel:WORD_1 src1_sel:DWORD
	v_pk_fma_f16 v36, v84, v68, v36
	v_pk_fma_f16 v28, v84, v110, v28
	;; [unrolled: 1-line block ×4, first 2 shown]
	v_mul_u32_u24_sdwa v70, v60, v35 dst_sel:DWORD dst_unused:UNUSED_PAD src0_sel:WORD_0 src1_sel:DWORD
	v_mul_u32_u24_sdwa v69, v60, v35 dst_sel:DWORD dst_unused:UNUSED_PAD src0_sel:WORD_1 src1_sel:DWORD
	s_waitcnt lgkmcnt(9)
	v_pk_fma_f16 v36, v86, v112, v36
	v_pk_fma_f16 v28, v86, v113, v28
	;; [unrolled: 1-line block ×4, first 2 shown]
	s_waitcnt lgkmcnt(5)
	v_mul_u32_u24_sdwa v71, v39, v35 dst_sel:DWORD dst_unused:UNUSED_PAD src0_sel:WORD_0 src1_sel:DWORD
	v_mul_u32_u24_sdwa v39, v39, v35 dst_sel:DWORD dst_unused:UNUSED_PAD src0_sel:WORD_1 src1_sel:DWORD
	v_pk_fma_f16 v36, v88, v70, v36
	v_pk_fma_f16 v28, v88, v69, v28
	v_pk_fma_f16 v24, v87, v70, v24
	v_pk_fma_f16 v1, v87, v69, v1
	v_mul_u32_u24_sdwa v72, v40, v35 dst_sel:DWORD dst_unused:UNUSED_PAD src0_sel:WORD_0 src1_sel:DWORD
	v_mul_u32_u24_sdwa v40, v40, v35 dst_sel:DWORD dst_unused:UNUSED_PAD src0_sel:WORD_1 src1_sel:DWORD
	v_pk_fma_f16 v36, v90, v71, v36
	v_pk_fma_f16 v28, v90, v39, v28
	v_pk_fma_f16 v24, v89, v71, v24
	v_pk_fma_f16 v1, v89, v39, v1
	;; [unrolled: 6-line block ×4, first 2 shown]
	s_waitcnt lgkmcnt(4)
	v_mul_u32_u24_sdwa v75, v101, v35 dst_sel:DWORD dst_unused:UNUSED_PAD src0_sel:WORD_0 src1_sel:DWORD
	v_mul_u32_u24_sdwa v76, v101, v35 dst_sel:DWORD dst_unused:UNUSED_PAD src0_sel:WORD_1 src1_sel:DWORD
	v_pk_fma_f16 v36, v96, v74, v36
	v_pk_fma_f16 v28, v96, v42, v28
	;; [unrolled: 1-line block ×4, first 2 shown]
	ds_read_b128 v[55:58], v30 offset:96
	ds_read_b128 v[59:62], v30 offset:112
	v_mul_u32_u24_sdwa v101, v102, v35 dst_sel:DWORD dst_unused:UNUSED_PAD src0_sel:WORD_0 src1_sel:DWORD
	v_mul_u32_u24_sdwa v78, v102, v35 dst_sel:DWORD dst_unused:UNUSED_PAD src0_sel:WORD_1 src1_sel:DWORD
	v_pk_fma_f16 v36, v98, v75, v36
	v_pk_fma_f16 v28, v98, v76, v28
	;; [unrolled: 1-line block ×4, first 2 shown]
	v_mul_u32_u24_sdwa v77, v103, v35 dst_sel:DWORD dst_unused:UNUSED_PAD src0_sel:WORD_0 src1_sel:DWORD
	v_mul_u32_u24_sdwa v79, v103, v35 dst_sel:DWORD dst_unused:UNUSED_PAD src0_sel:WORD_1 src1_sel:DWORD
	v_pk_fma_f16 v36, v100, v101, v36
	v_pk_fma_f16 v28, v100, v78, v28
	;; [unrolled: 1-line block ×4, first 2 shown]
	v_mul_u32_u24_sdwa v67, v104, v35 dst_sel:DWORD dst_unused:UNUSED_PAD src0_sel:WORD_0 src1_sel:DWORD
	v_mul_u32_u24_sdwa v68, v104, v35 dst_sel:DWORD dst_unused:UNUSED_PAD src0_sel:WORD_1 src1_sel:DWORD
	s_waitcnt lgkmcnt(5)
	v_pk_fma_f16 v36, v106, v77, v36
	v_pk_fma_f16 v28, v106, v79, v28
	;; [unrolled: 1-line block ×4, first 2 shown]
	s_waitcnt lgkmcnt(1)
	v_mul_u32_u24_sdwa v80, v55, v35 dst_sel:DWORD dst_unused:UNUSED_PAD src0_sel:WORD_0 src1_sel:DWORD
	v_mul_u32_u24_sdwa v55, v55, v35 dst_sel:DWORD dst_unused:UNUSED_PAD src0_sel:WORD_1 src1_sel:DWORD
	v_pk_fma_f16 v36, v108, v67, v36
	v_pk_fma_f16 v28, v108, v68, v28
	v_pk_fma_f16 v24, v107, v67, v24
	v_pk_fma_f16 v1, v107, v68, v1
	v_mul_u32_u24_sdwa v39, v56, v35 dst_sel:DWORD dst_unused:UNUSED_PAD src0_sel:WORD_0 src1_sel:DWORD
	v_mul_u32_u24_sdwa v40, v56, v35 dst_sel:DWORD dst_unused:UNUSED_PAD src0_sel:WORD_1 src1_sel:DWORD
	v_pk_fma_f16 v36, v44, v80, v36
	v_pk_fma_f16 v28, v44, v55, v28
	v_pk_fma_f16 v24, v43, v80, v24
	v_pk_fma_f16 v1, v43, v55, v1
	;; [unrolled: 6-line block ×3, first 2 shown]
	ds_read2_b64 v[63:66], v111 offset0:28 offset1:46
	v_mul_u32_u24_sdwa v56, v58, v35 dst_sel:DWORD dst_unused:UNUSED_PAD src0_sel:WORD_0 src1_sel:DWORD
	v_mul_u32_u24_sdwa v57, v58, v35 dst_sel:DWORD dst_unused:UNUSED_PAD src0_sel:WORD_1 src1_sel:DWORD
	v_pk_fma_f16 v36, v48, v41, v36
	v_pk_fma_f16 v28, v48, v42, v28
	;; [unrolled: 1-line block ×4, first 2 shown]
	s_waitcnt lgkmcnt(0)
	s_barrier
	buffer_gl0_inv
	s_load_dword s1, s[10:11], 0x4
	v_mul_u32_u24_sdwa v58, v59, v35 dst_sel:DWORD dst_unused:UNUSED_PAD src0_sel:WORD_0 src1_sel:DWORD
	v_mul_u32_u24_sdwa v59, v59, v35 dst_sel:DWORD dst_unused:UNUSED_PAD src0_sel:WORD_1 src1_sel:DWORD
	v_pk_fma_f16 v36, v50, v56, v36
	v_pk_fma_f16 v28, v50, v57, v28
	v_pk_fma_f16 v24, v49, v56, v24
	v_pk_fma_f16 v1, v49, v57, v1
	v_mul_u32_u24_sdwa v43, v60, v35 dst_sel:DWORD dst_unused:UNUSED_PAD src0_sel:WORD_0 src1_sel:DWORD
	v_mul_u32_u24_sdwa v39, v60, v35 dst_sel:DWORD dst_unused:UNUSED_PAD src0_sel:WORD_1 src1_sel:DWORD
	v_pk_fma_f16 v36, v52, v58, v36
	v_pk_fma_f16 v28, v52, v59, v28
	v_pk_fma_f16 v24, v51, v58, v24
	v_pk_fma_f16 v1, v51, v59, v1
	v_mul_u32_u24_sdwa v40, v61, v35 dst_sel:DWORD dst_unused:UNUSED_PAD src0_sel:WORD_0 src1_sel:DWORD
	v_mul_u32_u24_sdwa v41, v61, v35 dst_sel:DWORD dst_unused:UNUSED_PAD src0_sel:WORD_1 src1_sel:DWORD
	v_pk_fma_f16 v36, v54, v43, v36
	v_pk_fma_f16 v28, v54, v39, v28
	v_pk_fma_f16 v24, v53, v43, v24
	v_pk_fma_f16 v1, v53, v39, v1
	v_mul_u32_u24_sdwa v42, v62, v35 dst_sel:DWORD dst_unused:UNUSED_PAD src0_sel:WORD_0 src1_sel:DWORD
	v_mul_u32_u24_sdwa v39, v62, v35 dst_sel:DWORD dst_unused:UNUSED_PAD src0_sel:WORD_1 src1_sel:DWORD
	v_pk_fma_f16 v36, v64, v40, v36
	v_pk_fma_f16 v28, v64, v41, v28
	v_pk_fma_f16 v24, v63, v40, v24
	v_pk_fma_f16 v1, v63, v41, v1
	s_waitcnt lgkmcnt(0)
	s_lshl_b32 s1, s1, 5
	v_pk_fma_f16 v36, v66, v42, v36
	v_pk_fma_f16 v28, v66, v39, v28
	;; [unrolled: 1-line block ×4, first 2 shown]
	s_add_i32 s9, s1, s9
	s_cmp_ge_i32 s9, s34
	s_cbranch_scc1 .LBB9_17
; %bb.16:                               ;   in Loop: Header=BB9_11 Depth=1
	v_mov_b32_e32 v41, v13
	v_mov_b32_e32 v42, v14
	;; [unrolled: 1-line block ×4, first 2 shown]
	s_branch .LBB9_11
.LBB9_17:
	v_mov_b32_e32 v5, v17
.LBB9_18:
	v_cmp_lt_i32_e32 vcc_lo, v23, v18
	s_cmp_lg_u64 s[16:17], 0
	s_cselect_b32 s1, -1, 0
	s_cmp_eq_u32 s7, 0
	v_cndmask_b32_e32 v4, v5, v23, vcc_lo
	v_cmp_lt_i32_e32 vcc_lo, v22, v18
	s_cselect_b32 s2, -1, 0
	s_and_b32 s1, s2, s1
	v_lshlrev_b32_e32 v4, 2, v4
	v_cndmask_b32_e32 v7, v5, v22, vcc_lo
	v_cmp_lt_i32_e32 vcc_lo, v21, v18
	ds_bpermute_b32 v6, v4, v38
	ds_bpermute_b32 v4, v4, v37
	v_lshlrev_b32_e32 v7, 2, v7
	v_cndmask_b32_e32 v9, v5, v21, vcc_lo
	v_cmp_lt_i32_e32 vcc_lo, v20, v18
	v_lshlrev_b32_e32 v9, 2, v9
	s_waitcnt lgkmcnt(1)
	v_add_f32_e32 v6, v38, v6
	s_waitcnt lgkmcnt(0)
	v_add_f32_e32 v4, v37, v4
	ds_bpermute_b32 v8, v7, v6
	ds_bpermute_b32 v7, v7, v4
	s_waitcnt lgkmcnt(1)
	v_add_f32_e32 v6, v6, v8
	s_waitcnt lgkmcnt(0)
	v_add_f32_e32 v4, v4, v7
	ds_bpermute_b32 v7, v9, v6
	ds_bpermute_b32 v8, v9, v4
	v_cndmask_b32_e32 v9, v5, v20, vcc_lo
	v_cmp_lt_i32_e32 vcc_lo, v19, v18
	v_lshlrev_b32_e32 v9, 2, v9
	v_cndmask_b32_e32 v5, v5, v19, vcc_lo
	s_and_b32 vcc_lo, exec_lo, s1
	v_lshlrev_b32_e32 v5, 2, v5
	s_waitcnt lgkmcnt(1)
	v_add_f32_e32 v6, v6, v7
	s_waitcnt lgkmcnt(0)
	v_add_f32_e32 v4, v4, v8
	ds_bpermute_b32 v7, v9, v6
	ds_bpermute_b32 v8, v9, v4
	s_waitcnt lgkmcnt(1)
	v_add_f32_e32 v6, v6, v7
	s_waitcnt lgkmcnt(0)
	v_add_f32_e32 v7, v4, v8
	ds_bpermute_b32 v4, v5, v6
	ds_bpermute_b32 v5, v5, v7
	s_waitcnt lgkmcnt(1)
	v_add_f32_e32 v4, v6, v4
	s_waitcnt lgkmcnt(0)
	v_add_f32_e32 v5, v7, v5
	s_cbranch_vccz .LBB9_21
; %bb.19:
	v_add_nc_u32_e32 v6, s14, v15
	v_max_f32_e32 v8, v13, v13
	v_max_f32_e32 v10, v14, v14
	v_ashrrev_i32_e32 v7, 31, v6
	v_lshlrev_b64 v[6:7], 2, v[6:7]
	v_add_co_u32 v6, vcc_lo, s16, v6
	v_add_co_ci_u32_e64 v7, null, s17, v7, vcc_lo
	global_load_dwordx2 v[6:7], v[6:7], off
	s_waitcnt vmcnt(0)
	v_max_f32_e32 v9, v6, v6
	v_max_f32_e32 v11, v7, v7
	;; [unrolled: 1-line block ×4, first 2 shown]
	v_sub_f32_e32 v10, v13, v8
	v_sub_f32_e32 v11, v14, v9
	;; [unrolled: 1-line block ×4, first 2 shown]
	v_mul_f32_e32 v12, 0x3fb8aa3b, v10
	v_mul_f32_e32 v14, 0x3fb8aa3b, v11
	v_mul_f32_e32 v13, 0x3fb8aa3b, v6
	v_mul_f32_e32 v16, 0x3fb8aa3b, v7
	v_cmp_ngt_f32_e32 vcc_lo, 0xc2ce8ed0, v10
	v_fma_f32 v17, 0x3fb8aa3b, v10, -v12
	v_rndne_f32_e32 v18, v12
	v_fma_f32 v21, 0x3fb8aa3b, v11, -v14
	v_rndne_f32_e32 v22, v14
	v_fma_f32 v19, 0x3fb8aa3b, v6, -v13
	v_fmac_f32_e32 v17, 0x32a5705f, v10
	v_sub_f32_e32 v12, v12, v18
	v_rndne_f32_e32 v20, v13
	v_fmac_f32_e32 v21, 0x32a5705f, v11
	v_sub_f32_e32 v14, v14, v22
	v_fmac_f32_e32 v19, 0x32a5705f, v6
	v_add_f32_e32 v12, v12, v17
	v_sub_f32_e32 v13, v13, v20
	v_cvt_i32_f32_e32 v17, v18
	v_add_f32_e32 v14, v14, v21
	v_fma_f32 v23, 0x3fb8aa3b, v7, -v16
	v_exp_f32_e32 v12, v12
	v_add_f32_e32 v13, v13, v19
	v_rndne_f32_e32 v25, v16
	v_exp_f32_e32 v14, v14
	v_cvt_i32_f32_e32 v19, v22
	v_fmac_f32_e32 v23, 0x32a5705f, v7
	v_exp_f32_e32 v13, v13
	v_sub_f32_e32 v16, v16, v25
	v_cvt_i32_f32_e32 v18, v20
	v_cvt_i32_f32_e32 v20, v25
	v_ldexp_f32 v12, v12, v17
	v_mov_b32_e32 v21, 0x10001
	v_add_f32_e32 v16, v16, v23
	v_ldexp_f32 v14, v14, v19
	v_cndmask_b32_e32 v12, 0, v12, vcc_lo
	v_cmp_ngt_f32_e32 vcc_lo, 0xc2ce8ed0, v11
	v_ldexp_f32 v13, v13, v18
	v_exp_f32_e32 v16, v16
	v_cndmask_b32_e32 v14, 0, v14, vcc_lo
	v_cmp_ngt_f32_e32 vcc_lo, 0xc2ce8ed0, v6
	v_cndmask_b32_e32 v13, 0, v13, vcc_lo
	v_cmp_nlt_f32_e32 vcc_lo, 0x42b17218, v10
	v_ldexp_f32 v16, v16, v20
	v_cndmask_b32_e32 v10, 0x7f800000, v12, vcc_lo
	v_cmp_nlt_f32_e32 vcc_lo, 0x42b17218, v11
	v_cndmask_b32_e32 v11, 0x7f800000, v14, vcc_lo
	v_cmp_ngt_f32_e32 vcc_lo, 0xc2ce8ed0, v7
	v_cndmask_b32_e32 v12, 0, v16, vcc_lo
	v_cmp_nlt_f32_e32 vcc_lo, 0x42b17218, v6
	v_cvt_f16_f32_e32 v16, v11
	v_cndmask_b32_e32 v6, 0x7f800000, v13, vcc_lo
	v_cmp_nlt_f32_e32 vcc_lo, 0x42b17218, v7
	v_cvt_f16_f32_e32 v13, v10
	v_fmac_f32_e32 v6, v4, v10
	v_cndmask_b32_e32 v7, 0x7f800000, v12, vcc_lo
	v_mul_u32_u24_sdwa v10, v13, v21 dst_sel:DWORD dst_unused:UNUSED_PAD src0_sel:WORD_0 src1_sel:DWORD
	v_mov_b32_e32 v14, v9
	v_mov_b32_e32 v13, v8
	v_mul_u32_u24_sdwa v8, v16, v21 dst_sel:DWORD dst_unused:UNUSED_PAD src0_sel:WORD_0 src1_sel:DWORD
	v_fmac_f32_e32 v7, v5, v11
	v_mov_b32_e32 v4, v6
	v_pk_mul_f16 v24, v24, v10
	v_pk_mul_f16 v36, v36, v10
	;; [unrolled: 1-line block ×4, first 2 shown]
	v_mov_b32_e32 v5, v7
	s_mov_b32 s1, exec_lo
	v_cmpx_gt_i32_e64 s26, v3
	s_cbranch_execnz .LBB9_22
.LBB9_20:
	s_endpgm
.LBB9_21:
	v_mov_b32_e32 v7, v5
	v_mov_b32_e32 v6, v4
	s_mov_b32 s1, exec_lo
	v_cmpx_gt_i32_e64 s26, v3
	s_cbranch_execz .LBB9_20
.LBB9_22:
	s_load_dword s1, s[4:5], 0xd4
	v_mov_b32_e32 v9, 1.0
	s_waitcnt lgkmcnt(0)
	s_cmp_lg_u32 s1, 1
	s_cselect_b32 s3, -1, 0
	s_cmp_eq_u32 s1, 1
	s_cselect_b32 s2, -1, 0
	s_and_b32 vcc_lo, exec_lo, s3
	s_cbranch_vccnz .LBB9_24
; %bb.23:
	v_div_scale_f32 v8, null, v4, v4, 1.0
	v_rcp_f32_e32 v9, v8
	v_fma_f32 v10, -v8, v9, 1.0
	v_fmac_f32_e32 v9, v10, v9
	v_div_scale_f32 v10, vcc_lo, 1.0, v4, 1.0
	v_mul_f32_e32 v11, v10, v9
	v_fma_f32 v12, -v8, v11, v10
	v_fmac_f32_e32 v11, v12, v9
	v_fma_f32 v8, -v8, v11, v10
	v_div_fmas_f32 v8, v8, v9, v11
	v_div_fixup_f32 v9, v8, v4, 1.0
.LBB9_24:
	v_mad_u64_u32 v[3:4], null, s33, s26, v[3:4]
	v_mul_lo_u32 v3, v3, s27
	v_add3_u32 v3, s14, v15, v3
	v_mul_lo_u32 v8, s1, v3
	v_add_nc_u32_e32 v3, s7, v8
	s_and_saveexec_b32 s4, s0
	s_cbranch_execz .LBB9_26
; %bb.25:
	v_mad_u64_u32 v[10:11], null, 0x48, v3, v[2:3]
	v_mov_b32_e32 v11, 0
	v_cvt_f32_f16_sdwa v4, v36 dst_sel:DWORD dst_unused:UNUSED_PAD src0_sel:WORD_1
	v_cvt_f32_f16_e32 v17, v36
	v_cvt_f32_f16_sdwa v18, v24 dst_sel:DWORD dst_unused:UNUSED_PAD src0_sel:WORD_1
	v_cvt_f32_f16_e32 v19, v24
	v_mul_f32_e32 v12, v9, v4
	v_lshlrev_b64 v[15:16], 2, v[10:11]
	v_mul_f32_e32 v11, v9, v17
	v_mul_f32_e32 v10, v9, v18
	;; [unrolled: 1-line block ×3, first 2 shown]
	v_add_co_u32 v15, vcc_lo, s20, v15
	v_add_co_ci_u32_e64 v16, null, s21, v16, vcc_lo
	global_store_dwordx4 v[15:16], v[9:12], off
.LBB9_26:
	s_or_b32 exec_lo, exec_lo, s4
	v_cmp_eq_u32_e32 vcc_lo, 0, v0
	s_and_b32 s3, vcc_lo, s3
	s_and_saveexec_b32 s4, s3
	s_cbranch_execnz .LBB9_30
; %bb.27:
	s_or_b32 exec_lo, exec_lo, s4
	v_mov_b32_e32 v3, 1.0
	s_andn2_b32 vcc_lo, exec_lo, s2
	s_cbranch_vccz .LBB9_31
.LBB9_28:
	v_add3_u32 v0, s7, s1, v8
	s_and_saveexec_b32 s1, s0
	s_cbranch_execnz .LBB9_32
.LBB9_29:
	s_or_b32 exec_lo, exec_lo, s1
	s_and_b32 exec_lo, exec_lo, s3
	s_cbranch_execz .LBB9_20
	s_branch .LBB9_33
.LBB9_30:
	v_ashrrev_i32_e32 v4, 31, v3
	v_mov_b32_e32 v9, v13
	v_mov_b32_e32 v10, v6
	v_lshlrev_b64 v[3:4], 3, v[3:4]
	v_add_co_u32 v3, vcc_lo, s22, v3
	v_add_co_ci_u32_e64 v4, null, s23, v4, vcc_lo
	global_store_dwordx2 v[3:4], v[9:10], off
	s_or_b32 exec_lo, exec_lo, s4
	v_mov_b32_e32 v3, 1.0
	s_andn2_b32 vcc_lo, exec_lo, s2
	s_cbranch_vccnz .LBB9_28
.LBB9_31:
	v_div_scale_f32 v0, null, v5, v5, 1.0
	v_rcp_f32_e32 v3, v0
	v_fma_f32 v4, -v0, v3, 1.0
	v_fmac_f32_e32 v3, v4, v3
	v_div_scale_f32 v4, vcc_lo, 1.0, v5, 1.0
	v_mul_f32_e32 v6, v4, v3
	v_fma_f32 v9, -v0, v6, v4
	v_fmac_f32_e32 v6, v9, v3
	v_fma_f32 v0, -v0, v6, v4
	v_div_fmas_f32 v0, v0, v3, v6
	v_div_fixup_f32 v3, v0, v5, 1.0
	v_add3_u32 v0, s7, s1, v8
	s_and_saveexec_b32 s1, s0
	s_cbranch_execz .LBB9_29
.LBB9_32:
	v_mad_u64_u32 v[4:5], null, 0x48, v0, v[2:3]
	v_mov_b32_e32 v5, 0
	v_cvt_f32_f16_sdwa v2, v28 dst_sel:DWORD dst_unused:UNUSED_PAD src0_sel:WORD_1
	v_cvt_f32_f16_e32 v10, v28
	v_cvt_f32_f16_sdwa v11, v1 dst_sel:DWORD dst_unused:UNUSED_PAD src0_sel:WORD_1
	v_cvt_f32_f16_e32 v12, v1
	v_mul_f32_e32 v6, v3, v2
	v_lshlrev_b64 v[8:9], 2, v[4:5]
	v_mul_f32_e32 v5, v3, v10
	v_mul_f32_e32 v4, v3, v11
	;; [unrolled: 1-line block ×3, first 2 shown]
	v_add_co_u32 v1, vcc_lo, s20, v8
	v_add_co_ci_u32_e64 v2, null, s21, v9, vcc_lo
	global_store_dwordx4 v[1:2], v[3:6], off
	s_or_b32 exec_lo, exec_lo, s1
	s_and_b32 exec_lo, exec_lo, s3
	s_cbranch_execz .LBB9_20
.LBB9_33:
	v_ashrrev_i32_e32 v1, 31, v0
	v_mov_b32_e32 v6, v14
	v_lshlrev_b64 v[0:1], 3, v[0:1]
	v_add_co_u32 v0, vcc_lo, s22, v0
	v_add_co_ci_u32_e64 v1, null, s23, v1, vcc_lo
	global_store_dwordx2 v[0:1], v[6:7], off
	s_endpgm
	.section	.rodata,"a",@progbits
	.p2align	6, 0x0
	.amdhsa_kernel _ZL15flash_attn_tileILi72ELi72ELi2ELi8ELb0EEvPKcS1_S1_S1_S1_PKiPfP15HIP_vector_typeIfLj2EEffffjfiS5_IjLj3EEiiiiiiiiiiiliiliiiiil
		.amdhsa_group_segment_fixed_size 8672
		.amdhsa_private_segment_fixed_size 0
		.amdhsa_kernarg_size 464
		.amdhsa_user_sgpr_count 6
		.amdhsa_user_sgpr_private_segment_buffer 1
		.amdhsa_user_sgpr_dispatch_ptr 0
		.amdhsa_user_sgpr_queue_ptr 0
		.amdhsa_user_sgpr_kernarg_segment_ptr 1
		.amdhsa_user_sgpr_dispatch_id 0
		.amdhsa_user_sgpr_flat_scratch_init 0
		.amdhsa_user_sgpr_private_segment_size 0
		.amdhsa_wavefront_size32 1
		.amdhsa_uses_dynamic_stack 0
		.amdhsa_system_sgpr_private_segment_wavefront_offset 0
		.amdhsa_system_sgpr_workgroup_id_x 1
		.amdhsa_system_sgpr_workgroup_id_y 1
		.amdhsa_system_sgpr_workgroup_id_z 1
		.amdhsa_system_sgpr_workgroup_info 0
		.amdhsa_system_vgpr_workitem_id 1
		.amdhsa_next_free_vgpr 128
		.amdhsa_next_free_sgpr 41
		.amdhsa_reserve_vcc 1
		.amdhsa_reserve_flat_scratch 0
		.amdhsa_float_round_mode_32 0
		.amdhsa_float_round_mode_16_64 0
		.amdhsa_float_denorm_mode_32 3
		.amdhsa_float_denorm_mode_16_64 3
		.amdhsa_dx10_clamp 1
		.amdhsa_ieee_mode 1
		.amdhsa_fp16_overflow 0
		.amdhsa_workgroup_processor_mode 1
		.amdhsa_memory_ordered 1
		.amdhsa_forward_progress 1
		.amdhsa_shared_vgpr_count 0
		.amdhsa_exception_fp_ieee_invalid_op 0
		.amdhsa_exception_fp_denorm_src 0
		.amdhsa_exception_fp_ieee_div_zero 0
		.amdhsa_exception_fp_ieee_overflow 0
		.amdhsa_exception_fp_ieee_underflow 0
		.amdhsa_exception_fp_ieee_inexact 0
		.amdhsa_exception_int_div_zero 0
	.end_amdhsa_kernel
	.section	.text._ZL15flash_attn_tileILi72ELi72ELi2ELi8ELb0EEvPKcS1_S1_S1_S1_PKiPfP15HIP_vector_typeIfLj2EEffffjfiS5_IjLj3EEiiiiiiiiiiiliiliiiiil,"axG",@progbits,_ZL15flash_attn_tileILi72ELi72ELi2ELi8ELb0EEvPKcS1_S1_S1_S1_PKiPfP15HIP_vector_typeIfLj2EEffffjfiS5_IjLj3EEiiiiiiiiiiiliiliiiiil,comdat
.Lfunc_end9:
	.size	_ZL15flash_attn_tileILi72ELi72ELi2ELi8ELb0EEvPKcS1_S1_S1_S1_PKiPfP15HIP_vector_typeIfLj2EEffffjfiS5_IjLj3EEiiiiiiiiiiiliiliiiiil, .Lfunc_end9-_ZL15flash_attn_tileILi72ELi72ELi2ELi8ELb0EEvPKcS1_S1_S1_S1_PKiPfP15HIP_vector_typeIfLj2EEffffjfiS5_IjLj3EEiiiiiiiiiiiliiliiiiil
                                        ; -- End function
	.set _ZL15flash_attn_tileILi72ELi72ELi2ELi8ELb0EEvPKcS1_S1_S1_S1_PKiPfP15HIP_vector_typeIfLj2EEffffjfiS5_IjLj3EEiiiiiiiiiiiliiliiiiil.num_vgpr, 128
	.set _ZL15flash_attn_tileILi72ELi72ELi2ELi8ELb0EEvPKcS1_S1_S1_S1_PKiPfP15HIP_vector_typeIfLj2EEffffjfiS5_IjLj3EEiiiiiiiiiiiliiliiiiil.num_agpr, 0
	.set _ZL15flash_attn_tileILi72ELi72ELi2ELi8ELb0EEvPKcS1_S1_S1_S1_PKiPfP15HIP_vector_typeIfLj2EEffffjfiS5_IjLj3EEiiiiiiiiiiiliiliiiiil.numbered_sgpr, 41
	.set _ZL15flash_attn_tileILi72ELi72ELi2ELi8ELb0EEvPKcS1_S1_S1_S1_PKiPfP15HIP_vector_typeIfLj2EEffffjfiS5_IjLj3EEiiiiiiiiiiiliiliiiiil.num_named_barrier, 0
	.set _ZL15flash_attn_tileILi72ELi72ELi2ELi8ELb0EEvPKcS1_S1_S1_S1_PKiPfP15HIP_vector_typeIfLj2EEffffjfiS5_IjLj3EEiiiiiiiiiiiliiliiiiil.private_seg_size, 0
	.set _ZL15flash_attn_tileILi72ELi72ELi2ELi8ELb0EEvPKcS1_S1_S1_S1_PKiPfP15HIP_vector_typeIfLj2EEffffjfiS5_IjLj3EEiiiiiiiiiiiliiliiiiil.uses_vcc, 1
	.set _ZL15flash_attn_tileILi72ELi72ELi2ELi8ELb0EEvPKcS1_S1_S1_S1_PKiPfP15HIP_vector_typeIfLj2EEffffjfiS5_IjLj3EEiiiiiiiiiiiliiliiiiil.uses_flat_scratch, 0
	.set _ZL15flash_attn_tileILi72ELi72ELi2ELi8ELb0EEvPKcS1_S1_S1_S1_PKiPfP15HIP_vector_typeIfLj2EEffffjfiS5_IjLj3EEiiiiiiiiiiiliiliiiiil.has_dyn_sized_stack, 0
	.set _ZL15flash_attn_tileILi72ELi72ELi2ELi8ELb0EEvPKcS1_S1_S1_S1_PKiPfP15HIP_vector_typeIfLj2EEffffjfiS5_IjLj3EEiiiiiiiiiiiliiliiiiil.has_recursion, 0
	.set _ZL15flash_attn_tileILi72ELi72ELi2ELi8ELb0EEvPKcS1_S1_S1_S1_PKiPfP15HIP_vector_typeIfLj2EEffffjfiS5_IjLj3EEiiiiiiiiiiiliiliiiiil.has_indirect_call, 0
	.section	.AMDGPU.csdata,"",@progbits
; Kernel info:
; codeLenInByte = 7904
; TotalNumSgprs: 43
; NumVgprs: 128
; ScratchSize: 0
; MemoryBound: 0
; FloatMode: 240
; IeeeMode: 1
; LDSByteSize: 8672 bytes/workgroup (compile time only)
; SGPRBlocks: 0
; VGPRBlocks: 15
; NumSGPRsForWavesPerEU: 43
; NumVGPRsForWavesPerEU: 128
; Occupancy: 8
; WaveLimiterHint : 1
; COMPUTE_PGM_RSRC2:SCRATCH_EN: 0
; COMPUTE_PGM_RSRC2:USER_SGPR: 6
; COMPUTE_PGM_RSRC2:TRAP_HANDLER: 0
; COMPUTE_PGM_RSRC2:TGID_X_EN: 1
; COMPUTE_PGM_RSRC2:TGID_Y_EN: 1
; COMPUTE_PGM_RSRC2:TGID_Z_EN: 1
; COMPUTE_PGM_RSRC2:TIDIG_COMP_CNT: 1
	.section	.text._ZL25flash_attn_mask_to_KV_maxILi2EEvPK7__half2Piiii,"axG",@progbits,_ZL25flash_attn_mask_to_KV_maxILi2EEvPK7__half2Piiii,comdat
	.globl	_ZL25flash_attn_mask_to_KV_maxILi2EEvPK7__half2Piiii ; -- Begin function _ZL25flash_attn_mask_to_KV_maxILi2EEvPK7__half2Piiii
	.p2align	8
	.type	_ZL25flash_attn_mask_to_KV_maxILi2EEvPK7__half2Piiii,@function
_ZL25flash_attn_mask_to_KV_maxILi2EEvPK7__half2Piiii: ; @_ZL25flash_attn_mask_to_KV_maxILi2EEvPK7__half2Piiii
; %bb.0:
	s_load_dwordx4 s[8:11], s[4:5], 0x0
	s_mov_b32 s0, exec_lo
	v_cmpx_gt_u32_e32 32, v0
; %bb.1:
	v_lshlrev_b32_e32 v1, 2, v0
	v_mov_b32_e32 v2, 1
	ds_write_b32 v1, v2
; %bb.2:
	s_or_b32 exec_lo, exec_lo, s0
	s_clause 0x1
	s_load_dwordx4 s[12:15], s[4:5], 0x10
	s_load_dword s1, s[4:5], 0x20
	v_and_b32_e32 v1, 31, v0
	v_lshrrev_b32_e32 v3, 3, v0
	v_mov_b32_e32 v2, 0
	v_mov_b32_e32 v4, 0x204
	s_waitcnt lgkmcnt(0)
	v_lshlrev_b32_e32 v5, 2, v1
	s_barrier
	buffer_gl0_inv
	s_mul_i32 s0, s6, s13
	s_mul_i32 s2, s14, s7
	s_lshl_b32 s0, s0, 1
	s_add_i32 s2, s2, s0
	v_cmp_eq_u32_e64 s0, 0, v1
	s_ashr_i32 s3, s2, 31
	s_lshl_b64 s[4:5], s[2:3], 2
	s_add_u32 s3, s8, s4
	s_addc_u32 s4, s9, s5
	s_lshl_b32 s5, s12, 8
	s_branch .LBB10_4
.LBB10_3:                               ;   in Loop: Header=BB10_4 Depth=1
	s_or_b32 exec_lo, exec_lo, s8
	s_waitcnt lgkmcnt(0)
	s_barrier
	buffer_gl0_inv
	ds_read_b32 v1, v5
	s_waitcnt lgkmcnt(0)
	s_barrier
	buffer_gl0_inv
	v_cmp_ne_u32_e32 vcc_lo, 0, v1
	s_cmp_lg_u32 vcc_lo, exec_lo
	s_cselect_b32 s8, -1, 0
	s_and_b32 vcc_lo, exec_lo, s8
	s_cbranch_vccnz .LBB10_12
.LBB10_4:                               ; =>This Inner Loop Header: Depth=1
	s_mov_b32 s2, s5
	s_addk_i32 s5, 0xff00
	s_cmp_lt_i32 s5, 0
	s_cbranch_scc1 .LBB10_11
; %bb.5:                                ;   in Loop: Header=BB10_4 Depth=1
	s_lshr_b32 s8, s5, 1
	v_add_nc_u32_e32 v1, s8, v0
	v_lshlrev_b64 v[6:7], 2, v[1:2]
	v_add_co_u32 v6, vcc_lo, s3, v6
	v_add_co_ci_u32_e64 v7, null, s4, v7, vcc_lo
	global_load_dword v6, v[6:7], off
	s_waitcnt vmcnt(0)
	v_cmp_class_f16_e64 s8, v6, 0x204
	v_cmp_class_f16_sdwa s9, v6, v4 src0_sel:WORD_1 src1_sel:DWORD
	s_and_b32 s12, s8, s9
	s_mov_b32 s9, 0
	s_and_saveexec_b32 s8, s12
	s_cbranch_execz .LBB10_9
; %bb.6:                                ;   in Loop: Header=BB10_4 Depth=1
	v_add_nc_u32_e32 v6, s13, v1
	v_ashrrev_i32_e32 v7, 31, v6
	v_lshlrev_b64 v[6:7], 2, v[6:7]
	v_add_co_u32 v6, vcc_lo, s3, v6
	v_add_co_ci_u32_e64 v7, null, s4, v7, vcc_lo
	global_load_dword v1, v[6:7], off
	s_waitcnt vmcnt(0)
	v_cmp_class_f16_e64 s14, v1, 0x204
	s_and_saveexec_b32 s12, s14
; %bb.7:                                ;   in Loop: Header=BB10_4 Depth=1
	v_cmp_class_f16_sdwa s9, v1, v4 src0_sel:WORD_1 src1_sel:DWORD
	s_and_b32 s9, s9, exec_lo
; %bb.8:                                ;   in Loop: Header=BB10_4 Depth=1
	s_or_b32 exec_lo, exec_lo, s12
	s_and_b32 s9, s9, exec_lo
.LBB10_9:                               ;   in Loop: Header=BB10_4 Depth=1
	s_or_b32 exec_lo, exec_lo, s8
	v_cndmask_b32_e64 v1, 0, 1, s9
	s_mov_b32 s12, exec_lo
	v_cmp_ne_u32_e32 vcc_lo, 0, v1
	s_and_saveexec_b32 s8, s0
	s_cbranch_execz .LBB10_3
; %bb.10:                               ;   in Loop: Header=BB10_4 Depth=1
	s_cmp_eq_u32 vcc_lo, s12
	s_cselect_b32 s9, -1, 0
	v_cndmask_b32_e64 v1, 0, 1, s9
	ds_write_b32 v3, v1
	s_branch .LBB10_3
.LBB10_11:                              ;   in Loop: Header=BB10_4 Depth=1
	s_cbranch_execz .LBB10_4
.LBB10_12:
	s_mov_b32 s0, exec_lo
	v_cmpx_eq_u32_e32 0, v0
	s_cbranch_execz .LBB10_14
; %bb.13:
	s_mul_i32 s0, s1, s7
	v_mov_b32_e32 v0, 0
	s_add_i32 s0, s0, s6
	v_mov_b32_e32 v1, s2
	s_ashr_i32 s1, s0, 31
	s_lshl_b64 s[0:1], s[0:1], 2
	s_add_u32 s0, s10, s0
	s_addc_u32 s1, s11, s1
	global_store_dword v0, v1, s[0:1]
.LBB10_14:
	s_endpgm
	.section	.rodata,"a",@progbits
	.p2align	6, 0x0
	.amdhsa_kernel _ZL25flash_attn_mask_to_KV_maxILi2EEvPK7__half2Piiii
		.amdhsa_group_segment_fixed_size 128
		.amdhsa_private_segment_fixed_size 0
		.amdhsa_kernarg_size 288
		.amdhsa_user_sgpr_count 6
		.amdhsa_user_sgpr_private_segment_buffer 1
		.amdhsa_user_sgpr_dispatch_ptr 0
		.amdhsa_user_sgpr_queue_ptr 0
		.amdhsa_user_sgpr_kernarg_segment_ptr 1
		.amdhsa_user_sgpr_dispatch_id 0
		.amdhsa_user_sgpr_flat_scratch_init 0
		.amdhsa_user_sgpr_private_segment_size 0
		.amdhsa_wavefront_size32 1
		.amdhsa_uses_dynamic_stack 0
		.amdhsa_system_sgpr_private_segment_wavefront_offset 0
		.amdhsa_system_sgpr_workgroup_id_x 1
		.amdhsa_system_sgpr_workgroup_id_y 1
		.amdhsa_system_sgpr_workgroup_id_z 0
		.amdhsa_system_sgpr_workgroup_info 0
		.amdhsa_system_vgpr_workitem_id 0
		.amdhsa_next_free_vgpr 8
		.amdhsa_next_free_sgpr 16
		.amdhsa_reserve_vcc 1
		.amdhsa_reserve_flat_scratch 0
		.amdhsa_float_round_mode_32 0
		.amdhsa_float_round_mode_16_64 0
		.amdhsa_float_denorm_mode_32 3
		.amdhsa_float_denorm_mode_16_64 3
		.amdhsa_dx10_clamp 1
		.amdhsa_ieee_mode 1
		.amdhsa_fp16_overflow 0
		.amdhsa_workgroup_processor_mode 1
		.amdhsa_memory_ordered 1
		.amdhsa_forward_progress 1
		.amdhsa_shared_vgpr_count 0
		.amdhsa_exception_fp_ieee_invalid_op 0
		.amdhsa_exception_fp_denorm_src 0
		.amdhsa_exception_fp_ieee_div_zero 0
		.amdhsa_exception_fp_ieee_overflow 0
		.amdhsa_exception_fp_ieee_underflow 0
		.amdhsa_exception_fp_ieee_inexact 0
		.amdhsa_exception_int_div_zero 0
	.end_amdhsa_kernel
	.section	.text._ZL25flash_attn_mask_to_KV_maxILi2EEvPK7__half2Piiii,"axG",@progbits,_ZL25flash_attn_mask_to_KV_maxILi2EEvPK7__half2Piiii,comdat
.Lfunc_end10:
	.size	_ZL25flash_attn_mask_to_KV_maxILi2EEvPK7__half2Piiii, .Lfunc_end10-_ZL25flash_attn_mask_to_KV_maxILi2EEvPK7__half2Piiii
                                        ; -- End function
	.set _ZL25flash_attn_mask_to_KV_maxILi2EEvPK7__half2Piiii.num_vgpr, 8
	.set _ZL25flash_attn_mask_to_KV_maxILi2EEvPK7__half2Piiii.num_agpr, 0
	.set _ZL25flash_attn_mask_to_KV_maxILi2EEvPK7__half2Piiii.numbered_sgpr, 16
	.set _ZL25flash_attn_mask_to_KV_maxILi2EEvPK7__half2Piiii.num_named_barrier, 0
	.set _ZL25flash_attn_mask_to_KV_maxILi2EEvPK7__half2Piiii.private_seg_size, 0
	.set _ZL25flash_attn_mask_to_KV_maxILi2EEvPK7__half2Piiii.uses_vcc, 1
	.set _ZL25flash_attn_mask_to_KV_maxILi2EEvPK7__half2Piiii.uses_flat_scratch, 0
	.set _ZL25flash_attn_mask_to_KV_maxILi2EEvPK7__half2Piiii.has_dyn_sized_stack, 0
	.set _ZL25flash_attn_mask_to_KV_maxILi2EEvPK7__half2Piiii.has_recursion, 0
	.set _ZL25flash_attn_mask_to_KV_maxILi2EEvPK7__half2Piiii.has_indirect_call, 0
	.section	.AMDGPU.csdata,"",@progbits
; Kernel info:
; codeLenInByte = 500
; TotalNumSgprs: 18
; NumVgprs: 8
; ScratchSize: 0
; MemoryBound: 0
; FloatMode: 240
; IeeeMode: 1
; LDSByteSize: 128 bytes/workgroup (compile time only)
; SGPRBlocks: 0
; VGPRBlocks: 0
; NumSGPRsForWavesPerEU: 18
; NumVGPRsForWavesPerEU: 8
; Occupancy: 16
; WaveLimiterHint : 0
; COMPUTE_PGM_RSRC2:SCRATCH_EN: 0
; COMPUTE_PGM_RSRC2:USER_SGPR: 6
; COMPUTE_PGM_RSRC2:TRAP_HANDLER: 0
; COMPUTE_PGM_RSRC2:TGID_X_EN: 1
; COMPUTE_PGM_RSRC2:TGID_Y_EN: 1
; COMPUTE_PGM_RSRC2:TGID_Z_EN: 0
; COMPUTE_PGM_RSRC2:TIDIG_COMP_CNT: 0
	.section	.text._ZL33flash_attn_stream_k_fixup_uniformILi72ELi2ELi8EEvPfPK15HIP_vector_typeIfLj2EEiiiiiiS1_IjLj3EES5_S5_,"axG",@progbits,_ZL33flash_attn_stream_k_fixup_uniformILi72ELi2ELi8EEvPfPK15HIP_vector_typeIfLj2EEiiiiiiS1_IjLj3EES5_S5_,comdat
	.globl	_ZL33flash_attn_stream_k_fixup_uniformILi72ELi2ELi8EEvPfPK15HIP_vector_typeIfLj2EEiiiiiiS1_IjLj3EES5_S5_ ; -- Begin function _ZL33flash_attn_stream_k_fixup_uniformILi72ELi2ELi8EEvPfPK15HIP_vector_typeIfLj2EEiiiiiiS1_IjLj3EES5_S5_
	.p2align	8
	.type	_ZL33flash_attn_stream_k_fixup_uniformILi72ELi2ELi8EEvPfPK15HIP_vector_typeIfLj2EEiiiiiiS1_IjLj3EES5_S5_,@function
_ZL33flash_attn_stream_k_fixup_uniformILi72ELi2ELi8EEvPfPK15HIP_vector_typeIfLj2EEiiiiiiS1_IjLj3EES5_S5_: ; @_ZL33flash_attn_stream_k_fixup_uniformILi72ELi2ELi8EEvPfPK15HIP_vector_typeIfLj2EEiiiiiiS1_IjLj3EES5_S5_
; %bb.0:
	s_clause 0x2
	s_load_dwordx8 s[12:19], s[4:5], 0x1c
	s_load_dwordx4 s[20:23], s[4:5], 0x3c
	s_load_dwordx2 s[10:11], s[4:5], 0x10
	s_waitcnt lgkmcnt(0)
	s_mul_hi_u32 s0, s15, s6
	s_add_i32 s0, s6, s0
	s_lshr_b32 s0, s0, s16
	s_mul_i32 s1, s0, s17
	s_sub_i32 s1, s6, s1
	s_mul_hi_u32 s2, s1, s18
	s_add_i32 s2, s1, s2
	s_lshr_b32 s9, s2, s19
	s_mul_i32 s2, s9, s20
	s_sub_i32 s1, s1, s2
	s_mul_hi_u32 s2, s1, s21
	s_add_i32 s2, s1, s2
	s_lshr_b32 s2, s2, s22
	s_mul_i32 s3, s2, s23
	s_lshl_b32 s16, s2, 3
	s_sub_i32 s15, s1, s3
	s_lshl_b32 s1, s15, 1
	s_add_i32 s1, s1, s7
	s_cmp_lt_i32 s1, s10
	s_cselect_b32 s1, -1, 0
	s_add_i32 s16, s16, s8
	s_cmp_lt_i32 s16, s13
	s_cselect_b32 s2, -1, 0
	s_and_b32 s1, s1, s2
	s_andn2_b32 vcc_lo, exec_lo, s1
	s_cbranch_vccnz .LBB11_6
; %bb.1:
	s_mul_i32 s10, s0, s10
	s_load_dwordx4 s[0:3], s[4:5], 0x0
	s_add_i32 s4, s10, s7
	s_mul_i32 s9, s9, s13
	s_mul_i32 s4, s4, s11
	s_add_i32 s5, s16, s9
	s_mul_i32 s9, s11, s15
	s_add_i32 s4, s5, s4
	s_mulk_i32 s9, 0x90
	s_mulk_i32 s4, 0x48
	s_lshl_b32 s10, s7, 3
	v_add3_u32 v1, s4, s9, v0
	s_mul_i32 s4, s14, s6
	s_add_i32 s11, s4, s14
	v_ashrrev_i32_e32 v2, 31, v1
	v_lshlrev_b64 v[1:2], 2, v[1:2]
	s_waitcnt lgkmcnt(0)
	v_add_co_u32 v1, vcc_lo, s0, v1
	v_add_co_ci_u32_e64 v2, null, s1, v2, vcc_lo
	s_add_i32 s0, s10, s8
	s_lshl_b32 s1, s11, 4
	global_load_dword v5, v[1:2], off
	s_add_i32 s0, s0, s1
	s_add_i32 s0, s0, -16
	s_ashr_i32 s1, s0, 31
	s_lshl_b64 s[0:1], s[0:1], 3
	s_add_u32 s0, s2, s0
	s_addc_u32 s1, s3, s1
	s_add_i32 s5, s11, -2
	s_load_dword s13, s[0:1], 0x4
	s_cmp_lt_i32 s5, s4
	s_cbranch_scc1 .LBB11_4
; %bb.2:
	s_load_dword s15, s[0:1], 0x0
	s_lshl_b32 s16, s12, 6
	s_mulk_i32 s7, 0x240
	s_ashr_i32 s17, s16, 31
	s_waitcnt lgkmcnt(0)
	v_mov_b32_e32 v6, s13
	s_lshl_b64 s[0:1], s[16:17], 2
	s_add_u32 s5, s2, s0
	s_addc_u32 s9, s3, s1
	s_add_i32 s6, s6, 1
	s_mul_i32 s0, s14, s6
	s_mul_i32 s6, s8, 0x48
	s_lshl_b32 s1, s0, 4
	s_mulk_i32 s0, 0x480
	s_add_i32 s6, s6, s7
	s_add_i32 s1, s8, s1
	s_lshl_b32 s7, s12, 4
	s_add_i32 s6, s6, s0
	s_add_i32 s0, s1, s7
	v_add3_u32 v3, s6, v0, 0xfffff700
	v_mov_b32_e32 v0, s15
	s_add_i32 s0, s0, s10
	s_add_i32 s6, s11, -1
	s_sub_i32 s0, s0, 32
.LBB11_3:                               ; =>This Inner Loop Header: Depth=1
	v_ashrrev_i32_e32 v4, 31, v3
	s_ashr_i32 s1, s0, 31
	s_lshl_b64 s[10:11], s[0:1], 3
	s_add_u32 s10, s2, s10
	v_lshlrev_b64 v[7:8], 2, v[3:4]
	s_addc_u32 s11, s3, s11
	v_add_nc_u32_e32 v3, 0xfffffb80, v3
	s_add_i32 s6, s6, -1
	s_add_i32 s0, s0, -16
	s_cmp_le_i32 s6, s4
	v_add_co_u32 v7, vcc_lo, s5, v7
	v_add_co_ci_u32_e64 v8, null, s9, v8, vcc_lo
	s_load_dwordx2 s[10:11], s[10:11], 0x0
	global_load_dword v4, v[7:8], off
	v_max_f32_e32 v7, v0, v0
	s_waitcnt lgkmcnt(0)
	v_max_f32_e64 v8, s10, s10
	v_max_f32_e32 v7, v7, v8
	v_sub_f32_e32 v8, s10, v7
	v_sub_f32_e32 v0, v0, v7
	v_mul_f32_e32 v9, 0x3fb8aa3b, v8
	v_mul_f32_e32 v12, 0x3fb8aa3b, v0
	v_cmp_ngt_f32_e32 vcc_lo, 0xc2ce8ed0, v8
	v_fma_f32 v10, 0x3fb8aa3b, v8, -v9
	v_rndne_f32_e32 v11, v9
	v_fma_f32 v13, 0x3fb8aa3b, v0, -v12
	v_rndne_f32_e32 v14, v12
	v_fmac_f32_e32 v10, 0x32a5705f, v8
	v_sub_f32_e32 v9, v9, v11
	v_fmac_f32_e32 v13, 0x32a5705f, v0
	v_cvt_i32_f32_e32 v11, v11
	v_add_f32_e32 v9, v9, v10
	v_sub_f32_e32 v10, v12, v14
	v_exp_f32_e32 v9, v9
	v_add_f32_e32 v10, v10, v13
	v_exp_f32_e32 v10, v10
	v_ldexp_f32 v9, v9, v11
	v_cvt_i32_f32_e32 v11, v14
	v_cndmask_b32_e32 v9, 0, v9, vcc_lo
	v_cmp_nlt_f32_e32 vcc_lo, 0x42b17218, v8
	v_ldexp_f32 v10, v10, v11
	v_mov_b32_e32 v11, v6
	v_cndmask_b32_e32 v9, 0x7f800000, v9, vcc_lo
	v_cmp_ngt_f32_e32 vcc_lo, 0xc2ce8ed0, v0
	v_cndmask_b32_e32 v10, 0, v10, vcc_lo
	v_cmp_le_f32_e32 vcc_lo, 0xc1a00000, v8
	v_cndmask_b32_e32 v8, 0, v9, vcc_lo
	v_cmp_nlt_f32_e32 vcc_lo, 0x42b17218, v0
	s_waitcnt vmcnt(1)
	v_mov_b32_e32 v9, v5
	v_cndmask_b32_e32 v5, 0x7f800000, v10, vcc_lo
	v_mul_f32_e32 v10, s11, v8
	v_cmp_le_f32_e32 vcc_lo, 0xc1a00000, v0
	v_mov_b32_e32 v0, v7
	v_mov_b32_e32 v6, v10
	v_cndmask_b32_e32 v12, 0, v5, vcc_lo
	v_fmac_f32_e32 v6, v11, v12
	s_waitcnt vmcnt(0)
	v_mul_f32_e32 v5, v4, v8
	v_fmac_f32_e32 v5, v9, v12
	s_cbranch_scc0 .LBB11_3
	s_branch .LBB11_5
.LBB11_4:
	s_waitcnt lgkmcnt(0)
	v_mov_b32_e32 v6, s13
.LBB11_5:
	s_waitcnt vmcnt(0)
	v_div_scale_f32 v0, null, v6, v6, v5
	v_rcp_f32_e32 v3, v0
	v_fma_f32 v4, -v0, v3, 1.0
	v_fmac_f32_e32 v3, v4, v3
	v_div_scale_f32 v4, vcc_lo, v5, v6, v5
	v_mul_f32_e32 v7, v4, v3
	v_fma_f32 v8, -v0, v7, v4
	v_fmac_f32_e32 v7, v8, v3
	v_fma_f32 v0, -v0, v7, v4
	v_div_fmas_f32 v0, v0, v3, v7
	v_div_fixup_f32 v0, v0, v6, v5
	global_store_dword v[1:2], v0, off
.LBB11_6:
	s_endpgm
	.section	.rodata,"a",@progbits
	.p2align	6, 0x0
	.amdhsa_kernel _ZL33flash_attn_stream_k_fixup_uniformILi72ELi2ELi8EEvPfPK15HIP_vector_typeIfLj2EEiiiiiiS1_IjLj3EES5_S5_
		.amdhsa_group_segment_fixed_size 0
		.amdhsa_private_segment_fixed_size 0
		.amdhsa_kernarg_size 76
		.amdhsa_user_sgpr_count 6
		.amdhsa_user_sgpr_private_segment_buffer 1
		.amdhsa_user_sgpr_dispatch_ptr 0
		.amdhsa_user_sgpr_queue_ptr 0
		.amdhsa_user_sgpr_kernarg_segment_ptr 1
		.amdhsa_user_sgpr_dispatch_id 0
		.amdhsa_user_sgpr_flat_scratch_init 0
		.amdhsa_user_sgpr_private_segment_size 0
		.amdhsa_wavefront_size32 1
		.amdhsa_uses_dynamic_stack 0
		.amdhsa_system_sgpr_private_segment_wavefront_offset 0
		.amdhsa_system_sgpr_workgroup_id_x 1
		.amdhsa_system_sgpr_workgroup_id_y 1
		.amdhsa_system_sgpr_workgroup_id_z 1
		.amdhsa_system_sgpr_workgroup_info 0
		.amdhsa_system_vgpr_workitem_id 0
		.amdhsa_next_free_vgpr 15
		.amdhsa_next_free_sgpr 24
		.amdhsa_reserve_vcc 1
		.amdhsa_reserve_flat_scratch 0
		.amdhsa_float_round_mode_32 0
		.amdhsa_float_round_mode_16_64 0
		.amdhsa_float_denorm_mode_32 3
		.amdhsa_float_denorm_mode_16_64 3
		.amdhsa_dx10_clamp 1
		.amdhsa_ieee_mode 1
		.amdhsa_fp16_overflow 0
		.amdhsa_workgroup_processor_mode 1
		.amdhsa_memory_ordered 1
		.amdhsa_forward_progress 1
		.amdhsa_shared_vgpr_count 0
		.amdhsa_exception_fp_ieee_invalid_op 0
		.amdhsa_exception_fp_denorm_src 0
		.amdhsa_exception_fp_ieee_div_zero 0
		.amdhsa_exception_fp_ieee_overflow 0
		.amdhsa_exception_fp_ieee_underflow 0
		.amdhsa_exception_fp_ieee_inexact 0
		.amdhsa_exception_int_div_zero 0
	.end_amdhsa_kernel
	.section	.text._ZL33flash_attn_stream_k_fixup_uniformILi72ELi2ELi8EEvPfPK15HIP_vector_typeIfLj2EEiiiiiiS1_IjLj3EES5_S5_,"axG",@progbits,_ZL33flash_attn_stream_k_fixup_uniformILi72ELi2ELi8EEvPfPK15HIP_vector_typeIfLj2EEiiiiiiS1_IjLj3EES5_S5_,comdat
.Lfunc_end11:
	.size	_ZL33flash_attn_stream_k_fixup_uniformILi72ELi2ELi8EEvPfPK15HIP_vector_typeIfLj2EEiiiiiiS1_IjLj3EES5_S5_, .Lfunc_end11-_ZL33flash_attn_stream_k_fixup_uniformILi72ELi2ELi8EEvPfPK15HIP_vector_typeIfLj2EEiiiiiiS1_IjLj3EES5_S5_
                                        ; -- End function
	.set _ZL33flash_attn_stream_k_fixup_uniformILi72ELi2ELi8EEvPfPK15HIP_vector_typeIfLj2EEiiiiiiS1_IjLj3EES5_S5_.num_vgpr, 15
	.set _ZL33flash_attn_stream_k_fixup_uniformILi72ELi2ELi8EEvPfPK15HIP_vector_typeIfLj2EEiiiiiiS1_IjLj3EES5_S5_.num_agpr, 0
	.set _ZL33flash_attn_stream_k_fixup_uniformILi72ELi2ELi8EEvPfPK15HIP_vector_typeIfLj2EEiiiiiiS1_IjLj3EES5_S5_.numbered_sgpr, 24
	.set _ZL33flash_attn_stream_k_fixup_uniformILi72ELi2ELi8EEvPfPK15HIP_vector_typeIfLj2EEiiiiiiS1_IjLj3EES5_S5_.num_named_barrier, 0
	.set _ZL33flash_attn_stream_k_fixup_uniformILi72ELi2ELi8EEvPfPK15HIP_vector_typeIfLj2EEiiiiiiS1_IjLj3EES5_S5_.private_seg_size, 0
	.set _ZL33flash_attn_stream_k_fixup_uniformILi72ELi2ELi8EEvPfPK15HIP_vector_typeIfLj2EEiiiiiiS1_IjLj3EES5_S5_.uses_vcc, 1
	.set _ZL33flash_attn_stream_k_fixup_uniformILi72ELi2ELi8EEvPfPK15HIP_vector_typeIfLj2EEiiiiiiS1_IjLj3EES5_S5_.uses_flat_scratch, 0
	.set _ZL33flash_attn_stream_k_fixup_uniformILi72ELi2ELi8EEvPfPK15HIP_vector_typeIfLj2EEiiiiiiS1_IjLj3EES5_S5_.has_dyn_sized_stack, 0
	.set _ZL33flash_attn_stream_k_fixup_uniformILi72ELi2ELi8EEvPfPK15HIP_vector_typeIfLj2EEiiiiiiS1_IjLj3EES5_S5_.has_recursion, 0
	.set _ZL33flash_attn_stream_k_fixup_uniformILi72ELi2ELi8EEvPfPK15HIP_vector_typeIfLj2EEiiiiiiS1_IjLj3EES5_S5_.has_indirect_call, 0
	.section	.AMDGPU.csdata,"",@progbits
; Kernel info:
; codeLenInByte = 848
; TotalNumSgprs: 26
; NumVgprs: 15
; ScratchSize: 0
; MemoryBound: 0
; FloatMode: 240
; IeeeMode: 1
; LDSByteSize: 0 bytes/workgroup (compile time only)
; SGPRBlocks: 0
; VGPRBlocks: 1
; NumSGPRsForWavesPerEU: 26
; NumVGPRsForWavesPerEU: 15
; Occupancy: 16
; WaveLimiterHint : 0
; COMPUTE_PGM_RSRC2:SCRATCH_EN: 0
; COMPUTE_PGM_RSRC2:USER_SGPR: 6
; COMPUTE_PGM_RSRC2:TRAP_HANDLER: 0
; COMPUTE_PGM_RSRC2:TGID_X_EN: 1
; COMPUTE_PGM_RSRC2:TGID_Y_EN: 1
; COMPUTE_PGM_RSRC2:TGID_Z_EN: 1
; COMPUTE_PGM_RSRC2:TIDIG_COMP_CNT: 0
	.section	.text._ZL33flash_attn_stream_k_fixup_generalILi72ELi2ELi8EEvPfPK15HIP_vector_typeIfLj2EEiiiiS1_IjLj3EES5_S5_S5_,"axG",@progbits,_ZL33flash_attn_stream_k_fixup_generalILi72ELi2ELi8EEvPfPK15HIP_vector_typeIfLj2EEiiiiS1_IjLj3EES5_S5_S5_,comdat
	.globl	_ZL33flash_attn_stream_k_fixup_generalILi72ELi2ELi8EEvPfPK15HIP_vector_typeIfLj2EEiiiiS1_IjLj3EES5_S5_S5_ ; -- Begin function _ZL33flash_attn_stream_k_fixup_generalILi72ELi2ELi8EEvPfPK15HIP_vector_typeIfLj2EEiiiiS1_IjLj3EES5_S5_S5_
	.p2align	8
	.type	_ZL33flash_attn_stream_k_fixup_generalILi72ELi2ELi8EEvPfPK15HIP_vector_typeIfLj2EEiiiiS1_IjLj3EES5_S5_S5_,@function
_ZL33flash_attn_stream_k_fixup_generalILi72ELi2ELi8EEvPfPK15HIP_vector_typeIfLj2EEiiiiS1_IjLj3EES5_S5_S5_: ; @_ZL33flash_attn_stream_k_fixup_generalILi72ELi2ELi8EEvPfPK15HIP_vector_typeIfLj2EEiiiiS1_IjLj3EES5_S5_S5_
; %bb.0:
	s_clause 0x1
	s_load_dwordx4 s[0:3], s[4:5], 0x10
	s_load_dword s9, s[4:5], 0x50
	s_mov_b32 s16, 0
	s_waitcnt lgkmcnt(0)
	s_mul_hi_i32 s17, s3, s6
	s_mul_i32 s18, s3, s6
	s_cmp_lg_u64 s[16:17], 0
	s_cbranch_scc0 .LBB12_21
; %bb.1:
	s_add_u32 s10, s9, 0
	s_addc_u32 s11, 0, 0
	s_xor_b64 s[10:11], s[10:11], 0
	v_cvt_f32_u32_e32 v1, s10
	v_cvt_f32_u32_e32 v2, s11
	s_sub_u32 s14, 0, s10
	s_subb_u32 s15, 0, s11
	v_fmamk_f32 v1, v2, 0x4f800000, v1
	v_rcp_f32_e32 v1, v1
	v_mul_f32_e32 v1, 0x5f7ffffc, v1
	v_mul_f32_e32 v2, 0x2f800000, v1
	v_trunc_f32_e32 v2, v2
	v_fmamk_f32 v1, v2, 0xcf800000, v1
	v_cvt_u32_f32_e32 v2, v2
	v_cvt_u32_f32_e32 v1, v1
	v_readfirstlane_b32 s12, v2
	v_readfirstlane_b32 s13, v1
	s_mul_i32 s19, s14, s12
	s_mul_hi_u32 s21, s14, s13
	s_mul_i32 s20, s15, s13
	s_add_i32 s19, s21, s19
	s_mul_i32 s22, s14, s13
	s_add_i32 s19, s19, s20
	s_mul_hi_u32 s21, s13, s22
	s_mul_i32 s24, s13, s19
	s_mul_hi_u32 s23, s12, s22
	s_mul_i32 s20, s12, s22
	s_mul_hi_u32 s22, s13, s19
	s_add_u32 s21, s21, s24
	s_addc_u32 s22, 0, s22
	s_mul_hi_u32 s25, s12, s19
	s_add_u32 s20, s21, s20
	s_mul_i32 s19, s12, s19
	s_addc_u32 s20, s22, s23
	s_addc_u32 s21, s25, 0
	s_add_u32 s19, s20, s19
	s_addc_u32 s20, 0, s21
	s_add_u32 s13, s13, s19
	s_cselect_b32 s19, -1, 0
	s_mul_hi_u32 s21, s14, s13
	s_cmp_lg_u32 s19, 0
	s_mul_i32 s19, s14, s13
	s_addc_u32 s12, s12, s20
	s_mul_i32 s15, s15, s13
	s_mul_i32 s14, s14, s12
	s_mul_hi_u32 s20, s13, s19
	s_add_i32 s14, s21, s14
	s_mul_hi_u32 s21, s12, s19
	s_add_i32 s14, s14, s15
	s_mul_i32 s15, s12, s19
	s_mul_i32 s23, s13, s14
	s_mul_hi_u32 s22, s13, s14
	s_add_u32 s20, s20, s23
	s_addc_u32 s22, 0, s22
	s_mul_hi_u32 s19, s12, s14
	s_add_u32 s15, s20, s15
	s_mul_i32 s14, s12, s14
	s_addc_u32 s15, s22, s21
	s_addc_u32 s19, s19, 0
	s_add_u32 s14, s15, s14
	s_addc_u32 s15, 0, s19
	s_add_u32 s19, s13, s14
	s_cselect_b32 s13, -1, 0
	s_cmp_lg_u32 s13, 0
	s_addc_u32 s20, s12, s15
	s_ashr_i32 s12, s17, 31
	s_add_u32 s14, s18, s12
	s_mov_b32 s13, s12
	s_addc_u32 s15, s17, s12
	s_xor_b64 s[14:15], s[14:15], s[12:13]
	s_mul_i32 s21, s14, s20
	s_mul_hi_u32 s22, s14, s19
	s_mul_hi_u32 s17, s14, s20
	;; [unrolled: 1-line block ×3, first 2 shown]
	s_mul_i32 s19, s15, s19
	s_add_u32 s21, s22, s21
	s_addc_u32 s17, 0, s17
	s_mul_hi_u32 s23, s15, s20
	s_add_u32 s19, s21, s19
	s_mul_i32 s20, s15, s20
	s_addc_u32 s17, s17, s24
	s_addc_u32 s19, s23, 0
	s_add_u32 s17, s17, s20
	s_addc_u32 s19, 0, s19
	s_mul_hi_u32 s20, s10, s17
	s_mul_i32 s21, s10, s19
	s_mul_i32 s22, s11, s17
	s_add_i32 s20, s20, s21
	s_mul_i32 s21, s10, s17
	s_add_i32 s20, s20, s22
	s_sub_i32 s22, s15, s20
	s_sub_u32 s14, s14, s21
	s_cselect_b32 s21, -1, 0
	s_cmp_lg_u32 s21, 0
	s_subb_u32 s22, s22, s11
	s_sub_u32 s23, s14, s10
	s_cselect_b32 s24, -1, 0
	s_cmp_lg_u32 s24, 0
	s_subb_u32 s22, s22, 0
	s_cmp_ge_u32 s22, s11
	s_cselect_b32 s24, -1, 0
	s_cmp_ge_u32 s23, s10
	s_cselect_b32 s23, -1, 0
	s_cmp_eq_u32 s22, s11
	s_cselect_b32 s22, s23, s24
	s_add_u32 s23, s17, 1
	s_addc_u32 s24, s19, 0
	s_add_u32 s25, s17, 2
	s_addc_u32 s26, s19, 0
	s_cmp_lg_u32 s22, 0
	s_cselect_b32 s22, s25, s23
	s_cselect_b32 s23, s26, s24
	s_cmp_lg_u32 s21, 0
	s_subb_u32 s15, s15, s20
	s_cmp_ge_u32 s15, s11
	s_cselect_b32 s20, -1, 0
	s_cmp_ge_u32 s14, s10
	s_cselect_b32 s10, -1, 0
	s_cmp_eq_u32 s15, s11
	s_cselect_b32 s10, s10, s20
	s_cmp_lg_u32 s10, 0
	s_cselect_b32 s11, s23, s19
	s_cselect_b32 s10, s22, s17
	s_xor_b64 s[12:13], s[12:13], 0
	s_xor_b64 s[10:11], s[10:11], s[12:13]
	s_sub_u32 s10, s10, s12
	s_load_dwordx4 s[12:15], s[4:5], 0x44
	s_andn2_b32 vcc_lo, exec_lo, s16
	s_cbranch_vccnz .LBB12_3
.LBB12_2:
	v_cvt_f32_u32_e32 v1, s9
	s_sub_i32 s11, 0, s9
	v_rcp_iflag_f32_e32 v1, v1
	v_mul_f32_e32 v1, 0x4f7ffffe, v1
	v_cvt_u32_f32_e32 v1, v1
	v_readfirstlane_b32 s10, v1
	s_mul_i32 s11, s11, s10
	s_mul_hi_u32 s11, s10, s11
	s_add_i32 s10, s10, s11
	s_mul_hi_u32 s10, s18, s10
	s_mul_i32 s11, s10, s9
	s_waitcnt lgkmcnt(0)
	s_add_i32 s15, s10, 1
	s_sub_i32 s11, s18, s11
	s_sub_i32 s16, s11, s9
	s_cmp_ge_u32 s11, s9
	s_cselect_b32 s10, s15, s10
	s_cselect_b32 s11, s16, s11
	s_add_i32 s15, s10, 1
	s_cmp_ge_u32 s11, s9
	s_cselect_b32 s10, s15, s10
.LBB12_3:
	s_add_i32 s11, s6, 1
	s_mov_b32 s16, 0
	s_mul_hi_i32 s17, s3, s11
	s_mul_i32 s11, s3, s11
	s_cmp_lg_u64 s[16:17], 0
	s_cbranch_scc0 .LBB12_22
; %bb.4:
	s_add_u32 s18, s9, 0
	s_addc_u32 s19, 0, 0
	s_xor_b64 s[18:19], s[18:19], 0
	v_cvt_f32_u32_e32 v1, s18
	v_cvt_f32_u32_e32 v2, s19
	s_sub_u32 s21, 0, s18
	s_subb_u32 s22, 0, s19
	v_fmamk_f32 v1, v2, 0x4f800000, v1
	v_rcp_f32_e32 v1, v1
	v_mul_f32_e32 v1, 0x5f7ffffc, v1
	v_mul_f32_e32 v2, 0x2f800000, v1
	v_trunc_f32_e32 v2, v2
	v_fmamk_f32 v1, v2, 0xcf800000, v1
	v_cvt_u32_f32_e32 v2, v2
	v_cvt_u32_f32_e32 v1, v1
	s_waitcnt lgkmcnt(0)
	v_readfirstlane_b32 s15, v2
	v_readfirstlane_b32 s20, v1
	s_mul_i32 s23, s21, s15
	s_mul_hi_u32 s25, s21, s20
	s_mul_i32 s24, s22, s20
	s_add_i32 s23, s25, s23
	s_mul_i32 s26, s21, s20
	s_add_i32 s23, s23, s24
	s_mul_hi_u32 s25, s20, s26
	s_mul_i32 s28, s20, s23
	s_mul_hi_u32 s27, s15, s26
	s_mul_i32 s24, s15, s26
	s_mul_hi_u32 s26, s20, s23
	s_add_u32 s25, s25, s28
	s_addc_u32 s26, 0, s26
	s_mul_hi_u32 s29, s15, s23
	s_add_u32 s24, s25, s24
	s_mul_i32 s23, s15, s23
	s_addc_u32 s24, s26, s27
	s_addc_u32 s25, s29, 0
	s_add_u32 s23, s24, s23
	s_addc_u32 s24, 0, s25
	s_add_u32 s20, s20, s23
	s_cselect_b32 s23, -1, 0
	s_mul_hi_u32 s25, s21, s20
	s_cmp_lg_u32 s23, 0
	s_mul_i32 s23, s21, s20
	s_addc_u32 s15, s15, s24
	s_mul_i32 s22, s22, s20
	s_mul_i32 s21, s21, s15
	s_mul_hi_u32 s24, s20, s23
	s_add_i32 s21, s25, s21
	s_mul_hi_u32 s25, s15, s23
	s_add_i32 s21, s21, s22
	s_mul_i32 s22, s15, s23
	s_mul_i32 s27, s20, s21
	s_mul_hi_u32 s26, s20, s21
	s_add_u32 s24, s24, s27
	s_addc_u32 s26, 0, s26
	s_mul_hi_u32 s23, s15, s21
	s_add_u32 s22, s24, s22
	s_mul_i32 s21, s15, s21
	s_addc_u32 s22, s26, s25
	s_addc_u32 s23, s23, 0
	s_add_u32 s21, s22, s21
	s_addc_u32 s22, 0, s23
	s_add_u32 s24, s20, s21
	s_cselect_b32 s20, -1, 0
	s_cmp_lg_u32 s20, 0
	s_addc_u32 s15, s15, s22
	s_ashr_i32 s20, s17, 31
	s_add_u32 s22, s11, s20
	s_mov_b32 s21, s20
	s_addc_u32 s23, s17, s20
	s_xor_b64 s[22:23], s[22:23], s[20:21]
	s_mul_i32 s25, s22, s15
	s_mul_hi_u32 s26, s22, s24
	s_mul_hi_u32 s17, s22, s15
	s_mul_hi_u32 s28, s23, s24
	s_mul_i32 s24, s23, s24
	s_add_u32 s25, s26, s25
	s_addc_u32 s17, 0, s17
	s_mul_hi_u32 s27, s23, s15
	s_add_u32 s24, s25, s24
	s_mul_i32 s15, s23, s15
	s_addc_u32 s17, s17, s28
	s_addc_u32 s24, s27, 0
	s_add_u32 s15, s17, s15
	s_addc_u32 s17, 0, s24
	s_mul_hi_u32 s24, s18, s15
	s_mul_i32 s25, s18, s17
	s_mul_i32 s26, s19, s15
	s_add_i32 s24, s24, s25
	s_mul_i32 s25, s18, s15
	s_add_i32 s24, s24, s26
	s_sub_i32 s26, s23, s24
	s_sub_u32 s22, s22, s25
	s_cselect_b32 s25, -1, 0
	s_cmp_lg_u32 s25, 0
	s_subb_u32 s26, s26, s19
	s_sub_u32 s27, s22, s18
	s_cselect_b32 s28, -1, 0
	s_cmp_lg_u32 s28, 0
	s_subb_u32 s26, s26, 0
	s_cmp_ge_u32 s26, s19
	s_cselect_b32 s28, -1, 0
	s_cmp_ge_u32 s27, s18
	s_cselect_b32 s27, -1, 0
	s_cmp_eq_u32 s26, s19
	s_cselect_b32 s26, s27, s28
	s_add_u32 s27, s15, 1
	s_addc_u32 s28, s17, 0
	s_add_u32 s29, s15, 2
	s_addc_u32 s30, s17, 0
	s_cmp_lg_u32 s26, 0
	s_cselect_b32 s26, s29, s27
	s_cselect_b32 s27, s30, s28
	s_cmp_lg_u32 s25, 0
	s_subb_u32 s23, s23, s24
	s_cmp_ge_u32 s23, s19
	s_cselect_b32 s24, -1, 0
	s_cmp_ge_u32 s22, s18
	s_cselect_b32 s18, -1, 0
	s_cmp_eq_u32 s23, s19
	s_cselect_b32 s18, s18, s24
	s_cmp_lg_u32 s18, 0
	s_cselect_b32 s19, s27, s17
	s_cselect_b32 s18, s26, s15
	s_xor_b64 s[20:21], s[20:21], 0
	s_xor_b64 s[18:19], s[18:19], s[20:21]
	s_sub_u32 s18, s18, s20
	s_andn2_b32 vcc_lo, exec_lo, s16
	s_cbranch_vccnz .LBB12_6
.LBB12_5:
	v_cvt_f32_u32_e32 v1, s9
	s_sub_i32 s16, 0, s9
	v_rcp_iflag_f32_e32 v1, v1
	v_mul_f32_e32 v1, 0x4f7ffffe, v1
	v_cvt_u32_f32_e32 v1, v1
	s_waitcnt lgkmcnt(0)
	v_readfirstlane_b32 s15, v1
	s_mul_i32 s16, s16, s15
	s_mul_hi_u32 s16, s15, s16
	s_add_i32 s15, s15, s16
	s_mul_hi_u32 s15, s11, s15
	s_mul_i32 s16, s15, s9
	s_sub_i32 s11, s11, s16
	s_add_i32 s16, s15, 1
	s_sub_i32 s17, s11, s9
	s_cmp_ge_u32 s11, s9
	s_cselect_b32 s15, s16, s15
	s_cselect_b32 s11, s17, s11
	s_add_i32 s16, s15, 1
	s_cmp_ge_u32 s11, s9
	s_cselect_b32 s18, s16, s15
.LBB12_6:
	s_cmp_eq_u32 s10, s18
	s_waitcnt lgkmcnt(0)
	s_mul_hi_u32 s11, s10, s12
	s_cselect_b32 s15, -1, 0
	s_add_i32 s11, s11, s10
	s_lshr_b32 s11, s11, s13
	s_mul_i32 s16, s11, s14
	s_cmp_eq_u32 s16, s10
	s_mul_hi_u32 s16, s18, s12
	s_cselect_b32 s17, -1, 0
	s_add_i32 s16, s16, s18
	s_lshr_b32 s16, s16, s13
	s_cmp_eq_u32 s11, s16
	s_mul_i32 s16, s16, s14
	s_cselect_b32 s19, -1, 0
	s_cmp_lg_u32 s16, s18
	s_cselect_b32 s16, -1, 0
	s_or_b32 s15, s15, s17
	s_and_b32 s16, s19, s16
	s_or_b32 s15, s15, s16
	s_and_b32 vcc_lo, exec_lo, s15
	s_cbranch_vccnz .LBB12_24
; %bb.7:
	s_clause 0x1
	s_load_dwordx8 s[20:27], s[4:5], 0x20
	s_load_dword s16, s[4:5], 0x40
	s_waitcnt lgkmcnt(0)
	s_mul_hi_u32 s15, s10, s20
	s_add_i32 s15, s15, s10
	s_lshr_b32 s15, s15, s21
	s_mul_i32 s17, s15, s22
	s_sub_i32 s17, s10, s17
	s_mul_hi_u32 s18, s17, s23
	s_add_i32 s18, s17, s18
	s_lshr_b32 s21, s18, s24
	s_mul_i32 s18, s21, s25
	s_sub_i32 s17, s17, s18
	s_mul_hi_u32 s18, s17, s26
	s_add_i32 s18, s17, s18
	s_lshr_b32 s18, s18, s27
	s_mul_i32 s16, s18, s16
	s_lshl_b32 s22, s18, 3
	s_sub_i32 s16, s17, s16
	s_mul_hi_u32 s17, s16, s12
	s_add_i32 s16, s16, s17
	s_lshr_b32 s20, s16, s13
	s_lshl_b32 s16, s20, 1
	s_add_i32 s16, s16, s7
	s_cmp_lt_i32 s16, s0
	s_cselect_b32 s16, -1, 0
	s_add_i32 s22, s22, s8
	s_cmp_lt_i32 s22, s2
	s_cselect_b32 s17, -1, 0
	s_and_b32 s16, s16, s17
	s_andn2_b32 vcc_lo, exec_lo, s16
	s_cbranch_vccnz .LBB12_24
; %bb.8:
	s_load_dwordx4 s[16:19], s[4:5], 0x0
	s_mov_b32 s4, 0
	s_lshl_b32 s24, s9, 6
	s_mov_b32 s25, s4
	s_lshl_b32 s5, s7, 3
	s_lshl_b64 s[24:25], s[24:25], 2
	s_mul_i32 s21, s21, s2
	s_mul_i32 s0, s15, s0
	s_add_i32 s2, s5, s8
	v_cvt_f32_u32_e32 v3, s9
	v_rcp_iflag_f32_e32 v3, v3
	s_waitcnt lgkmcnt(0)
	s_add_u32 s8, s18, s24
	s_addc_u32 s15, s19, s25
	s_add_i32 s0, s0, s7
	s_add_i32 s5, s22, s21
	s_mul_i32 s0, s0, s1
	s_mul_i32 s1, s1, s20
	s_add_i32 s0, s5, s0
	s_mulk_i32 s1, 0x90
	s_mulk_i32 s0, 0x48
	v_mul_f32_e32 v7, 0x4f7ffffe, v3
	v_add3_u32 v1, s1, s0, v0
	s_lshl_b32 s0, s6, 4
	s_add_i32 s0, s2, s0
	v_ashrrev_i32_e32 v2, 31, v1
	s_ashr_i32 s1, s0, 31
	s_lshl_b64 s[0:1], s[0:1], 3
	v_lshlrev_b64 v[1:2], 2, v[1:2]
	s_add_u32 s0, s18, s0
	s_addc_u32 s1, s19, s1
	s_load_dwordx2 s[0:1], s[0:1], 0x0
	v_add_co_u32 v1, vcc_lo, s16, v1
	v_add_co_ci_u32_e64 v2, null, s17, v2, vcc_lo
	s_add_i32 s17, s6, -1
	v_mad_u64_u32 v[3:4], null, 0x48, s2, v[0:1]
	global_load_dword v5, v[1:2], off
	v_cvt_u32_f32_e32 v0, v7
	s_sub_i32 s16, 0, s9
	s_waitcnt lgkmcnt(0)
	v_mov_b32_e32 v4, s1
	v_mov_b32_e32 v6, s0
.LBB12_9:                               ; =>This Inner Loop Header: Depth=1
	s_mul_hi_i32 s5, s17, s3
	s_mul_i32 s6, s17, s3
	s_cmp_lg_u64 s[4:5], 0
	s_mov_b32 s7, -1
                                        ; implicit-def: $sgpr0_sgpr1
	s_cbranch_scc0 .LBB12_11
; %bb.10:                               ;   in Loop: Header=BB12_9 Depth=1
	s_add_u32 s0, s9, 0
	s_addc_u32 s1, 0, 0
	s_xor_b64 s[0:1], s[0:1], 0
	v_cvt_f32_u32_e32 v7, s0
	v_cvt_f32_u32_e32 v8, s1
	s_sub_u32 s21, 0, s0
	s_subb_u32 s22, 0, s1
	v_fmac_f32_e32 v7, 0x4f800000, v8
	v_rcp_f32_e32 v7, v7
	v_mul_f32_e32 v7, 0x5f7ffffc, v7
	v_mul_f32_e32 v8, 0x2f800000, v7
	v_trunc_f32_e32 v8, v8
	v_fmac_f32_e32 v7, 0xcf800000, v8
	v_cvt_u32_f32_e32 v8, v8
	v_cvt_u32_f32_e32 v7, v7
	v_readfirstlane_b32 s7, v8
	v_readfirstlane_b32 s20, v7
	s_mul_i32 s23, s21, s7
	s_mul_hi_u32 s25, s21, s20
	s_mul_i32 s24, s22, s20
	s_add_i32 s23, s25, s23
	s_mul_i32 s26, s21, s20
	s_add_i32 s23, s23, s24
	s_mul_hi_u32 s25, s20, s26
	s_mul_i32 s28, s20, s23
	s_mul_hi_u32 s27, s7, s26
	s_mul_i32 s24, s7, s26
	s_mul_hi_u32 s26, s20, s23
	s_add_u32 s25, s25, s28
	s_addc_u32 s26, 0, s26
	s_mul_hi_u32 s29, s7, s23
	s_add_u32 s24, s25, s24
	s_mul_i32 s23, s7, s23
	s_addc_u32 s24, s26, s27
	s_addc_u32 s25, s29, 0
	s_add_u32 s23, s24, s23
	s_addc_u32 s24, 0, s25
	s_add_u32 s20, s20, s23
	s_cselect_b32 s23, -1, 0
	s_mul_hi_u32 s25, s21, s20
	s_cmp_lg_u32 s23, 0
	s_mul_i32 s23, s21, s20
	s_addc_u32 s7, s7, s24
	s_mul_i32 s22, s22, s20
	s_mul_i32 s21, s21, s7
	s_mul_hi_u32 s24, s20, s23
	s_add_i32 s21, s25, s21
	s_mul_hi_u32 s25, s7, s23
	s_add_i32 s21, s21, s22
	s_mul_i32 s22, s7, s23
	s_mul_i32 s27, s20, s21
	s_mul_hi_u32 s26, s20, s21
	s_add_u32 s24, s24, s27
	s_addc_u32 s26, 0, s26
	s_mul_hi_u32 s23, s7, s21
	s_add_u32 s22, s24, s22
	s_mul_i32 s21, s7, s21
	s_addc_u32 s22, s26, s25
	s_addc_u32 s23, s23, 0
	s_add_u32 s21, s22, s21
	s_addc_u32 s22, 0, s23
	s_add_u32 s24, s20, s21
	s_cselect_b32 s20, -1, 0
	s_cmp_lg_u32 s20, 0
	s_addc_u32 s7, s7, s22
	s_ashr_i32 s20, s5, 31
	s_add_u32 s22, s6, s20
	s_mov_b32 s21, s20
	s_addc_u32 s23, s5, s20
	s_xor_b64 s[22:23], s[22:23], s[20:21]
	s_mul_i32 s25, s22, s7
	s_mul_hi_u32 s26, s22, s24
	s_mul_hi_u32 s5, s22, s7
	s_mul_hi_u32 s28, s23, s24
	s_mul_i32 s24, s23, s24
	s_add_u32 s25, s26, s25
	s_addc_u32 s5, 0, s5
	s_mul_hi_u32 s27, s23, s7
	s_add_u32 s24, s25, s24
	s_mul_i32 s7, s23, s7
	s_addc_u32 s5, s5, s28
	s_addc_u32 s24, s27, 0
	s_add_u32 s5, s5, s7
	s_addc_u32 s7, 0, s24
	s_mul_hi_u32 s24, s0, s5
	s_mul_i32 s25, s0, s7
	s_mul_i32 s26, s1, s5
	s_add_i32 s24, s24, s25
	s_mul_i32 s25, s0, s5
	s_add_i32 s24, s24, s26
	s_sub_i32 s26, s23, s24
	s_sub_u32 s22, s22, s25
	s_cselect_b32 s25, -1, 0
	s_cmp_lg_u32 s25, 0
	s_subb_u32 s26, s26, s1
	s_sub_u32 s27, s22, s0
	s_cselect_b32 s28, -1, 0
	s_cmp_lg_u32 s28, 0
	s_subb_u32 s26, s26, 0
	s_cmp_ge_u32 s26, s1
	s_cselect_b32 s28, -1, 0
	s_cmp_ge_u32 s27, s0
	s_cselect_b32 s27, -1, 0
	s_cmp_eq_u32 s26, s1
	s_cselect_b32 s26, s27, s28
	s_add_u32 s27, s5, 1
	s_addc_u32 s28, s7, 0
	s_add_u32 s29, s5, 2
	s_addc_u32 s30, s7, 0
	s_cmp_lg_u32 s26, 0
	s_cselect_b32 s26, s29, s27
	s_cselect_b32 s27, s30, s28
	s_cmp_lg_u32 s25, 0
	s_subb_u32 s23, s23, s24
	s_cmp_ge_u32 s23, s1
	s_cselect_b32 s24, -1, 0
	s_cmp_ge_u32 s22, s0
	s_cselect_b32 s0, -1, 0
	s_cmp_eq_u32 s23, s1
	s_cselect_b32 s0, s0, s24
	s_cmp_lg_u32 s0, 0
	s_cselect_b32 s1, s27, s7
	s_cselect_b32 s0, s26, s5
	s_xor_b64 s[20:21], s[20:21], 0
	s_mov_b32 s7, 0
	s_xor_b64 s[0:1], s[0:1], s[20:21]
	s_sub_u32 s0, s0, s20
.LBB12_11:                              ;   in Loop: Header=BB12_9 Depth=1
	s_andn2_b32 vcc_lo, exec_lo, s7
	s_cbranch_vccnz .LBB12_13
; %bb.12:                               ;   in Loop: Header=BB12_9 Depth=1
	v_readfirstlane_b32 s0, v0
	s_mul_i32 s1, s16, s0
	s_mul_hi_u32 s1, s0, s1
	s_add_i32 s0, s0, s1
	s_mul_hi_u32 s0, s6, s0
	s_mul_i32 s1, s0, s9
	s_add_i32 s5, s0, 1
	s_sub_i32 s1, s6, s1
	s_sub_i32 s6, s1, s9
	s_cmp_ge_u32 s1, s9
	s_cselect_b32 s0, s5, s0
	s_cselect_b32 s1, s6, s1
	s_add_i32 s5, s0, 1
	s_cmp_ge_u32 s1, s9
	s_cselect_b32 s0, s5, s0
.LBB12_13:                              ;   in Loop: Header=BB12_9 Depth=1
	s_cmp_lg_u32 s10, s0
	s_mov_b32 s6, -1
                                        ; implicit-def: $sgpr5
                                        ; implicit-def: $vgpr8
                                        ; implicit-def: $vgpr7
                                        ; implicit-def: $vgpr9
                                        ; implicit-def: $sgpr1
                                        ; implicit-def: $sgpr20
	s_cbranch_scc0 .LBB12_18
; %bb.14:                               ;   in Loop: Header=BB12_9 Depth=1
	s_add_i32 s1, s17, s9
	s_mov_b32 s7, s4
	s_lshl_b32 s1, s1, 4
	s_mov_b32 s20, s10
	s_add_i32 s6, s1, s2
	s_mul_hi_u32 s1, s0, s12
	s_lshl_b64 s[6:7], s[6:7], 3
	s_add_u32 s6, s18, s6
	s_addc_u32 s7, s19, s7
	s_add_i32 s1, s1, s0
	s_lshr_b32 s1, s1, s13
	s_mul_i32 s5, s1, s14
	s_cmp_eq_u32 s5, s0
	s_cselect_b32 s5, -1, 0
	s_cmp_lt_u32 s1, s11
	s_cselect_b32 s1, -1, 0
	s_or_b32 s1, s1, s5
	s_mov_b32 s5, -1
	s_and_b32 vcc_lo, exec_lo, s1
	s_mov_b32 s1, s17
	s_cbranch_vccnz .LBB12_16
; %bb.15:                               ;   in Loop: Header=BB12_9 Depth=1
	s_add_i32 s1, s17, -1
	s_mov_b32 s5, 0
	s_mov_b32 s20, s0
.LBB12_16:                              ;   in Loop: Header=BB12_9 Depth=1
	v_mad_u64_u32 v[7:8], null, 0x480, s17, v[3:4]
	s_load_dwordx2 s[6:7], s[6:7], 0x0
	v_ashrrev_i32_e32 v8, 31, v7
	v_lshlrev_b64 v[7:8], 2, v[7:8]
	v_add_co_u32 v7, vcc_lo, s8, v7
	v_add_co_ci_u32_e64 v8, null, s15, v8, vcc_lo
	s_waitcnt lgkmcnt(0)
	v_max_f32_e64 v9, s6, s6
	global_load_dword v8, v[7:8], off
	v_max_f32_e32 v7, v6, v6
	v_max_f32_e32 v7, v7, v9
	v_sub_f32_e32 v9, s6, v7
	v_sub_f32_e32 v10, v6, v7
	v_mul_f32_e32 v11, 0x3fb8aa3b, v9
	v_mul_f32_e32 v12, 0x3fb8aa3b, v10
	v_cmp_ngt_f32_e32 vcc_lo, 0xc2ce8ed0, v9
	v_fma_f32 v13, 0x3fb8aa3b, v9, -v11
	v_rndne_f32_e32 v14, v11
	v_fma_f32 v15, 0x3fb8aa3b, v10, -v12
	v_rndne_f32_e32 v16, v12
	v_fmac_f32_e32 v13, 0x32a5705f, v9
	v_sub_f32_e32 v11, v11, v14
	v_fmac_f32_e32 v15, 0x32a5705f, v10
	v_sub_f32_e32 v12, v12, v16
	v_add_f32_e32 v11, v11, v13
	v_cvt_i32_f32_e32 v13, v14
	v_add_f32_e32 v12, v12, v15
	v_cvt_i32_f32_e32 v14, v16
	v_exp_f32_e32 v11, v11
	v_exp_f32_e32 v12, v12
	v_ldexp_f32 v11, v11, v13
	v_ldexp_f32 v12, v12, v14
	v_cndmask_b32_e32 v11, 0, v11, vcc_lo
	v_cmp_ngt_f32_e32 vcc_lo, 0xc2ce8ed0, v10
	v_cndmask_b32_e32 v12, 0, v12, vcc_lo
	v_cmp_nlt_f32_e32 vcc_lo, 0x42b17218, v9
	v_cndmask_b32_e32 v11, 0x7f800000, v11, vcc_lo
	v_cmp_nlt_f32_e32 vcc_lo, 0x42b17218, v10
	v_cndmask_b32_e32 v12, 0x7f800000, v12, vcc_lo
	v_cmp_le_f32_e32 vcc_lo, 0xc1a00000, v9
	v_cndmask_b32_e32 v9, 0, v11, vcc_lo
	v_cmp_le_f32_e32 vcc_lo, 0xc1a00000, v10
	v_cndmask_b32_e32 v10, 0, v12, vcc_lo
	s_waitcnt vmcnt(0)
	v_mul_f32_e32 v8, v8, v9
	v_mul_f32_e32 v9, s7, v9
	v_fmac_f32_e32 v8, v5, v10
	v_fmac_f32_e32 v9, v4, v10
	s_cbranch_execz .LBB12_19
.LBB12_17:                              ;   in Loop: Header=BB12_9 Depth=1
	s_andn2_b32 vcc_lo, exec_lo, s5
	s_cbranch_vccnz .LBB12_20
	s_branch .LBB12_23
.LBB12_18:                              ;   in Loop: Header=BB12_9 Depth=1
	s_andn2_b32 vcc_lo, exec_lo, s6
	s_cbranch_vccnz .LBB12_17
.LBB12_19:                              ;   in Loop: Header=BB12_9 Depth=1
	v_mov_b32_e32 v9, v4
	v_mov_b32_e32 v7, v6
	s_waitcnt vmcnt(0)
	v_mov_b32_e32 v8, v5
	s_add_i32 s1, s17, -1
	s_mov_b32 s20, s10
	s_cbranch_execz .LBB12_23
.LBB12_20:                              ;   in Loop: Header=BB12_9 Depth=1
	v_mov_b32_e32 v4, v9
	v_mov_b32_e32 v6, v7
	s_waitcnt vmcnt(0)
	v_mov_b32_e32 v5, v8
	s_mov_b32 s10, s20
	s_mov_b32 s17, s1
	s_branch .LBB12_9
.LBB12_21:
                                        ; implicit-def: $sgpr10_sgpr11
	s_load_dwordx4 s[12:15], s[4:5], 0x44
	s_branch .LBB12_2
.LBB12_22:
                                        ; implicit-def: $sgpr18_sgpr19
	s_branch .LBB12_5
.LBB12_23:
	v_div_scale_f32 v0, null, v9, v9, v8
	v_rcp_f32_e32 v3, v0
	v_fma_f32 v4, -v0, v3, 1.0
	v_fmac_f32_e32 v3, v4, v3
	v_div_scale_f32 v4, vcc_lo, v8, v9, v8
	s_waitcnt vmcnt(0)
	v_mul_f32_e32 v5, v4, v3
	v_fma_f32 v6, -v0, v5, v4
	v_fmac_f32_e32 v5, v6, v3
	v_fma_f32 v0, -v0, v5, v4
	v_div_fmas_f32 v0, v0, v3, v5
	v_div_fixup_f32 v0, v0, v9, v8
	global_store_dword v[1:2], v0, off
.LBB12_24:
	s_endpgm
	.section	.rodata,"a",@progbits
	.p2align	6, 0x0
	.amdhsa_kernel _ZL33flash_attn_stream_k_fixup_generalILi72ELi2ELi8EEvPfPK15HIP_vector_typeIfLj2EEiiiiS1_IjLj3EES5_S5_S5_
		.amdhsa_group_segment_fixed_size 0
		.amdhsa_private_segment_fixed_size 0
		.amdhsa_kernarg_size 336
		.amdhsa_user_sgpr_count 6
		.amdhsa_user_sgpr_private_segment_buffer 1
		.amdhsa_user_sgpr_dispatch_ptr 0
		.amdhsa_user_sgpr_queue_ptr 0
		.amdhsa_user_sgpr_kernarg_segment_ptr 1
		.amdhsa_user_sgpr_dispatch_id 0
		.amdhsa_user_sgpr_flat_scratch_init 0
		.amdhsa_user_sgpr_private_segment_size 0
		.amdhsa_wavefront_size32 1
		.amdhsa_uses_dynamic_stack 0
		.amdhsa_system_sgpr_private_segment_wavefront_offset 0
		.amdhsa_system_sgpr_workgroup_id_x 1
		.amdhsa_system_sgpr_workgroup_id_y 1
		.amdhsa_system_sgpr_workgroup_id_z 1
		.amdhsa_system_sgpr_workgroup_info 0
		.amdhsa_system_vgpr_workitem_id 0
		.amdhsa_next_free_vgpr 17
		.amdhsa_next_free_sgpr 31
		.amdhsa_reserve_vcc 1
		.amdhsa_reserve_flat_scratch 0
		.amdhsa_float_round_mode_32 0
		.amdhsa_float_round_mode_16_64 0
		.amdhsa_float_denorm_mode_32 3
		.amdhsa_float_denorm_mode_16_64 3
		.amdhsa_dx10_clamp 1
		.amdhsa_ieee_mode 1
		.amdhsa_fp16_overflow 0
		.amdhsa_workgroup_processor_mode 1
		.amdhsa_memory_ordered 1
		.amdhsa_forward_progress 1
		.amdhsa_shared_vgpr_count 0
		.amdhsa_exception_fp_ieee_invalid_op 0
		.amdhsa_exception_fp_denorm_src 0
		.amdhsa_exception_fp_ieee_div_zero 0
		.amdhsa_exception_fp_ieee_overflow 0
		.amdhsa_exception_fp_ieee_underflow 0
		.amdhsa_exception_fp_ieee_inexact 0
		.amdhsa_exception_int_div_zero 0
	.end_amdhsa_kernel
	.section	.text._ZL33flash_attn_stream_k_fixup_generalILi72ELi2ELi8EEvPfPK15HIP_vector_typeIfLj2EEiiiiS1_IjLj3EES5_S5_S5_,"axG",@progbits,_ZL33flash_attn_stream_k_fixup_generalILi72ELi2ELi8EEvPfPK15HIP_vector_typeIfLj2EEiiiiS1_IjLj3EES5_S5_S5_,comdat
.Lfunc_end12:
	.size	_ZL33flash_attn_stream_k_fixup_generalILi72ELi2ELi8EEvPfPK15HIP_vector_typeIfLj2EEiiiiS1_IjLj3EES5_S5_S5_, .Lfunc_end12-_ZL33flash_attn_stream_k_fixup_generalILi72ELi2ELi8EEvPfPK15HIP_vector_typeIfLj2EEiiiiS1_IjLj3EES5_S5_S5_
                                        ; -- End function
	.set _ZL33flash_attn_stream_k_fixup_generalILi72ELi2ELi8EEvPfPK15HIP_vector_typeIfLj2EEiiiiS1_IjLj3EES5_S5_S5_.num_vgpr, 17
	.set _ZL33flash_attn_stream_k_fixup_generalILi72ELi2ELi8EEvPfPK15HIP_vector_typeIfLj2EEiiiiS1_IjLj3EES5_S5_S5_.num_agpr, 0
	.set _ZL33flash_attn_stream_k_fixup_generalILi72ELi2ELi8EEvPfPK15HIP_vector_typeIfLj2EEiiiiS1_IjLj3EES5_S5_S5_.numbered_sgpr, 31
	.set _ZL33flash_attn_stream_k_fixup_generalILi72ELi2ELi8EEvPfPK15HIP_vector_typeIfLj2EEiiiiS1_IjLj3EES5_S5_S5_.num_named_barrier, 0
	.set _ZL33flash_attn_stream_k_fixup_generalILi72ELi2ELi8EEvPfPK15HIP_vector_typeIfLj2EEiiiiS1_IjLj3EES5_S5_S5_.private_seg_size, 0
	.set _ZL33flash_attn_stream_k_fixup_generalILi72ELi2ELi8EEvPfPK15HIP_vector_typeIfLj2EEiiiiS1_IjLj3EES5_S5_S5_.uses_vcc, 1
	.set _ZL33flash_attn_stream_k_fixup_generalILi72ELi2ELi8EEvPfPK15HIP_vector_typeIfLj2EEiiiiS1_IjLj3EES5_S5_S5_.uses_flat_scratch, 0
	.set _ZL33flash_attn_stream_k_fixup_generalILi72ELi2ELi8EEvPfPK15HIP_vector_typeIfLj2EEiiiiS1_IjLj3EES5_S5_S5_.has_dyn_sized_stack, 0
	.set _ZL33flash_attn_stream_k_fixup_generalILi72ELi2ELi8EEvPfPK15HIP_vector_typeIfLj2EEiiiiS1_IjLj3EES5_S5_S5_.has_recursion, 0
	.set _ZL33flash_attn_stream_k_fixup_generalILi72ELi2ELi8EEvPfPK15HIP_vector_typeIfLj2EEiiiiS1_IjLj3EES5_S5_S5_.has_indirect_call, 0
	.section	.AMDGPU.csdata,"",@progbits
; Kernel info:
; codeLenInByte = 2948
; TotalNumSgprs: 33
; NumVgprs: 17
; ScratchSize: 0
; MemoryBound: 0
; FloatMode: 240
; IeeeMode: 1
; LDSByteSize: 0 bytes/workgroup (compile time only)
; SGPRBlocks: 0
; VGPRBlocks: 2
; NumSGPRsForWavesPerEU: 33
; NumVGPRsForWavesPerEU: 17
; Occupancy: 16
; WaveLimiterHint : 0
; COMPUTE_PGM_RSRC2:SCRATCH_EN: 0
; COMPUTE_PGM_RSRC2:USER_SGPR: 6
; COMPUTE_PGM_RSRC2:TRAP_HANDLER: 0
; COMPUTE_PGM_RSRC2:TGID_X_EN: 1
; COMPUTE_PGM_RSRC2:TGID_Y_EN: 1
; COMPUTE_PGM_RSRC2:TGID_Z_EN: 1
; COMPUTE_PGM_RSRC2:TIDIG_COMP_CNT: 0
	.section	.text._ZL15flash_attn_tileILi72ELi72ELi1ELi8ELb0EEvPKcS1_S1_S1_S1_PKiPfP15HIP_vector_typeIfLj2EEffffjfiS5_IjLj3EEiiiiiiiiiiiliiliiiiil,"axG",@progbits,_ZL15flash_attn_tileILi72ELi72ELi1ELi8ELb0EEvPKcS1_S1_S1_S1_PKiPfP15HIP_vector_typeIfLj2EEffffjfiS5_IjLj3EEiiiiiiiiiiiliiliiiiil,comdat
	.globl	_ZL15flash_attn_tileILi72ELi72ELi1ELi8ELb0EEvPKcS1_S1_S1_S1_PKiPfP15HIP_vector_typeIfLj2EEffffjfiS5_IjLj3EEiiiiiiiiiiiliiliiiiil ; -- Begin function _ZL15flash_attn_tileILi72ELi72ELi1ELi8ELb0EEvPKcS1_S1_S1_S1_PKiPfP15HIP_vector_typeIfLj2EEffffjfiS5_IjLj3EEiiiiiiiiiiiliiliiiiil
	.p2align	8
	.type	_ZL15flash_attn_tileILi72ELi72ELi1ELi8ELb0EEvPKcS1_S1_S1_S1_PKiPfP15HIP_vector_typeIfLj2EEffffjfiS5_IjLj3EEiiiiiiiiiiiliiliiiiil,@function
_ZL15flash_attn_tileILi72ELi72ELi1ELi8ELb0EEvPKcS1_S1_S1_S1_PKiPfP15HIP_vector_typeIfLj2EEffffjfiS5_IjLj3EEiiiiiiiiiiiliiliiiiil: ; @_ZL15flash_attn_tileILi72ELi72ELi1ELi8ELb0EEvPKcS1_S1_S1_S1_PKiPfP15HIP_vector_typeIfLj2EEffffjfiS5_IjLj3EEiiiiiiiiiiiliiliiiiil
; %bb.0:
	s_clause 0x1
	s_load_dwordx4 s[24:27], s[4:5], 0x5c
	s_load_dwordx2 s[34:35], s[4:5], 0x80
	s_mov_b32 s2, s7
	s_mov_b64 s[36:37], 0
	s_waitcnt lgkmcnt(0)
	s_ashr_i32 s0, s27, 31
	s_lshr_b32 s0, s0, 29
	s_add_i32 s0, s27, s0
	s_ashr_i32 s0, s0, 3
	v_cvt_f32_u32_e32 v2, s0
	s_sub_i32 s3, 0, s0
	v_rcp_iflag_f32_e32 v2, v2
	v_mul_f32_e32 v2, 0x4f7ffffe, v2
	v_cvt_u32_f32_e32 v2, v2
	v_readfirstlane_b32 s1, v2
	s_mul_i32 s3, s3, s1
	s_mul_hi_u32 s3, s1, s3
	s_add_i32 s1, s1, s3
	s_mul_hi_u32 s1, s8, s1
	s_mul_i32 s3, s1, s0
	s_add_i32 s7, s1, 1
	s_sub_i32 s3, s8, s3
	s_sub_i32 s9, s3, s0
	s_cmp_ge_u32 s3, s0
	s_cselect_b32 s1, s7, s1
	s_cselect_b32 s3, s9, s3
	s_add_i32 s7, s1, 1
	s_cmp_ge_u32 s3, s0
	s_cselect_b32 s3, s7, s1
	s_abs_i32 s0, s35
	s_abs_i32 s9, s27
	v_cvt_f32_u32_e32 v2, s0
	s_sub_i32 s7, 0, s0
	s_mul_i32 s28, s3, s27
	v_rcp_iflag_f32_e32 v2, v2
	v_mul_f32_e32 v2, 0x4f7ffffe, v2
	v_cvt_u32_f32_e32 v2, v2
	v_readfirstlane_b32 s1, v2
	s_mul_i32 s7, s7, s1
	s_mul_hi_u32 s7, s1, s7
	s_add_i32 s1, s1, s7
	s_lshl_b32 s7, s8, 3
	s_mul_hi_u32 s1, s9, s1
	s_xor_b32 s8, s27, s35
	s_mul_i32 s10, s1, s0
	s_ashr_i32 s8, s8, 31
	s_sub_i32 s9, s9, s10
	s_add_i32 s10, s1, 1
	s_sub_i32 s11, s9, s0
	s_cmp_ge_u32 s9, s0
	s_cselect_b32 s1, s10, s1
	s_cselect_b32 s9, s11, s9
	s_add_i32 s10, s1, 1
	s_cmp_ge_u32 s9, s0
	s_cselect_b32 s0, s10, s1
	s_xor_b32 s0, s0, s8
	s_sub_i32 s35, s0, s8
	s_clause 0x1
	s_load_dwordx16 s[8:23], s[4:5], 0x0
	s_load_dwordx2 s[0:1], s[4:5], 0xb8
	s_abs_i32 s33, s35
	v_cvt_f32_u32_e32 v2, s33
	v_rcp_iflag_f32_e32 v2, v2
	v_mul_f32_e32 v2, 0x4f7ffffe, v2
	s_waitcnt lgkmcnt(0)
	s_cmp_eq_u64 s[14:15], 0
	v_cvt_u32_f32_e32 v2, v2
	v_readfirstlane_b32 s38, v2
	s_cbranch_scc1 .LBB13_2
; %bb.1:
	s_abs_i32 s0, s0
	s_abs_i32 s36, s3
	v_cvt_f32_u32_e32 v2, s0
	s_sub_i32 s30, 0, s0
	v_rcp_iflag_f32_e32 v2, v2
	v_mul_f32_e32 v2, 0x4f7ffffe, v2
	v_cvt_u32_f32_e32 v2, v2
	v_readfirstlane_b32 s29, v2
	s_mul_i32 s30, s30, s29
	s_mul_hi_u32 s30, s29, s30
	s_add_i32 s29, s29, s30
	s_load_dwordx2 s[30:31], s[4:5], 0xc8
	s_mul_hi_u32 s29, s36, s29
	s_mul_i32 s29, s29, s0
	s_sub_i32 s29, s36, s29
	s_ashr_i32 s36, s3, 31
	s_sub_i32 s37, s29, s0
	s_cmp_ge_u32 s29, s0
	s_cselect_b32 s29, s37, s29
	s_sub_i32 s37, s29, s0
	s_cmp_ge_u32 s29, s0
	s_cselect_b32 s0, s37, s29
	s_xor_b32 s0, s0, s36
	s_sub_i32 s0, s0, s36
	s_ashr_i32 s29, s0, 31
	s_waitcnt lgkmcnt(0)
	s_mul_hi_u32 s36, s30, s0
	s_mul_i32 s29, s30, s29
	s_mul_i32 s31, s31, s0
	s_add_i32 s29, s36, s29
	s_mul_i32 s0, s30, s0
	s_add_i32 s29, s29, s31
	s_add_u32 s36, s14, s0
	s_addc_u32 s37, s15, s29
.LBB13_2:
	s_movk_i32 s14, 0x90
	v_cmp_gt_u32_e64 s0, 18, v0
	v_mad_u32_u24 v13, v1, s14, 0x14e0
	v_lshlrev_b32_e32 v14, 3, v0
	v_and_b32_e32 v11, 7, v1
	v_lshrrev_b32_e32 v12, 3, v1
	s_sub_i32 s7, s7, s28
	s_and_saveexec_b32 s14, s0
	s_cbranch_execz .LBB13_4
; %bb.3:
	v_add_nc_u32_e32 v2, s6, v12
	s_load_dwordx4 s[28:31], s[4:5], 0x70
	v_mul_hi_u32 v3, s24, v2
	v_add_nc_u32_e32 v3, v2, v3
	v_lshrrev_b32_e32 v3, s25, v3
	s_waitcnt lgkmcnt(0)
	s_mul_i32 s15, s3, s30
	s_mul_i32 s31, s7, s29
	v_mul_lo_u32 v3, v3, s26
	s_ashr_i32 s39, s15, 31
	s_add_u32 s8, s8, s15
	s_addc_u32 s9, s9, s39
	s_ashr_i32 s15, s31, 31
	s_add_u32 s39, s8, s31
	s_mov_b32 s30, s29
	s_addc_u32 s15, s9, s15
	s_ashr_i32 s31, s29, 31
	v_sub_nc_u32_e32 v8, v2, v3
	s_ashr_i32 s29, s28, 31
	s_lshr_b64 s[8:9], s[30:31], 2
	v_mad_u64_u32 v[2:3], null, s8, v11, 0
	s_lshr_b64 s[8:9], s[28:29], 2
	v_mad_u64_u32 v[4:5], null, s8, v8, 0
	s_lshr_b32 s8, s31, 2
	v_mad_u64_u32 v[6:7], null, s8, v11, v[3:4]
	s_lshr_b32 s8, s29, 2
	v_mad_u64_u32 v[7:8], null, s8, v8, v[5:6]
	v_mov_b32_e32 v3, v6
	v_lshlrev_b32_e32 v6, 4, v0
	s_load_dword s8, s[4:5], 0x40
	v_lshlrev_b64 v[2:3], 2, v[2:3]
	v_mov_b32_e32 v5, v7
	v_lshlrev_b64 v[4:5], 2, v[4:5]
	v_add_co_u32 v2, vcc_lo, s39, v2
	v_add_co_ci_u32_e64 v3, null, s15, v3, vcc_lo
	v_add_co_u32 v2, vcc_lo, v2, v4
	v_add_co_ci_u32_e64 v3, null, v3, v5, vcc_lo
	;; [unrolled: 2-line block ×3, first 2 shown]
	v_add_nc_u32_e32 v6, v13, v14
	global_load_dwordx4 v[2:5], v[2:3], off
	s_waitcnt vmcnt(0) lgkmcnt(0)
	v_fma_mixlo_f16 v3, s8, v3, 0
	v_fma_mixlo_f16 v2, s8, v2, 0
	;; [unrolled: 1-line block ×4, first 2 shown]
	v_lshlrev_b32_e32 v3, 16, v3
	v_and_b32_e32 v2, 0xffff, v2
	v_and_b32_e32 v4, 0xffff, v4
	v_lshlrev_b32_e32 v5, 16, v5
	v_or_b32_e32 v2, v3, v2
	v_or3_b32 v3, v5, v4, 0
	v_or3_b32 v2, 0, 0, v2
	ds_write_b64 v6, v[2:3]
.LBB13_4:
	s_or_b32 exec_lo, exec_lo, s14
	s_cmp_eq_u64 s[18:19], 0
	s_waitcnt lgkmcnt(0)
	s_barrier
	buffer_gl0_inv
	s_cbranch_scc1 .LBB13_6
; %bb.5:
	s_load_dword s8, s[4:5], 0xd0
	s_mov_b32 s9, 0
	s_waitcnt lgkmcnt(0)
	s_mul_i32 s8, s8, s3
	s_add_i32 s8, s8, s6
	s_lshl_b64 s[8:9], s[8:9], 2
	s_add_u32 s8, s18, s8
	s_addc_u32 s9, s19, s9
	s_load_dword s34, s[8:9], 0x0
.LBB13_6:
	v_mbcnt_lo_u32_b32 v15, -1, 0
	s_lshl_b32 s14, s2, 5
	s_waitcnt lgkmcnt(0)
	s_cmp_lt_i32 s14, s34
	s_cbranch_scc1 .LBB13_9
; %bb.7:
	v_mbcnt_lo_u32_b32 v2, -1, 0
	v_mov_b32_e32 v16, 32
	v_xor_b32_e32 v21, 16, v2
	v_xor_b32_e32 v20, 8, v2
	;; [unrolled: 1-line block ×5, first 2 shown]
	s_cbranch_execz .LBB13_10
; %bb.8:
	v_mov_b32_e32 v35, 0
	v_mov_b32_e32 v38, 0
	;; [unrolled: 1-line block ×4, first 2 shown]
	s_branch .LBB13_18
.LBB13_9:
                                        ; implicit-def: $vgpr2
                                        ; implicit-def: $vgpr16
                                        ; implicit-def: $vgpr21
                                        ; implicit-def: $vgpr20
                                        ; implicit-def: $vgpr19
                                        ; implicit-def: $vgpr18
                                        ; implicit-def: $vgpr17
.LBB13_10:
	s_clause 0x1
	s_load_dwordx4 s[28:31], s[4:5], 0x98
	s_load_dwordx2 s[8:9], s[4:5], 0x8c
	v_add_nc_u32_e32 v2, s6, v12
	s_sub_i32 s15, 0, s33
	s_ashr_i32 s42, s3, 31
	s_mul_i32 s15, s15, s38
	s_abs_i32 s19, s7
	v_mul_hi_u32 v4, s24, v2
	s_mul_hi_u32 s15, s38, s15
	v_lshlrev_b32_e32 v5, 2, v0
	s_add_i32 s38, s38, s15
	s_ashr_i32 s39, s7, 31
	s_mul_hi_u32 s38, s19, s38
	s_ashr_i32 s35, s35, 31
	s_load_dwordx2 s[40:41], s[4:5], 0xa8
	v_add_nc_u32_e32 v4, v2, v4
	s_ashr_i32 s1, s1, 1
	s_mul_i32 s43, s38, s33
	v_and_b32_e32 v10, 28, v5
	v_lshrrev_b32_e32 v3, 3, v0
	s_waitcnt lgkmcnt(0)
	s_ashr_i32 s15, s30, 2
	s_ashr_i32 s18, s8, 2
	s_mul_hi_u32 s8, s28, s3
	s_mul_i32 s30, s28, s42
	s_mul_i32 s29, s29, s3
	s_add_i32 s8, s8, s30
	s_mul_i32 s28, s28, s3
	s_add_i32 s8, s8, s29
	s_add_u32 s10, s10, s28
	s_addc_u32 s8, s11, s8
	s_sub_i32 s19, s19, s43
	v_lshrrev_b32_e32 v5, s25, v4
	s_xor_b32 s11, s39, s35
	s_add_i32 s28, s38, 1
	s_sub_i32 s29, s19, s33
	s_cmp_ge_u32 s19, s33
	v_mul_lo_u32 v8, v5, s26
	s_cselect_b32 s28, s28, s38
	s_cselect_b32 s19, s29, s19
	s_add_i32 s29, s28, 1
	s_cmp_ge_u32 s19, s33
	v_lshl_add_u32 v3, v1, 2, v3
	v_lshl_add_u32 v16, v1, 5, v0
	s_cselect_b32 s19, s29, s28
	v_sub_nc_u32_e32 v2, v2, v8
	s_xor_b32 s19, s19, s11
	v_mul_lo_u32 v4, s18, v3
	v_mul_lo_u32 v6, s18, v16
	;; [unrolled: 1-line block ×4, first 2 shown]
	s_sub_i32 s19, s19, s11
	s_mul_hi_u32 s24, s40, s3
	s_mul_i32 s9, s19, s9
	s_mul_i32 s28, s40, s42
	s_ashr_i32 s11, s9, 31
	s_add_u32 s10, s10, s9
	s_mul_i32 s29, s41, s3
	s_addc_u32 s11, s8, s11
	s_add_i32 s8, s24, s28
	s_mul_i32 s9, s40, s3
	v_lshlrev_b32_e32 v17, 2, v10
	v_ashrrev_i32_e32 v5, 31, v4
	v_ashrrev_i32_e32 v7, 31, v6
	;; [unrolled: 1-line block ×4, first 2 shown]
	s_add_i32 s8, s8, s29
	s_mul_i32 s19, s19, s31
	v_lshl_add_u32 v25, v1, 6, 0x1960
	s_add_u32 s9, s12, s9
	s_addc_u32 s8, s13, s8
	s_ashr_i32 s13, s19, 31
	v_mad_u64_u32 v[1:2], null, v2, s1, v[0:1]
	s_add_u32 s12, s9, s19
	s_movk_i32 s9, 0x80
	s_movk_i32 s1, 0x90
	v_mad_u32_u24 v23, 0xa0, v3, v17
	v_mad_u32_u24 v29, 0x90, v3, v17
	v_lshlrev_b64 v[2:3], 2, v[6:7]
	v_lshlrev_b64 v[4:5], 2, v[4:5]
	;; [unrolled: 1-line block ×4, first 2 shown]
	v_cmp_gt_u32_e32 vcc_lo, 32, v16
	v_mov_b32_e32 v22, 0
	v_mul_u32_u24_e32 v24, 0xa0, v0
	v_mad_u32_u24 v26, 0xa0, v16, s9
	v_lshl_add_u32 v27, v0, 1, v25
	v_mad_u32_u24 v28, v16, s1, 0x80
	v_mov_b32_e32 v39, 0xfeffffff
	v_lshlrev_b32_e32 v30, 2, v10
	v_mov_b32_e32 v16, 32
	v_xor_b32_e32 v21, 16, v15
	v_xor_b32_e32 v20, 8, v15
	;; [unrolled: 1-line block ×5, first 2 shown]
	v_mov_b32_e32 v31, 0x10001
	v_add_nc_u32_e32 v32, 0x400, v14
	v_add_nc_u32_e32 v33, 0x800, v14
	;; [unrolled: 1-line block ×4, first 2 shown]
	v_mov_b32_e32 v35, 0
	v_mov_b32_e32 v37, 0
	s_addc_u32 s13, s8, s13
	s_add_u32 s8, s4, 0xd0
	s_addc_u32 s9, s5, 0
.LBB13_11:                              ; =>This Inner Loop Header: Depth=1
	s_mul_hi_i32 s25, s14, s18
	s_mul_i32 s24, s14, s18
	s_lshl_b64 s[24:25], s[24:25], 2
	s_add_u32 s19, s10, s24
	s_addc_u32 s24, s11, s25
	s_and_saveexec_b32 s25, vcc_lo
	s_cbranch_execz .LBB13_13
; %bb.12:                               ;   in Loop: Header=BB13_11 Depth=1
	v_add_co_u32 v40, s1, s19, v2
	v_add_co_ci_u32_e64 v41, null, s24, v3, s1
	global_load_dwordx4 v[40:43], v[40:41], off offset:128
	s_waitcnt vmcnt(0)
	ds_write_b128 v26, v[40:43]
.LBB13_13:                              ;   in Loop: Header=BB13_11 Depth=1
	s_or_b32 exec_lo, exec_lo, s25
	v_add_co_u32 v10, s1, s19, v4
	v_add_co_ci_u32_e64 v38, null, s24, v5, s1
	v_add_nc_u32_e32 v48, s14, v1
	v_add_co_u32 v40, s1, v10, v30
	v_add_co_ci_u32_e64 v41, null, 0, v38, s1
	v_mov_b32_e32 v10, 0
	v_ashrrev_i32_e32 v49, 31, v48
	s_mul_hi_i32 s25, s14, s15
	global_load_dwordx4 v[40:43], v[40:41], off
	s_mul_i32 s24, s14, s15
	v_lshlrev_b64 v[48:49], 1, v[48:49]
	s_lshl_b64 s[24:25], s[24:25], 2
	s_add_u32 s19, s12, s24
	s_addc_u32 s24, s13, s25
	v_add_co_u32 v48, s1, s36, v48
	v_add_co_ci_u32_e64 v49, null, s37, v49, s1
	v_cmp_gt_i32_e64 s1, 32, v21
	s_waitcnt vmcnt(0)
	ds_write_b128 v23, v[40:43]
	s_waitcnt lgkmcnt(0)
	s_barrier
	buffer_gl0_inv
	ds_read_b128 v[40:43], v24
	ds_read_b128 v[44:47], v13
	s_waitcnt lgkmcnt(0)
	;;#ASMSTART
	v_dot2_f32_f16 v10, v40, v44, v10
	;;#ASMEND
	;;#ASMSTART
	v_dot2_f32_f16 v10, v41, v45, v10
	;;#ASMEND
	;;#ASMSTART
	v_dot2_f32_f16 v10, v42, v46, v10
	;;#ASMEND
	;;#ASMSTART
	v_dot2_f32_f16 v10, v43, v47, v10
	;;#ASMEND
	ds_read_b128 v[40:43], v24 offset:16
	ds_read_b128 v[44:47], v13 offset:16
	s_waitcnt lgkmcnt(0)
	;;#ASMSTART
	v_dot2_f32_f16 v10, v40, v44, v10
	;;#ASMEND
	;;#ASMSTART
	v_dot2_f32_f16 v10, v41, v45, v10
	;;#ASMEND
	;;#ASMSTART
	v_dot2_f32_f16 v10, v42, v46, v10
	;;#ASMEND
	;;#ASMSTART
	v_dot2_f32_f16 v10, v43, v47, v10
	;;#ASMEND
	ds_read_b128 v[40:43], v24 offset:32
	ds_read_b128 v[44:47], v13 offset:32
	;; [unrolled: 15-line block ×8, first 2 shown]
	s_waitcnt lgkmcnt(0)
	;;#ASMSTART
	v_dot2_f32_f16 v10, v40, v44, v10
	;;#ASMEND
	;;#ASMSTART
	v_dot2_f32_f16 v10, v41, v45, v10
	;;#ASMEND
	;; [unrolled: 3-line block ×4, first 2 shown]
	global_load_ushort v38, v[48:49], off
	v_max_f32_e32 v40, v39, v39
	s_waitcnt vmcnt(0)
	s_barrier
	buffer_gl0_inv
	v_cvt_f32_f16_e32 v38, v38
	v_add_f32_e32 v38, v10, v38
	v_cndmask_b32_e64 v10, v15, v21, s1
	v_cmp_gt_i32_e64 s1, 32, v20
	v_add_f32_e32 v41, 0x40051340, v38
	v_lshlrev_b32_e32 v10, 2, v10
	v_max_f32_e32 v40, v40, v41
	v_cndmask_b32_e64 v41, v15, v20, s1
	v_cmp_gt_i32_e64 s1, 32, v19
	ds_bpermute_b32 v10, v10, v40
	v_lshlrev_b32_e32 v41, 2, v41
	s_waitcnt lgkmcnt(0)
	v_max_f32_e32 v10, v10, v10
	v_max_f32_e32 v10, v40, v10
	ds_bpermute_b32 v40, v41, v10
	v_cndmask_b32_e64 v41, v15, v19, s1
	v_cmp_gt_i32_e64 s1, 32, v18
	v_lshlrev_b32_e32 v41, 2, v41
	s_waitcnt lgkmcnt(0)
	v_max_f32_e32 v40, v40, v40
	v_max_f32_e32 v10, v10, v40
	ds_bpermute_b32 v40, v41, v10
	v_cndmask_b32_e64 v41, v15, v18, s1
	v_cmp_gt_i32_e64 s1, 32, v17
	v_lshlrev_b32_e32 v41, 2, v41
	s_waitcnt lgkmcnt(0)
	v_max_f32_e32 v40, v40, v40
	v_max_f32_e32 v10, v10, v40
	ds_bpermute_b32 v40, v41, v10
	v_cndmask_b32_e64 v41, v15, v17, s1
	v_lshlrev_b32_e32 v41, 2, v41
	s_waitcnt lgkmcnt(0)
	v_max_f32_e32 v40, v40, v40
	v_max_f32_e32 v10, v10, v40
	ds_bpermute_b32 v40, v41, v10
	s_waitcnt lgkmcnt(0)
	v_max_f32_e32 v40, v40, v40
	v_max_f32_e32 v10, v10, v40
	v_sub_f32_e32 v38, v38, v10
	v_mul_f32_e32 v40, 0x3fb8aa3b, v38
	v_cmp_ngt_f32_e64 s1, 0xc2ce8ed0, v38
	v_fma_f32 v41, 0x3fb8aa3b, v38, -v40
	v_rndne_f32_e32 v42, v40
	v_fmac_f32_e32 v41, 0x32a5705f, v38
	v_sub_f32_e32 v40, v40, v42
	v_add_f32_e32 v40, v40, v41
	v_cvt_i32_f32_e32 v41, v42
	v_exp_f32_e32 v40, v40
	v_ldexp_f32 v40, v40, v41
	v_cndmask_b32_e64 v40, 0, v40, s1
	v_cmp_nlt_f32_e64 s1, 0x42b17218, v38
	v_cndmask_b32_e64 v38, 0x7f800000, v40, s1
	v_cvt_f16_f32_e32 v40, v38
	ds_write_b16 v27, v40
	s_and_saveexec_b32 s25, vcc_lo
	s_cbranch_execz .LBB13_15
; %bb.14:                               ;   in Loop: Header=BB13_11 Depth=1
	v_add_co_u32 v40, s1, s19, v6
	v_add_co_ci_u32_e64 v41, null, s24, v7, s1
	global_load_dwordx4 v[40:43], v[40:41], off offset:128
	s_waitcnt vmcnt(0)
	ds_write_b128 v28, v[40:43]
.LBB13_15:                              ;   in Loop: Header=BB13_11 Depth=1
	s_or_b32 exec_lo, exec_lo, s25
	v_add_co_u32 v40, s1, s19, v8
	v_add_co_ci_u32_e64 v41, null, s24, v9, s1
	v_sub_f32_e32 v47, v39, v10
	v_add_co_u32 v40, s1, v40, v30
	v_add_co_ci_u32_e64 v41, null, 0, v41, s1
	v_mul_f32_e32 v39, 0x3fb8aa3b, v47
	v_cmp_ngt_f32_e64 s1, 0xc2ce8ed0, v47
	global_load_dwordx4 v[40:43], v[40:41], off
	v_fma_f32 v44, 0x3fb8aa3b, v47, -v39
	v_rndne_f32_e32 v45, v39
	v_fmac_f32_e32 v44, 0x32a5705f, v47
	v_sub_f32_e32 v39, v39, v45
	v_cvt_i32_f32_e32 v45, v45
	v_add_f32_e32 v39, v39, v44
	v_exp_f32_e32 v44, v39
	v_ldexp_f32 v48, v44, v45
	v_cndmask_b32_e64 v48, 0, v48, s1
	v_cmp_nlt_f32_e64 s1, 0x42b17218, v47
	v_cndmask_b32_e64 v59, 0x7f800000, v48, s1
	v_cvt_f16_f32_e32 v55, v59
	v_fmac_f32_e32 v38, v37, v59
	v_mul_u32_u24_sdwa v60, v55, v31 dst_sel:DWORD dst_unused:UNUSED_PAD src0_sel:WORD_0 src1_sel:DWORD
	s_waitcnt vmcnt(0)
	ds_write_b128 v29, v[40:43]
	s_waitcnt lgkmcnt(0)
	s_barrier
	buffer_gl0_inv
	ds_read_b128 v[39:42], v25
	ds_read2_b64 v[43:46], v14 offset1:18
	ds_read_b128 v[47:50], v25 offset:16
	ds_read2_b64 v[51:54], v14 offset0:36 offset1:54
	s_waitcnt lgkmcnt(3)
	v_mul_u32_u24_sdwa v56, v39, v31 dst_sel:DWORD dst_unused:UNUSED_PAD src0_sel:WORD_0 src1_sel:DWORD
	v_mul_u32_u24_sdwa v39, v39, v31 dst_sel:DWORD dst_unused:UNUSED_PAD src0_sel:WORD_1 src1_sel:DWORD
	s_waitcnt lgkmcnt(2)
	v_pk_mul_f16 v43, v43, v56
	v_pk_mul_f16 v44, v44, v56
	ds_read2_b64 v[55:58], v14 offset0:72 offset1:90
	v_pk_fma_f16 v22, v22, v60, v43
	v_pk_fma_f16 v35, v35, v60, v44
	v_mul_u32_u24_sdwa v60, v40, v31 dst_sel:DWORD dst_unused:UNUSED_PAD src0_sel:WORD_0 src1_sel:DWORD
	v_pk_fma_f16 v22, v45, v39, v22
	v_pk_fma_f16 v35, v46, v39, v35
	ds_read2_b64 v[43:46], v14 offset0:108 offset1:126
	v_mul_u32_u24_sdwa v39, v40, v31 dst_sel:DWORD dst_unused:UNUSED_PAD src0_sel:WORD_1 src1_sel:DWORD
	v_mul_u32_u24_sdwa v40, v41, v31 dst_sel:DWORD dst_unused:UNUSED_PAD src0_sel:WORD_0 src1_sel:DWORD
	s_waitcnt lgkmcnt(2)
	v_pk_fma_f16 v22, v51, v60, v22
	v_pk_fma_f16 v35, v52, v60, v35
	v_mul_u32_u24_sdwa v60, v50, v31 dst_sel:DWORD dst_unused:UNUSED_PAD src0_sel:WORD_1 src1_sel:DWORD
	v_pk_fma_f16 v22, v53, v39, v22
	v_pk_fma_f16 v35, v54, v39, v35
	ds_read2_b64 v[51:54], v14 offset0:144 offset1:162
	v_mul_u32_u24_sdwa v39, v41, v31 dst_sel:DWORD dst_unused:UNUSED_PAD src0_sel:WORD_1 src1_sel:DWORD
	s_waitcnt lgkmcnt(2)
	v_pk_fma_f16 v22, v55, v40, v22
	v_pk_fma_f16 v35, v56, v40, v35
	v_mul_u32_u24_sdwa v40, v42, v31 dst_sel:DWORD dst_unused:UNUSED_PAD src0_sel:WORD_0 src1_sel:DWORD
	v_pk_fma_f16 v22, v57, v39, v22
	v_pk_fma_f16 v35, v58, v39, v35
	ds_read2_b64 v[55:58], v14 offset0:180 offset1:198
	v_mul_u32_u24_sdwa v39, v42, v31 dst_sel:DWORD dst_unused:UNUSED_PAD src0_sel:WORD_1 src1_sel:DWORD
	s_waitcnt lgkmcnt(2)
	v_pk_fma_f16 v22, v43, v40, v22
	v_pk_fma_f16 v35, v44, v40, v35
	v_mul_u32_u24_sdwa v43, v47, v31 dst_sel:DWORD dst_unused:UNUSED_PAD src0_sel:WORD_0 src1_sel:DWORD
	v_mul_u32_u24_sdwa v44, v47, v31 dst_sel:DWORD dst_unused:UNUSED_PAD src0_sel:WORD_1 src1_sel:DWORD
	v_mul_u32_u24_sdwa v47, v48, v31 dst_sel:DWORD dst_unused:UNUSED_PAD src0_sel:WORD_0 src1_sel:DWORD
	v_pk_fma_f16 v22, v45, v39, v22
	v_pk_fma_f16 v35, v46, v39, v35
	ds_read2_b64 v[39:42], v14 offset0:216 offset1:234
	v_mul_u32_u24_sdwa v48, v48, v31 dst_sel:DWORD dst_unused:UNUSED_PAD src0_sel:WORD_1 src1_sel:DWORD
	s_waitcnt lgkmcnt(2)
	v_pk_fma_f16 v22, v51, v43, v22
	v_pk_fma_f16 v35, v52, v43, v35
	;; [unrolled: 1-line block ×4, first 2 shown]
	ds_read2_b64 v[43:46], v32 offset0:124 offset1:142
	ds_read_b128 v[51:54], v25 offset:32
	s_waitcnt lgkmcnt(3)
	v_pk_fma_f16 v22, v55, v47, v22
	v_pk_fma_f16 v35, v56, v47, v35
	v_mul_u32_u24_sdwa v47, v49, v31 dst_sel:DWORD dst_unused:UNUSED_PAD src0_sel:WORD_0 src1_sel:DWORD
	v_pk_fma_f16 v22, v57, v48, v22
	v_pk_fma_f16 v35, v58, v48, v35
	ds_read2_b64 v[55:58], v33 offset0:32 offset1:50
	v_mul_u32_u24_sdwa v48, v49, v31 dst_sel:DWORD dst_unused:UNUSED_PAD src0_sel:WORD_1 src1_sel:DWORD
	s_waitcnt lgkmcnt(3)
	v_pk_fma_f16 v22, v39, v47, v22
	v_pk_fma_f16 v35, v40, v47, v35
	v_mul_u32_u24_sdwa v47, v50, v31 dst_sel:DWORD dst_unused:UNUSED_PAD src0_sel:WORD_0 src1_sel:DWORD
	v_pk_fma_f16 v22, v41, v48, v22
	v_pk_fma_f16 v35, v42, v48, v35
	ds_read2_b64 v[39:42], v33 offset0:68 offset1:86
	s_waitcnt lgkmcnt(3)
	v_pk_fma_f16 v22, v43, v47, v22
	v_pk_fma_f16 v35, v44, v47, v35
	ds_read_b128 v[47:50], v25 offset:48
	s_waitcnt lgkmcnt(3)
	v_mul_u32_u24_sdwa v61, v51, v31 dst_sel:DWORD dst_unused:UNUSED_PAD src0_sel:WORD_0 src1_sel:DWORD
	v_mul_u32_u24_sdwa v51, v51, v31 dst_sel:DWORD dst_unused:UNUSED_PAD src0_sel:WORD_1 src1_sel:DWORD
	v_pk_fma_f16 v22, v45, v60, v22
	v_pk_fma_f16 v35, v46, v60, v35
	ds_read2_b64 v[43:46], v33 offset0:104 offset1:122
	v_mul_u32_u24_sdwa v60, v52, v31 dst_sel:DWORD dst_unused:UNUSED_PAD src0_sel:WORD_0 src1_sel:DWORD
	s_waitcnt lgkmcnt(3)
	v_pk_fma_f16 v22, v55, v61, v22
	v_pk_fma_f16 v35, v56, v61, v35
	;; [unrolled: 1-line block ×4, first 2 shown]
	ds_read2_b64 v[55:58], v33 offset0:140 offset1:158
	v_mul_u32_u24_sdwa v51, v52, v31 dst_sel:DWORD dst_unused:UNUSED_PAD src0_sel:WORD_1 src1_sel:DWORD
	v_mul_u32_u24_sdwa v52, v53, v31 dst_sel:DWORD dst_unused:UNUSED_PAD src0_sel:WORD_0 src1_sel:DWORD
	s_waitcnt lgkmcnt(3)
	v_pk_fma_f16 v22, v39, v60, v22
	v_pk_fma_f16 v35, v40, v60, v35
	;; [unrolled: 1-line block ×4, first 2 shown]
	ds_read2_b64 v[39:42], v33 offset0:176 offset1:194
	v_mul_u32_u24_sdwa v51, v53, v31 dst_sel:DWORD dst_unused:UNUSED_PAD src0_sel:WORD_1 src1_sel:DWORD
	s_waitcnt lgkmcnt(2)
	v_pk_fma_f16 v22, v43, v52, v22
	v_pk_fma_f16 v35, v44, v52, v35
	v_mul_u32_u24_sdwa v52, v54, v31 dst_sel:DWORD dst_unused:UNUSED_PAD src0_sel:WORD_0 src1_sel:DWORD
	v_pk_fma_f16 v22, v45, v51, v22
	v_pk_fma_f16 v35, v46, v51, v35
	ds_read2_b64 v[43:46], v33 offset0:212 offset1:230
	v_mul_u32_u24_sdwa v51, v54, v31 dst_sel:DWORD dst_unused:UNUSED_PAD src0_sel:WORD_1 src1_sel:DWORD
	s_waitcnt lgkmcnt(2)
	v_pk_fma_f16 v22, v55, v52, v22
	v_pk_fma_f16 v35, v56, v52, v35
	v_mul_u32_u24_sdwa v55, v47, v31 dst_sel:DWORD dst_unused:UNUSED_PAD src0_sel:WORD_0 src1_sel:DWORD
	v_mul_u32_u24_sdwa v47, v47, v31 dst_sel:DWORD dst_unused:UNUSED_PAD src0_sel:WORD_1 src1_sel:DWORD
	v_pk_fma_f16 v22, v57, v51, v22
	v_pk_fma_f16 v35, v58, v51, v35
	ds_read2_b64 v[51:54], v34 offset0:120 offset1:138
	s_waitcnt lgkmcnt(2)
	v_pk_fma_f16 v22, v39, v55, v22
	v_pk_fma_f16 v35, v40, v55, v35
	v_mul_u32_u24_sdwa v39, v48, v31 dst_sel:DWORD dst_unused:UNUSED_PAD src0_sel:WORD_0 src1_sel:DWORD
	ds_read2_b64 v[55:58], v36 offset0:28 offset1:46
	v_mul_u32_u24_sdwa v40, v48, v31 dst_sel:DWORD dst_unused:UNUSED_PAD src0_sel:WORD_1 src1_sel:DWORD
	v_pk_fma_f16 v22, v41, v47, v22
	v_pk_fma_f16 v35, v42, v47, v35
	s_waitcnt lgkmcnt(0)
	s_barrier
	buffer_gl0_inv
	v_pk_fma_f16 v22, v43, v39, v22
	v_pk_fma_f16 v35, v44, v39, v35
	s_load_dword s1, s[8:9], 0x4
	v_mul_u32_u24_sdwa v39, v49, v31 dst_sel:DWORD dst_unused:UNUSED_PAD src0_sel:WORD_0 src1_sel:DWORD
	v_pk_fma_f16 v22, v45, v40, v22
	v_pk_fma_f16 v35, v46, v40, v35
	v_mul_u32_u24_sdwa v40, v49, v31 dst_sel:DWORD dst_unused:UNUSED_PAD src0_sel:WORD_1 src1_sel:DWORD
	v_pk_fma_f16 v22, v51, v39, v22
	v_pk_fma_f16 v35, v52, v39, v35
	v_mul_u32_u24_sdwa v39, v50, v31 dst_sel:DWORD dst_unused:UNUSED_PAD src0_sel:WORD_0 src1_sel:DWORD
	v_pk_fma_f16 v22, v53, v40, v22
	v_pk_fma_f16 v35, v54, v40, v35
	v_mul_u32_u24_sdwa v40, v50, v31 dst_sel:DWORD dst_unused:UNUSED_PAD src0_sel:WORD_1 src1_sel:DWORD
	v_pk_fma_f16 v22, v55, v39, v22
	v_pk_fma_f16 v35, v56, v39, v35
	s_waitcnt lgkmcnt(0)
	s_lshl_b32 s1, s1, 5
	s_add_i32 s14, s1, s14
	v_pk_fma_f16 v22, v57, v40, v22
	v_pk_fma_f16 v35, v58, v40, v35
	s_cmp_ge_i32 s14, s34
	s_cbranch_scc1 .LBB13_17
; %bb.16:                               ;   in Loop: Header=BB13_11 Depth=1
	v_mov_b32_e32 v39, v10
	v_mov_b32_e32 v37, v38
	s_branch .LBB13_11
.LBB13_17:
	v_mov_b32_e32 v2, v15
.LBB13_18:
	v_cmp_lt_i32_e32 vcc_lo, v21, v16
	s_cmp_lg_u64 s[16:17], 0
	s_cselect_b32 s1, -1, 0
	s_cmp_eq_u32 s2, 0
	v_cndmask_b32_e32 v1, v2, v21, vcc_lo
	v_cmp_lt_i32_e32 vcc_lo, v20, v16
	s_cselect_b32 s8, -1, 0
	s_and_b32 s1, s8, s1
	v_lshlrev_b32_e32 v1, 2, v1
	v_cndmask_b32_e32 v3, v2, v20, vcc_lo
	v_cmp_lt_i32_e32 vcc_lo, v19, v16
	ds_bpermute_b32 v1, v1, v38
	v_lshlrev_b32_e32 v3, 2, v3
	v_cndmask_b32_e32 v4, v2, v19, vcc_lo
	v_cmp_lt_i32_e32 vcc_lo, v18, v16
	v_lshlrev_b32_e32 v4, 2, v4
	s_waitcnt lgkmcnt(0)
	v_add_f32_e32 v1, v38, v1
	ds_bpermute_b32 v3, v3, v1
	s_waitcnt lgkmcnt(0)
	v_add_f32_e32 v1, v1, v3
	ds_bpermute_b32 v3, v4, v1
	v_cndmask_b32_e32 v4, v2, v18, vcc_lo
	v_cmp_lt_i32_e32 vcc_lo, v17, v16
	v_lshlrev_b32_e32 v4, 2, v4
	v_cndmask_b32_e32 v2, v2, v17, vcc_lo
	s_and_b32 vcc_lo, exec_lo, s1
	v_lshlrev_b32_e32 v2, 2, v2
	s_waitcnt lgkmcnt(0)
	v_add_f32_e32 v1, v1, v3
	ds_bpermute_b32 v3, v4, v1
	s_waitcnt lgkmcnt(0)
	v_add_f32_e32 v3, v1, v3
	v_add_nc_u32_e32 v1, s7, v11
	ds_bpermute_b32 v2, v2, v3
	s_waitcnt lgkmcnt(0)
	v_add_f32_e32 v11, v3, v2
	s_cbranch_vccz .LBB13_20
; %bb.19:
	v_ashrrev_i32_e32 v2, 31, v1
	v_lshlrev_b64 v[2:3], 2, v[1:2]
	v_add_co_u32 v2, vcc_lo, s16, v2
	v_add_co_ci_u32_e64 v3, null, s17, v3, vcc_lo
	global_load_dword v2, v[2:3], off
	v_max_f32_e32 v3, v10, v10
	s_waitcnt vmcnt(0)
	v_max_f32_e32 v4, v2, v2
	v_max_f32_e32 v3, v3, v4
	v_sub_f32_e32 v4, v10, v3
	v_sub_f32_e32 v2, v2, v3
	v_mul_f32_e32 v5, 0x3fb8aa3b, v4
	v_mul_f32_e32 v6, 0x3fb8aa3b, v2
	v_cmp_ngt_f32_e32 vcc_lo, 0xc2ce8ed0, v4
	v_fma_f32 v7, 0x3fb8aa3b, v4, -v5
	v_rndne_f32_e32 v8, v5
	v_fma_f32 v9, 0x3fb8aa3b, v2, -v6
	v_rndne_f32_e32 v10, v6
	v_fmac_f32_e32 v7, 0x32a5705f, v4
	v_sub_f32_e32 v5, v5, v8
	v_fmac_f32_e32 v9, 0x32a5705f, v2
	v_sub_f32_e32 v6, v6, v10
	v_add_f32_e32 v5, v5, v7
	v_cvt_i32_f32_e32 v7, v8
	v_add_f32_e32 v6, v6, v9
	v_cvt_i32_f32_e32 v8, v10
	v_mov_b32_e32 v10, v3
	v_exp_f32_e32 v5, v5
	v_exp_f32_e32 v6, v6
	v_ldexp_f32 v5, v5, v7
	v_ldexp_f32 v6, v6, v8
	v_cndmask_b32_e32 v5, 0, v5, vcc_lo
	v_cmp_ngt_f32_e32 vcc_lo, 0xc2ce8ed0, v2
	v_cndmask_b32_e32 v6, 0, v6, vcc_lo
	v_cmp_nlt_f32_e32 vcc_lo, 0x42b17218, v4
	v_cndmask_b32_e32 v4, 0x7f800000, v5, vcc_lo
	v_cmp_nlt_f32_e32 vcc_lo, 0x42b17218, v2
	v_mov_b32_e32 v5, 0x10001
	v_cndmask_b32_e32 v2, 0x7f800000, v6, vcc_lo
	v_cvt_f16_f32_e32 v6, v4
	v_fmac_f32_e32 v2, v11, v4
	v_mul_u32_u24_sdwa v4, v6, v5 dst_sel:DWORD dst_unused:UNUSED_PAD src0_sel:WORD_0 src1_sel:DWORD
	v_mov_b32_e32 v11, v2
	v_pk_mul_f16 v22, v22, v4
	v_pk_mul_f16 v35, v35, v4
.LBB13_20:
	s_load_dword s1, s[4:5], 0xd4
	s_mul_i32 s3, s3, s26
	v_add3_u32 v2, s3, s6, v12
	v_mad_u64_u32 v[1:2], null, v2, s27, v[1:2]
	s_waitcnt lgkmcnt(0)
	v_mad_u64_u32 v[1:2], null, s1, v1, s[2:3]
	s_cmp_lg_u32 s1, 1
	s_cselect_b32 s1, -1, 0
	s_and_saveexec_b32 s2, s0
	s_cbranch_execz .LBB13_22
; %bb.21:
	v_div_scale_f32 v2, null, v11, v11, 1.0
	v_div_scale_f32 v5, vcc_lo, 1.0, v11, 1.0
	v_mul_lo_u32 v7, 0x48, v1
	v_rcp_f32_e32 v4, v2
	v_cvt_f32_f16_e32 v8, v35
	v_cvt_f32_f16_sdwa v9, v22 dst_sel:DWORD dst_unused:UNUSED_PAD src0_sel:WORD_1
	v_cvt_f32_f16_e32 v12, v22
	v_fma_f32 v3, -v2, v4, 1.0
	v_fmac_f32_e32 v4, v3, v4
	v_mul_f32_e32 v6, v5, v4
	v_fma_f32 v3, -v2, v6, v5
	v_fmac_f32_e32 v6, v3, v4
	v_mov_b32_e32 v3, 0
	v_fma_f32 v2, -v2, v6, v5
	v_cvt_f32_f16_sdwa v5, v35 dst_sel:DWORD dst_unused:UNUSED_PAD src0_sel:WORD_1
	v_div_fmas_f32 v4, v2, v4, v6
	v_lshl_add_u32 v2, v0, 2, v7
	v_div_fixup_f32 v4, v4, v11, 1.0
	v_lshlrev_b64 v[2:3], 2, v[2:3]
	v_cndmask_b32_e64 v13, v4, 1.0, s1
	v_add_co_u32 v6, vcc_lo, s20, v2
	v_add_co_ci_u32_e64 v7, null, s21, v3, vcc_lo
	v_mul_f32_e32 v5, v13, v5
	v_mul_f32_e32 v4, v13, v8
	;; [unrolled: 1-line block ×4, first 2 shown]
	global_store_dwordx4 v[6:7], v[2:5], off
.LBB13_22:
	s_or_b32 exec_lo, exec_lo, s2
	v_cmp_eq_u32_e32 vcc_lo, 0, v0
	s_and_b32 s0, vcc_lo, s1
	s_and_saveexec_b32 s1, s0
	s_cbranch_execz .LBB13_24
; %bb.23:
	v_ashrrev_i32_e32 v2, 31, v1
	v_lshlrev_b64 v[0:1], 3, v[1:2]
	v_add_co_u32 v0, vcc_lo, s22, v0
	v_add_co_ci_u32_e64 v1, null, s23, v1, vcc_lo
	global_store_dwordx2 v[0:1], v[10:11], off
.LBB13_24:
	s_endpgm
	.section	.rodata,"a",@progbits
	.p2align	6, 0x0
	.amdhsa_kernel _ZL15flash_attn_tileILi72ELi72ELi1ELi8ELb0EEvPKcS1_S1_S1_S1_PKiPfP15HIP_vector_typeIfLj2EEffffjfiS5_IjLj3EEiiiiiiiiiiiliiliiiiil
		.amdhsa_group_segment_fixed_size 7008
		.amdhsa_private_segment_fixed_size 0
		.amdhsa_kernarg_size 464
		.amdhsa_user_sgpr_count 6
		.amdhsa_user_sgpr_private_segment_buffer 1
		.amdhsa_user_sgpr_dispatch_ptr 0
		.amdhsa_user_sgpr_queue_ptr 0
		.amdhsa_user_sgpr_kernarg_segment_ptr 1
		.amdhsa_user_sgpr_dispatch_id 0
		.amdhsa_user_sgpr_flat_scratch_init 0
		.amdhsa_user_sgpr_private_segment_size 0
		.amdhsa_wavefront_size32 1
		.amdhsa_uses_dynamic_stack 0
		.amdhsa_system_sgpr_private_segment_wavefront_offset 0
		.amdhsa_system_sgpr_workgroup_id_x 1
		.amdhsa_system_sgpr_workgroup_id_y 1
		.amdhsa_system_sgpr_workgroup_id_z 1
		.amdhsa_system_sgpr_workgroup_info 0
		.amdhsa_system_vgpr_workitem_id 1
		.amdhsa_next_free_vgpr 62
		.amdhsa_next_free_sgpr 44
		.amdhsa_reserve_vcc 1
		.amdhsa_reserve_flat_scratch 0
		.amdhsa_float_round_mode_32 0
		.amdhsa_float_round_mode_16_64 0
		.amdhsa_float_denorm_mode_32 3
		.amdhsa_float_denorm_mode_16_64 3
		.amdhsa_dx10_clamp 1
		.amdhsa_ieee_mode 1
		.amdhsa_fp16_overflow 0
		.amdhsa_workgroup_processor_mode 1
		.amdhsa_memory_ordered 1
		.amdhsa_forward_progress 1
		.amdhsa_shared_vgpr_count 0
		.amdhsa_exception_fp_ieee_invalid_op 0
		.amdhsa_exception_fp_denorm_src 0
		.amdhsa_exception_fp_ieee_div_zero 0
		.amdhsa_exception_fp_ieee_overflow 0
		.amdhsa_exception_fp_ieee_underflow 0
		.amdhsa_exception_fp_ieee_inexact 0
		.amdhsa_exception_int_div_zero 0
	.end_amdhsa_kernel
	.section	.text._ZL15flash_attn_tileILi72ELi72ELi1ELi8ELb0EEvPKcS1_S1_S1_S1_PKiPfP15HIP_vector_typeIfLj2EEffffjfiS5_IjLj3EEiiiiiiiiiiiliiliiiiil,"axG",@progbits,_ZL15flash_attn_tileILi72ELi72ELi1ELi8ELb0EEvPKcS1_S1_S1_S1_PKiPfP15HIP_vector_typeIfLj2EEffffjfiS5_IjLj3EEiiiiiiiiiiiliiliiiiil,comdat
.Lfunc_end13:
	.size	_ZL15flash_attn_tileILi72ELi72ELi1ELi8ELb0EEvPKcS1_S1_S1_S1_PKiPfP15HIP_vector_typeIfLj2EEffffjfiS5_IjLj3EEiiiiiiiiiiiliiliiiiil, .Lfunc_end13-_ZL15flash_attn_tileILi72ELi72ELi1ELi8ELb0EEvPKcS1_S1_S1_S1_PKiPfP15HIP_vector_typeIfLj2EEffffjfiS5_IjLj3EEiiiiiiiiiiiliiliiiiil
                                        ; -- End function
	.set _ZL15flash_attn_tileILi72ELi72ELi1ELi8ELb0EEvPKcS1_S1_S1_S1_PKiPfP15HIP_vector_typeIfLj2EEffffjfiS5_IjLj3EEiiiiiiiiiiiliiliiiiil.num_vgpr, 62
	.set _ZL15flash_attn_tileILi72ELi72ELi1ELi8ELb0EEvPKcS1_S1_S1_S1_PKiPfP15HIP_vector_typeIfLj2EEffffjfiS5_IjLj3EEiiiiiiiiiiiliiliiiiil.num_agpr, 0
	.set _ZL15flash_attn_tileILi72ELi72ELi1ELi8ELb0EEvPKcS1_S1_S1_S1_PKiPfP15HIP_vector_typeIfLj2EEffffjfiS5_IjLj3EEiiiiiiiiiiiliiliiiiil.numbered_sgpr, 44
	.set _ZL15flash_attn_tileILi72ELi72ELi1ELi8ELb0EEvPKcS1_S1_S1_S1_PKiPfP15HIP_vector_typeIfLj2EEffffjfiS5_IjLj3EEiiiiiiiiiiiliiliiiiil.num_named_barrier, 0
	.set _ZL15flash_attn_tileILi72ELi72ELi1ELi8ELb0EEvPKcS1_S1_S1_S1_PKiPfP15HIP_vector_typeIfLj2EEffffjfiS5_IjLj3EEiiiiiiiiiiiliiliiiiil.private_seg_size, 0
	.set _ZL15flash_attn_tileILi72ELi72ELi1ELi8ELb0EEvPKcS1_S1_S1_S1_PKiPfP15HIP_vector_typeIfLj2EEffffjfiS5_IjLj3EEiiiiiiiiiiiliiliiiiil.uses_vcc, 1
	.set _ZL15flash_attn_tileILi72ELi72ELi1ELi8ELb0EEvPKcS1_S1_S1_S1_PKiPfP15HIP_vector_typeIfLj2EEffffjfiS5_IjLj3EEiiiiiiiiiiiliiliiiiil.uses_flat_scratch, 0
	.set _ZL15flash_attn_tileILi72ELi72ELi1ELi8ELb0EEvPKcS1_S1_S1_S1_PKiPfP15HIP_vector_typeIfLj2EEffffjfiS5_IjLj3EEiiiiiiiiiiiliiliiiiil.has_dyn_sized_stack, 0
	.set _ZL15flash_attn_tileILi72ELi72ELi1ELi8ELb0EEvPKcS1_S1_S1_S1_PKiPfP15HIP_vector_typeIfLj2EEffffjfiS5_IjLj3EEiiiiiiiiiiiliiliiiiil.has_recursion, 0
	.set _ZL15flash_attn_tileILi72ELi72ELi1ELi8ELb0EEvPKcS1_S1_S1_S1_PKiPfP15HIP_vector_typeIfLj2EEffffjfiS5_IjLj3EEiiiiiiiiiiiliiliiiiil.has_indirect_call, 0
	.section	.AMDGPU.csdata,"",@progbits
; Kernel info:
; codeLenInByte = 5040
; TotalNumSgprs: 46
; NumVgprs: 62
; ScratchSize: 0
; MemoryBound: 0
; FloatMode: 240
; IeeeMode: 1
; LDSByteSize: 7008 bytes/workgroup (compile time only)
; SGPRBlocks: 0
; VGPRBlocks: 7
; NumSGPRsForWavesPerEU: 46
; NumVGPRsForWavesPerEU: 62
; Occupancy: 16
; WaveLimiterHint : 1
; COMPUTE_PGM_RSRC2:SCRATCH_EN: 0
; COMPUTE_PGM_RSRC2:USER_SGPR: 6
; COMPUTE_PGM_RSRC2:TRAP_HANDLER: 0
; COMPUTE_PGM_RSRC2:TGID_X_EN: 1
; COMPUTE_PGM_RSRC2:TGID_Y_EN: 1
; COMPUTE_PGM_RSRC2:TGID_Z_EN: 1
; COMPUTE_PGM_RSRC2:TIDIG_COMP_CNT: 1
	.section	.text._ZL25flash_attn_mask_to_KV_maxILi1EEvPK7__half2Piiii,"axG",@progbits,_ZL25flash_attn_mask_to_KV_maxILi1EEvPK7__half2Piiii,comdat
	.globl	_ZL25flash_attn_mask_to_KV_maxILi1EEvPK7__half2Piiii ; -- Begin function _ZL25flash_attn_mask_to_KV_maxILi1EEvPK7__half2Piiii
	.p2align	8
	.type	_ZL25flash_attn_mask_to_KV_maxILi1EEvPK7__half2Piiii,@function
_ZL25flash_attn_mask_to_KV_maxILi1EEvPK7__half2Piiii: ; @_ZL25flash_attn_mask_to_KV_maxILi1EEvPK7__half2Piiii
; %bb.0:
	s_load_dwordx4 s[8:11], s[4:5], 0x0
	s_mov_b32 s0, exec_lo
	v_cmpx_gt_u32_e32 32, v0
; %bb.1:
	v_lshlrev_b32_e32 v1, 2, v0
	v_mov_b32_e32 v2, 1
	ds_write_b32 v1, v2
; %bb.2:
	s_or_b32 exec_lo, exec_lo, s0
	s_clause 0x1
	s_load_dwordx4 s[12:15], s[4:5], 0x10
	s_load_dword s1, s[4:5], 0x20
	v_and_b32_e32 v1, 31, v0
	v_lshrrev_b32_e32 v3, 3, v0
	v_mov_b32_e32 v2, 0
	v_mov_b32_e32 v4, 0x204
	s_waitcnt lgkmcnt(0)
	v_lshlrev_b32_e32 v5, 2, v1
	s_barrier
	buffer_gl0_inv
	s_mul_i32 s0, s14, s7
	s_mul_i32 s2, s13, s6
	s_add_i32 s2, s0, s2
	v_cmp_eq_u32_e64 s0, 0, v1
	s_ashr_i32 s3, s2, 31
	s_lshl_b64 s[4:5], s[2:3], 2
	s_add_u32 s3, s8, s4
	s_addc_u32 s4, s9, s5
	s_lshl_b32 s5, s12, 8
	s_branch .LBB14_4
	.p2align	6
.LBB14_3:                               ;   in Loop: Header=BB14_4 Depth=1
	s_or_b32 exec_lo, exec_lo, s9
	s_waitcnt lgkmcnt(0)
	s_barrier
	buffer_gl0_inv
	ds_read_b32 v1, v5
	s_waitcnt lgkmcnt(0)
	s_barrier
	buffer_gl0_inv
	v_cmp_ne_u32_e32 vcc_lo, 0, v1
	s_cmp_lg_u32 vcc_lo, exec_lo
	s_cselect_b32 s8, -1, 0
	s_and_b32 vcc_lo, exec_lo, s8
	s_cbranch_vccnz .LBB14_8
.LBB14_4:                               ; =>This Inner Loop Header: Depth=1
	s_mov_b32 s2, s5
	s_addk_i32 s5, 0xff00
	s_cmp_lt_i32 s5, 0
	s_cbranch_scc1 .LBB14_7
; %bb.5:                                ;   in Loop: Header=BB14_4 Depth=1
	s_lshr_b32 s9, s5, 1
	s_mov_b32 s8, exec_lo
	v_add_nc_u32_e32 v1, s9, v0
	v_lshlrev_b64 v[6:7], 2, v[1:2]
	v_add_co_u32 v6, vcc_lo, s3, v6
	v_add_co_ci_u32_e64 v7, null, s4, v7, vcc_lo
	global_load_dword v1, v[6:7], off
	s_waitcnt vmcnt(0)
	v_cmp_class_f16_e64 s9, v1, 0x204
	v_cmp_class_f16_sdwa s12, v1, v4 src0_sel:WORD_1 src1_sel:DWORD
	s_and_b32 s9, s9, s12
	v_cndmask_b32_e64 v1, 0, 1, s9
	v_cmp_ne_u32_e32 vcc_lo, 0, v1
	s_and_saveexec_b32 s9, s0
	s_cbranch_execz .LBB14_3
; %bb.6:                                ;   in Loop: Header=BB14_4 Depth=1
	s_cmp_eq_u32 vcc_lo, s8
	s_cselect_b32 s8, -1, 0
	v_cndmask_b32_e64 v1, 0, 1, s8
	ds_write_b32 v3, v1
	s_branch .LBB14_3
.LBB14_7:                               ;   in Loop: Header=BB14_4 Depth=1
	s_cbranch_execz .LBB14_4
.LBB14_8:
	s_mov_b32 s0, exec_lo
	v_cmpx_eq_u32_e32 0, v0
	s_cbranch_execz .LBB14_10
; %bb.9:
	s_mul_i32 s0, s1, s7
	v_mov_b32_e32 v0, 0
	s_add_i32 s0, s0, s6
	v_mov_b32_e32 v1, s2
	s_ashr_i32 s1, s0, 31
	s_lshl_b64 s[0:1], s[0:1], 2
	s_add_u32 s0, s10, s0
	s_addc_u32 s1, s11, s1
	global_store_dword v0, v1, s[0:1]
.LBB14_10:
	s_endpgm
	.section	.rodata,"a",@progbits
	.p2align	6, 0x0
	.amdhsa_kernel _ZL25flash_attn_mask_to_KV_maxILi1EEvPK7__half2Piiii
		.amdhsa_group_segment_fixed_size 128
		.amdhsa_private_segment_fixed_size 0
		.amdhsa_kernarg_size 288
		.amdhsa_user_sgpr_count 6
		.amdhsa_user_sgpr_private_segment_buffer 1
		.amdhsa_user_sgpr_dispatch_ptr 0
		.amdhsa_user_sgpr_queue_ptr 0
		.amdhsa_user_sgpr_kernarg_segment_ptr 1
		.amdhsa_user_sgpr_dispatch_id 0
		.amdhsa_user_sgpr_flat_scratch_init 0
		.amdhsa_user_sgpr_private_segment_size 0
		.amdhsa_wavefront_size32 1
		.amdhsa_uses_dynamic_stack 0
		.amdhsa_system_sgpr_private_segment_wavefront_offset 0
		.amdhsa_system_sgpr_workgroup_id_x 1
		.amdhsa_system_sgpr_workgroup_id_y 1
		.amdhsa_system_sgpr_workgroup_id_z 0
		.amdhsa_system_sgpr_workgroup_info 0
		.amdhsa_system_vgpr_workitem_id 0
		.amdhsa_next_free_vgpr 8
		.amdhsa_next_free_sgpr 16
		.amdhsa_reserve_vcc 1
		.amdhsa_reserve_flat_scratch 0
		.amdhsa_float_round_mode_32 0
		.amdhsa_float_round_mode_16_64 0
		.amdhsa_float_denorm_mode_32 3
		.amdhsa_float_denorm_mode_16_64 3
		.amdhsa_dx10_clamp 1
		.amdhsa_ieee_mode 1
		.amdhsa_fp16_overflow 0
		.amdhsa_workgroup_processor_mode 1
		.amdhsa_memory_ordered 1
		.amdhsa_forward_progress 1
		.amdhsa_shared_vgpr_count 0
		.amdhsa_exception_fp_ieee_invalid_op 0
		.amdhsa_exception_fp_denorm_src 0
		.amdhsa_exception_fp_ieee_div_zero 0
		.amdhsa_exception_fp_ieee_overflow 0
		.amdhsa_exception_fp_ieee_underflow 0
		.amdhsa_exception_fp_ieee_inexact 0
		.amdhsa_exception_int_div_zero 0
	.end_amdhsa_kernel
	.section	.text._ZL25flash_attn_mask_to_KV_maxILi1EEvPK7__half2Piiii,"axG",@progbits,_ZL25flash_attn_mask_to_KV_maxILi1EEvPK7__half2Piiii,comdat
.Lfunc_end14:
	.size	_ZL25flash_attn_mask_to_KV_maxILi1EEvPK7__half2Piiii, .Lfunc_end14-_ZL25flash_attn_mask_to_KV_maxILi1EEvPK7__half2Piiii
                                        ; -- End function
	.set _ZL25flash_attn_mask_to_KV_maxILi1EEvPK7__half2Piiii.num_vgpr, 8
	.set _ZL25flash_attn_mask_to_KV_maxILi1EEvPK7__half2Piiii.num_agpr, 0
	.set _ZL25flash_attn_mask_to_KV_maxILi1EEvPK7__half2Piiii.numbered_sgpr, 16
	.set _ZL25flash_attn_mask_to_KV_maxILi1EEvPK7__half2Piiii.num_named_barrier, 0
	.set _ZL25flash_attn_mask_to_KV_maxILi1EEvPK7__half2Piiii.private_seg_size, 0
	.set _ZL25flash_attn_mask_to_KV_maxILi1EEvPK7__half2Piiii.uses_vcc, 1
	.set _ZL25flash_attn_mask_to_KV_maxILi1EEvPK7__half2Piiii.uses_flat_scratch, 0
	.set _ZL25flash_attn_mask_to_KV_maxILi1EEvPK7__half2Piiii.has_dyn_sized_stack, 0
	.set _ZL25flash_attn_mask_to_KV_maxILi1EEvPK7__half2Piiii.has_recursion, 0
	.set _ZL25flash_attn_mask_to_KV_maxILi1EEvPK7__half2Piiii.has_indirect_call, 0
	.section	.AMDGPU.csdata,"",@progbits
; Kernel info:
; codeLenInByte = 452
; TotalNumSgprs: 18
; NumVgprs: 8
; ScratchSize: 0
; MemoryBound: 0
; FloatMode: 240
; IeeeMode: 1
; LDSByteSize: 128 bytes/workgroup (compile time only)
; SGPRBlocks: 0
; VGPRBlocks: 0
; NumSGPRsForWavesPerEU: 18
; NumVGPRsForWavesPerEU: 8
; Occupancy: 16
; WaveLimiterHint : 0
; COMPUTE_PGM_RSRC2:SCRATCH_EN: 0
; COMPUTE_PGM_RSRC2:USER_SGPR: 6
; COMPUTE_PGM_RSRC2:TRAP_HANDLER: 0
; COMPUTE_PGM_RSRC2:TGID_X_EN: 1
; COMPUTE_PGM_RSRC2:TGID_Y_EN: 1
; COMPUTE_PGM_RSRC2:TGID_Z_EN: 0
; COMPUTE_PGM_RSRC2:TIDIG_COMP_CNT: 0
	.section	.text._ZL33flash_attn_stream_k_fixup_uniformILi72ELi1ELi8EEvPfPK15HIP_vector_typeIfLj2EEiiiiiiS1_IjLj3EES5_S5_,"axG",@progbits,_ZL33flash_attn_stream_k_fixup_uniformILi72ELi1ELi8EEvPfPK15HIP_vector_typeIfLj2EEiiiiiiS1_IjLj3EES5_S5_,comdat
	.globl	_ZL33flash_attn_stream_k_fixup_uniformILi72ELi1ELi8EEvPfPK15HIP_vector_typeIfLj2EEiiiiiiS1_IjLj3EES5_S5_ ; -- Begin function _ZL33flash_attn_stream_k_fixup_uniformILi72ELi1ELi8EEvPfPK15HIP_vector_typeIfLj2EEiiiiiiS1_IjLj3EES5_S5_
	.p2align	8
	.type	_ZL33flash_attn_stream_k_fixup_uniformILi72ELi1ELi8EEvPfPK15HIP_vector_typeIfLj2EEiiiiiiS1_IjLj3EES5_S5_,@function
_ZL33flash_attn_stream_k_fixup_uniformILi72ELi1ELi8EEvPfPK15HIP_vector_typeIfLj2EEiiiiiiS1_IjLj3EES5_S5_: ; @_ZL33flash_attn_stream_k_fixup_uniformILi72ELi1ELi8EEvPfPK15HIP_vector_typeIfLj2EEiiiiiiS1_IjLj3EES5_S5_
; %bb.0:
	s_clause 0x1
	s_load_dwordx8 s[12:19], s[4:5], 0x1c
	s_load_dwordx4 s[20:23], s[4:5], 0x3c
	s_waitcnt lgkmcnt(0)
	s_mul_hi_u32 s0, s15, s6
	s_add_i32 s0, s6, s0
	s_lshr_b32 s2, s0, s16
	s_mul_i32 s0, s2, s17
	s_sub_i32 s9, s6, s0
	s_load_dwordx2 s[0:1], s[4:5], 0x10
	s_mul_hi_u32 s3, s9, s18
	s_add_i32 s3, s9, s3
	s_lshr_b32 s3, s3, s19
	s_mul_i32 s10, s3, s20
	s_sub_i32 s9, s9, s10
	s_mul_hi_u32 s10, s9, s21
	s_add_i32 s10, s9, s10
	s_lshr_b32 s10, s10, s22
	s_mul_i32 s11, s10, s23
	s_lshl_b32 s10, s10, 3
	s_sub_i32 s9, s9, s11
	s_add_i32 s9, s9, s7
	s_waitcnt lgkmcnt(0)
	s_cmp_lt_i32 s9, s0
	s_cselect_b32 s11, -1, 0
	s_add_i32 s10, s10, s8
	s_cmp_lt_i32 s10, s13
	s_cselect_b32 s15, -1, 0
	s_and_b32 s11, s11, s15
	s_andn2_b32 vcc_lo, exec_lo, s11
	s_cbranch_vccnz .LBB15_6
; %bb.1:
	s_mul_i32 s2, s2, s0
	s_mul_i32 s3, s3, s13
	s_add_i32 s0, s9, s2
	s_add_i32 s9, s10, s3
	s_mul_i32 s10, s0, s1
	s_load_dwordx4 s[0:3], s[4:5], 0x0
	s_add_i32 s9, s9, s10
	s_mul_i32 s4, s14, s6
	v_mad_u64_u32 v[1:2], null, 0x48, s9, v[0:1]
	s_add_i32 s10, s4, s14
	v_ashrrev_i32_e32 v2, 31, v1
	v_lshlrev_b64 v[1:2], 2, v[1:2]
	s_waitcnt lgkmcnt(0)
	v_add_co_u32 v1, vcc_lo, s0, v1
	v_add_co_ci_u32_e64 v2, null, s1, v2, vcc_lo
	s_add_i32 s0, s7, s10
	s_lshl_b32 s0, s0, 3
	global_load_dword v5, v[1:2], off
	s_add_i32 s0, s0, s8
	s_add_i32 s0, s0, -8
	s_ashr_i32 s1, s0, 31
	s_lshl_b64 s[0:1], s[0:1], 3
	s_add_u32 s0, s2, s0
	s_addc_u32 s1, s3, s1
	s_add_i32 s5, s10, -2
	s_load_dword s11, s[0:1], 0x4
	s_cmp_lt_i32 s5, s4
	s_cbranch_scc1 .LBB15_4
; %bb.2:
	s_load_dword s13, s[0:1], 0x0
	s_lshl_b32 s16, s12, 5
	s_waitcnt lgkmcnt(0)
	v_mov_b32_e32 v6, s11
	s_ashr_i32 s17, s16, 31
	s_lshl_b64 s[0:1], s[16:17], 2
	s_add_u32 s5, s2, s0
	s_addc_u32 s9, s3, s1
	s_add_i32 s6, s6, 1
	s_mul_i32 s1, s7, 0x240
	s_mul_i32 s0, s14, s6
	;; [unrolled: 1-line block ×3, first 2 shown]
	s_mulk_i32 s0, 0x240
	s_add_i32 s1, s6, s1
	s_add_i32 s6, s7, s12
	;; [unrolled: 1-line block ×4, first 2 shown]
	v_add3_u32 v3, s1, v0, 0xfffffb80
	s_lshl_b32 s0, s6, 3
	v_mov_b32_e32 v0, s13
	s_add_i32 s0, s8, s0
	s_add_i32 s6, s10, -1
	s_add_i32 s0, s0, -16
.LBB15_3:                               ; =>This Inner Loop Header: Depth=1
	v_ashrrev_i32_e32 v4, 31, v3
	s_ashr_i32 s1, s0, 31
	s_lshl_b64 s[10:11], s[0:1], 3
	s_add_u32 s10, s2, s10
	v_lshlrev_b64 v[7:8], 2, v[3:4]
	s_addc_u32 s11, s3, s11
	v_add_nc_u32_e32 v3, 0xfffffdc0, v3
	s_add_i32 s6, s6, -1
	s_add_i32 s0, s0, -8
	s_cmp_le_i32 s6, s4
	v_add_co_u32 v7, vcc_lo, s5, v7
	v_add_co_ci_u32_e64 v8, null, s9, v8, vcc_lo
	s_load_dwordx2 s[10:11], s[10:11], 0x0
	global_load_dword v4, v[7:8], off
	v_max_f32_e32 v7, v0, v0
	s_waitcnt lgkmcnt(0)
	v_max_f32_e64 v8, s10, s10
	v_max_f32_e32 v7, v7, v8
	v_sub_f32_e32 v8, s10, v7
	v_sub_f32_e32 v0, v0, v7
	v_mul_f32_e32 v9, 0x3fb8aa3b, v8
	v_mul_f32_e32 v12, 0x3fb8aa3b, v0
	v_cmp_ngt_f32_e32 vcc_lo, 0xc2ce8ed0, v8
	v_fma_f32 v10, 0x3fb8aa3b, v8, -v9
	v_rndne_f32_e32 v11, v9
	v_fma_f32 v13, 0x3fb8aa3b, v0, -v12
	v_rndne_f32_e32 v14, v12
	v_fmac_f32_e32 v10, 0x32a5705f, v8
	v_sub_f32_e32 v9, v9, v11
	v_fmac_f32_e32 v13, 0x32a5705f, v0
	v_cvt_i32_f32_e32 v11, v11
	v_add_f32_e32 v9, v9, v10
	v_sub_f32_e32 v10, v12, v14
	v_exp_f32_e32 v9, v9
	v_add_f32_e32 v10, v10, v13
	v_exp_f32_e32 v10, v10
	v_ldexp_f32 v9, v9, v11
	v_cvt_i32_f32_e32 v11, v14
	v_cndmask_b32_e32 v9, 0, v9, vcc_lo
	v_cmp_nlt_f32_e32 vcc_lo, 0x42b17218, v8
	v_ldexp_f32 v10, v10, v11
	v_mov_b32_e32 v11, v6
	v_cndmask_b32_e32 v9, 0x7f800000, v9, vcc_lo
	v_cmp_ngt_f32_e32 vcc_lo, 0xc2ce8ed0, v0
	v_cndmask_b32_e32 v10, 0, v10, vcc_lo
	v_cmp_le_f32_e32 vcc_lo, 0xc1a00000, v8
	v_cndmask_b32_e32 v8, 0, v9, vcc_lo
	v_cmp_nlt_f32_e32 vcc_lo, 0x42b17218, v0
	s_waitcnt vmcnt(1)
	v_mov_b32_e32 v9, v5
	v_cndmask_b32_e32 v5, 0x7f800000, v10, vcc_lo
	v_mul_f32_e32 v10, s11, v8
	v_cmp_le_f32_e32 vcc_lo, 0xc1a00000, v0
	v_mov_b32_e32 v0, v7
	v_mov_b32_e32 v6, v10
	v_cndmask_b32_e32 v12, 0, v5, vcc_lo
	v_fmac_f32_e32 v6, v11, v12
	s_waitcnt vmcnt(0)
	v_mul_f32_e32 v5, v4, v8
	v_fmac_f32_e32 v5, v9, v12
	s_cbranch_scc0 .LBB15_3
	s_branch .LBB15_5
.LBB15_4:
	s_waitcnt lgkmcnt(0)
	v_mov_b32_e32 v6, s11
.LBB15_5:
	s_waitcnt vmcnt(0)
	v_div_scale_f32 v0, null, v6, v6, v5
	v_rcp_f32_e32 v3, v0
	v_fma_f32 v4, -v0, v3, 1.0
	v_fmac_f32_e32 v3, v4, v3
	v_div_scale_f32 v4, vcc_lo, v5, v6, v5
	v_mul_f32_e32 v7, v4, v3
	v_fma_f32 v8, -v0, v7, v4
	v_fmac_f32_e32 v7, v8, v3
	v_fma_f32 v0, -v0, v7, v4
	v_div_fmas_f32 v0, v0, v3, v7
	v_div_fixup_f32 v0, v0, v6, v5
	global_store_dword v[1:2], v0, off
.LBB15_6:
	s_endpgm
	.section	.rodata,"a",@progbits
	.p2align	6, 0x0
	.amdhsa_kernel _ZL33flash_attn_stream_k_fixup_uniformILi72ELi1ELi8EEvPfPK15HIP_vector_typeIfLj2EEiiiiiiS1_IjLj3EES5_S5_
		.amdhsa_group_segment_fixed_size 0
		.amdhsa_private_segment_fixed_size 0
		.amdhsa_kernarg_size 76
		.amdhsa_user_sgpr_count 6
		.amdhsa_user_sgpr_private_segment_buffer 1
		.amdhsa_user_sgpr_dispatch_ptr 0
		.amdhsa_user_sgpr_queue_ptr 0
		.amdhsa_user_sgpr_kernarg_segment_ptr 1
		.amdhsa_user_sgpr_dispatch_id 0
		.amdhsa_user_sgpr_flat_scratch_init 0
		.amdhsa_user_sgpr_private_segment_size 0
		.amdhsa_wavefront_size32 1
		.amdhsa_uses_dynamic_stack 0
		.amdhsa_system_sgpr_private_segment_wavefront_offset 0
		.amdhsa_system_sgpr_workgroup_id_x 1
		.amdhsa_system_sgpr_workgroup_id_y 1
		.amdhsa_system_sgpr_workgroup_id_z 1
		.amdhsa_system_sgpr_workgroup_info 0
		.amdhsa_system_vgpr_workitem_id 0
		.amdhsa_next_free_vgpr 15
		.amdhsa_next_free_sgpr 24
		.amdhsa_reserve_vcc 1
		.amdhsa_reserve_flat_scratch 0
		.amdhsa_float_round_mode_32 0
		.amdhsa_float_round_mode_16_64 0
		.amdhsa_float_denorm_mode_32 3
		.amdhsa_float_denorm_mode_16_64 3
		.amdhsa_dx10_clamp 1
		.amdhsa_ieee_mode 1
		.amdhsa_fp16_overflow 0
		.amdhsa_workgroup_processor_mode 1
		.amdhsa_memory_ordered 1
		.amdhsa_forward_progress 1
		.amdhsa_shared_vgpr_count 0
		.amdhsa_exception_fp_ieee_invalid_op 0
		.amdhsa_exception_fp_denorm_src 0
		.amdhsa_exception_fp_ieee_div_zero 0
		.amdhsa_exception_fp_ieee_overflow 0
		.amdhsa_exception_fp_ieee_underflow 0
		.amdhsa_exception_fp_ieee_inexact 0
		.amdhsa_exception_int_div_zero 0
	.end_amdhsa_kernel
	.section	.text._ZL33flash_attn_stream_k_fixup_uniformILi72ELi1ELi8EEvPfPK15HIP_vector_typeIfLj2EEiiiiiiS1_IjLj3EES5_S5_,"axG",@progbits,_ZL33flash_attn_stream_k_fixup_uniformILi72ELi1ELi8EEvPfPK15HIP_vector_typeIfLj2EEiiiiiiS1_IjLj3EES5_S5_,comdat
.Lfunc_end15:
	.size	_ZL33flash_attn_stream_k_fixup_uniformILi72ELi1ELi8EEvPfPK15HIP_vector_typeIfLj2EEiiiiiiS1_IjLj3EES5_S5_, .Lfunc_end15-_ZL33flash_attn_stream_k_fixup_uniformILi72ELi1ELi8EEvPfPK15HIP_vector_typeIfLj2EEiiiiiiS1_IjLj3EES5_S5_
                                        ; -- End function
	.set _ZL33flash_attn_stream_k_fixup_uniformILi72ELi1ELi8EEvPfPK15HIP_vector_typeIfLj2EEiiiiiiS1_IjLj3EES5_S5_.num_vgpr, 15
	.set _ZL33flash_attn_stream_k_fixup_uniformILi72ELi1ELi8EEvPfPK15HIP_vector_typeIfLj2EEiiiiiiS1_IjLj3EES5_S5_.num_agpr, 0
	.set _ZL33flash_attn_stream_k_fixup_uniformILi72ELi1ELi8EEvPfPK15HIP_vector_typeIfLj2EEiiiiiiS1_IjLj3EES5_S5_.numbered_sgpr, 24
	.set _ZL33flash_attn_stream_k_fixup_uniformILi72ELi1ELi8EEvPfPK15HIP_vector_typeIfLj2EEiiiiiiS1_IjLj3EES5_S5_.num_named_barrier, 0
	.set _ZL33flash_attn_stream_k_fixup_uniformILi72ELi1ELi8EEvPfPK15HIP_vector_typeIfLj2EEiiiiiiS1_IjLj3EES5_S5_.private_seg_size, 0
	.set _ZL33flash_attn_stream_k_fixup_uniformILi72ELi1ELi8EEvPfPK15HIP_vector_typeIfLj2EEiiiiiiS1_IjLj3EES5_S5_.uses_vcc, 1
	.set _ZL33flash_attn_stream_k_fixup_uniformILi72ELi1ELi8EEvPfPK15HIP_vector_typeIfLj2EEiiiiiiS1_IjLj3EES5_S5_.uses_flat_scratch, 0
	.set _ZL33flash_attn_stream_k_fixup_uniformILi72ELi1ELi8EEvPfPK15HIP_vector_typeIfLj2EEiiiiiiS1_IjLj3EES5_S5_.has_dyn_sized_stack, 0
	.set _ZL33flash_attn_stream_k_fixup_uniformILi72ELi1ELi8EEvPfPK15HIP_vector_typeIfLj2EEiiiiiiS1_IjLj3EES5_S5_.has_recursion, 0
	.set _ZL33flash_attn_stream_k_fixup_uniformILi72ELi1ELi8EEvPfPK15HIP_vector_typeIfLj2EEiiiiiiS1_IjLj3EES5_S5_.has_indirect_call, 0
	.section	.AMDGPU.csdata,"",@progbits
; Kernel info:
; codeLenInByte = 836
; TotalNumSgprs: 26
; NumVgprs: 15
; ScratchSize: 0
; MemoryBound: 0
; FloatMode: 240
; IeeeMode: 1
; LDSByteSize: 0 bytes/workgroup (compile time only)
; SGPRBlocks: 0
; VGPRBlocks: 1
; NumSGPRsForWavesPerEU: 26
; NumVGPRsForWavesPerEU: 15
; Occupancy: 16
; WaveLimiterHint : 0
; COMPUTE_PGM_RSRC2:SCRATCH_EN: 0
; COMPUTE_PGM_RSRC2:USER_SGPR: 6
; COMPUTE_PGM_RSRC2:TRAP_HANDLER: 0
; COMPUTE_PGM_RSRC2:TGID_X_EN: 1
; COMPUTE_PGM_RSRC2:TGID_Y_EN: 1
; COMPUTE_PGM_RSRC2:TGID_Z_EN: 1
; COMPUTE_PGM_RSRC2:TIDIG_COMP_CNT: 0
	.section	.text._ZL33flash_attn_stream_k_fixup_generalILi72ELi1ELi8EEvPfPK15HIP_vector_typeIfLj2EEiiiiS1_IjLj3EES5_S5_S5_,"axG",@progbits,_ZL33flash_attn_stream_k_fixup_generalILi72ELi1ELi8EEvPfPK15HIP_vector_typeIfLj2EEiiiiS1_IjLj3EES5_S5_S5_,comdat
	.globl	_ZL33flash_attn_stream_k_fixup_generalILi72ELi1ELi8EEvPfPK15HIP_vector_typeIfLj2EEiiiiS1_IjLj3EES5_S5_S5_ ; -- Begin function _ZL33flash_attn_stream_k_fixup_generalILi72ELi1ELi8EEvPfPK15HIP_vector_typeIfLj2EEiiiiS1_IjLj3EES5_S5_S5_
	.p2align	8
	.type	_ZL33flash_attn_stream_k_fixup_generalILi72ELi1ELi8EEvPfPK15HIP_vector_typeIfLj2EEiiiiS1_IjLj3EES5_S5_S5_,@function
_ZL33flash_attn_stream_k_fixup_generalILi72ELi1ELi8EEvPfPK15HIP_vector_typeIfLj2EEiiiiS1_IjLj3EES5_S5_S5_: ; @_ZL33flash_attn_stream_k_fixup_generalILi72ELi1ELi8EEvPfPK15HIP_vector_typeIfLj2EEiiiiS1_IjLj3EES5_S5_S5_
; %bb.0:
	s_clause 0x1
	s_load_dwordx4 s[0:3], s[4:5], 0x10
	s_load_dword s9, s[4:5], 0x50
	s_mov_b32 s16, 0
	s_waitcnt lgkmcnt(0)
	s_mul_hi_i32 s17, s3, s6
	s_mul_i32 s18, s3, s6
	s_cmp_lg_u64 s[16:17], 0
	s_cbranch_scc0 .LBB16_21
; %bb.1:
	s_add_u32 s10, s9, 0
	s_addc_u32 s11, 0, 0
	s_xor_b64 s[10:11], s[10:11], 0
	v_cvt_f32_u32_e32 v1, s10
	v_cvt_f32_u32_e32 v2, s11
	s_sub_u32 s14, 0, s10
	s_subb_u32 s15, 0, s11
	v_fmamk_f32 v1, v2, 0x4f800000, v1
	v_rcp_f32_e32 v1, v1
	v_mul_f32_e32 v1, 0x5f7ffffc, v1
	v_mul_f32_e32 v2, 0x2f800000, v1
	v_trunc_f32_e32 v2, v2
	v_fmamk_f32 v1, v2, 0xcf800000, v1
	v_cvt_u32_f32_e32 v2, v2
	v_cvt_u32_f32_e32 v1, v1
	v_readfirstlane_b32 s12, v2
	v_readfirstlane_b32 s13, v1
	s_mul_i32 s19, s14, s12
	s_mul_hi_u32 s21, s14, s13
	s_mul_i32 s20, s15, s13
	s_add_i32 s19, s21, s19
	s_mul_i32 s22, s14, s13
	s_add_i32 s19, s19, s20
	s_mul_hi_u32 s21, s13, s22
	s_mul_i32 s24, s13, s19
	s_mul_hi_u32 s23, s12, s22
	s_mul_i32 s20, s12, s22
	s_mul_hi_u32 s22, s13, s19
	s_add_u32 s21, s21, s24
	s_addc_u32 s22, 0, s22
	s_mul_hi_u32 s25, s12, s19
	s_add_u32 s20, s21, s20
	s_mul_i32 s19, s12, s19
	s_addc_u32 s20, s22, s23
	s_addc_u32 s21, s25, 0
	s_add_u32 s19, s20, s19
	s_addc_u32 s20, 0, s21
	s_add_u32 s13, s13, s19
	s_cselect_b32 s19, -1, 0
	s_mul_hi_u32 s21, s14, s13
	s_cmp_lg_u32 s19, 0
	s_mul_i32 s19, s14, s13
	s_addc_u32 s12, s12, s20
	s_mul_i32 s15, s15, s13
	s_mul_i32 s14, s14, s12
	s_mul_hi_u32 s20, s13, s19
	s_add_i32 s14, s21, s14
	s_mul_hi_u32 s21, s12, s19
	s_add_i32 s14, s14, s15
	s_mul_i32 s15, s12, s19
	s_mul_i32 s23, s13, s14
	s_mul_hi_u32 s22, s13, s14
	s_add_u32 s20, s20, s23
	s_addc_u32 s22, 0, s22
	s_mul_hi_u32 s19, s12, s14
	s_add_u32 s15, s20, s15
	s_mul_i32 s14, s12, s14
	s_addc_u32 s15, s22, s21
	s_addc_u32 s19, s19, 0
	s_add_u32 s14, s15, s14
	s_addc_u32 s15, 0, s19
	s_add_u32 s19, s13, s14
	s_cselect_b32 s13, -1, 0
	s_cmp_lg_u32 s13, 0
	s_addc_u32 s20, s12, s15
	s_ashr_i32 s12, s17, 31
	s_add_u32 s14, s18, s12
	s_mov_b32 s13, s12
	s_addc_u32 s15, s17, s12
	s_xor_b64 s[14:15], s[14:15], s[12:13]
	s_mul_i32 s21, s14, s20
	s_mul_hi_u32 s22, s14, s19
	s_mul_hi_u32 s17, s14, s20
	s_mul_hi_u32 s24, s15, s19
	s_mul_i32 s19, s15, s19
	s_add_u32 s21, s22, s21
	s_addc_u32 s17, 0, s17
	s_mul_hi_u32 s23, s15, s20
	s_add_u32 s19, s21, s19
	s_mul_i32 s20, s15, s20
	s_addc_u32 s17, s17, s24
	s_addc_u32 s19, s23, 0
	s_add_u32 s17, s17, s20
	s_addc_u32 s19, 0, s19
	s_mul_hi_u32 s20, s10, s17
	s_mul_i32 s21, s10, s19
	s_mul_i32 s22, s11, s17
	s_add_i32 s20, s20, s21
	s_mul_i32 s21, s10, s17
	s_add_i32 s20, s20, s22
	s_sub_i32 s22, s15, s20
	s_sub_u32 s14, s14, s21
	s_cselect_b32 s21, -1, 0
	s_cmp_lg_u32 s21, 0
	s_subb_u32 s22, s22, s11
	s_sub_u32 s23, s14, s10
	s_cselect_b32 s24, -1, 0
	s_cmp_lg_u32 s24, 0
	s_subb_u32 s22, s22, 0
	s_cmp_ge_u32 s22, s11
	s_cselect_b32 s24, -1, 0
	s_cmp_ge_u32 s23, s10
	s_cselect_b32 s23, -1, 0
	s_cmp_eq_u32 s22, s11
	s_cselect_b32 s22, s23, s24
	s_add_u32 s23, s17, 1
	s_addc_u32 s24, s19, 0
	s_add_u32 s25, s17, 2
	s_addc_u32 s26, s19, 0
	s_cmp_lg_u32 s22, 0
	s_cselect_b32 s22, s25, s23
	s_cselect_b32 s23, s26, s24
	s_cmp_lg_u32 s21, 0
	s_subb_u32 s15, s15, s20
	s_cmp_ge_u32 s15, s11
	s_cselect_b32 s20, -1, 0
	s_cmp_ge_u32 s14, s10
	s_cselect_b32 s10, -1, 0
	s_cmp_eq_u32 s15, s11
	s_cselect_b32 s10, s10, s20
	s_cmp_lg_u32 s10, 0
	s_cselect_b32 s11, s23, s19
	s_cselect_b32 s10, s22, s17
	s_xor_b64 s[12:13], s[12:13], 0
	s_xor_b64 s[10:11], s[10:11], s[12:13]
	s_sub_u32 s10, s10, s12
	s_load_dwordx4 s[12:15], s[4:5], 0x44
	s_andn2_b32 vcc_lo, exec_lo, s16
	s_cbranch_vccnz .LBB16_3
.LBB16_2:
	v_cvt_f32_u32_e32 v1, s9
	s_sub_i32 s11, 0, s9
	v_rcp_iflag_f32_e32 v1, v1
	v_mul_f32_e32 v1, 0x4f7ffffe, v1
	v_cvt_u32_f32_e32 v1, v1
	v_readfirstlane_b32 s10, v1
	s_mul_i32 s11, s11, s10
	s_mul_hi_u32 s11, s10, s11
	s_add_i32 s10, s10, s11
	s_mul_hi_u32 s10, s18, s10
	s_mul_i32 s11, s10, s9
	s_waitcnt lgkmcnt(0)
	s_add_i32 s15, s10, 1
	s_sub_i32 s11, s18, s11
	s_sub_i32 s16, s11, s9
	s_cmp_ge_u32 s11, s9
	s_cselect_b32 s10, s15, s10
	s_cselect_b32 s11, s16, s11
	s_add_i32 s15, s10, 1
	s_cmp_ge_u32 s11, s9
	s_cselect_b32 s10, s15, s10
.LBB16_3:
	s_add_i32 s11, s6, 1
	s_mov_b32 s16, 0
	s_mul_hi_i32 s17, s3, s11
	s_mul_i32 s11, s3, s11
	s_cmp_lg_u64 s[16:17], 0
	s_cbranch_scc0 .LBB16_22
; %bb.4:
	s_add_u32 s18, s9, 0
	s_addc_u32 s19, 0, 0
	s_xor_b64 s[18:19], s[18:19], 0
	v_cvt_f32_u32_e32 v1, s18
	v_cvt_f32_u32_e32 v2, s19
	s_sub_u32 s21, 0, s18
	s_subb_u32 s22, 0, s19
	v_fmamk_f32 v1, v2, 0x4f800000, v1
	v_rcp_f32_e32 v1, v1
	v_mul_f32_e32 v1, 0x5f7ffffc, v1
	v_mul_f32_e32 v2, 0x2f800000, v1
	v_trunc_f32_e32 v2, v2
	v_fmamk_f32 v1, v2, 0xcf800000, v1
	v_cvt_u32_f32_e32 v2, v2
	v_cvt_u32_f32_e32 v1, v1
	s_waitcnt lgkmcnt(0)
	v_readfirstlane_b32 s15, v2
	v_readfirstlane_b32 s20, v1
	s_mul_i32 s23, s21, s15
	s_mul_hi_u32 s25, s21, s20
	s_mul_i32 s24, s22, s20
	s_add_i32 s23, s25, s23
	s_mul_i32 s26, s21, s20
	s_add_i32 s23, s23, s24
	s_mul_hi_u32 s25, s20, s26
	s_mul_i32 s28, s20, s23
	s_mul_hi_u32 s27, s15, s26
	s_mul_i32 s24, s15, s26
	s_mul_hi_u32 s26, s20, s23
	s_add_u32 s25, s25, s28
	s_addc_u32 s26, 0, s26
	s_mul_hi_u32 s29, s15, s23
	s_add_u32 s24, s25, s24
	s_mul_i32 s23, s15, s23
	s_addc_u32 s24, s26, s27
	s_addc_u32 s25, s29, 0
	s_add_u32 s23, s24, s23
	s_addc_u32 s24, 0, s25
	s_add_u32 s20, s20, s23
	s_cselect_b32 s23, -1, 0
	s_mul_hi_u32 s25, s21, s20
	s_cmp_lg_u32 s23, 0
	s_mul_i32 s23, s21, s20
	s_addc_u32 s15, s15, s24
	s_mul_i32 s22, s22, s20
	s_mul_i32 s21, s21, s15
	s_mul_hi_u32 s24, s20, s23
	s_add_i32 s21, s25, s21
	s_mul_hi_u32 s25, s15, s23
	s_add_i32 s21, s21, s22
	s_mul_i32 s22, s15, s23
	s_mul_i32 s27, s20, s21
	s_mul_hi_u32 s26, s20, s21
	s_add_u32 s24, s24, s27
	s_addc_u32 s26, 0, s26
	s_mul_hi_u32 s23, s15, s21
	s_add_u32 s22, s24, s22
	s_mul_i32 s21, s15, s21
	s_addc_u32 s22, s26, s25
	s_addc_u32 s23, s23, 0
	s_add_u32 s21, s22, s21
	s_addc_u32 s22, 0, s23
	s_add_u32 s24, s20, s21
	s_cselect_b32 s20, -1, 0
	s_cmp_lg_u32 s20, 0
	s_addc_u32 s15, s15, s22
	s_ashr_i32 s20, s17, 31
	s_add_u32 s22, s11, s20
	s_mov_b32 s21, s20
	s_addc_u32 s23, s17, s20
	s_xor_b64 s[22:23], s[22:23], s[20:21]
	s_mul_i32 s25, s22, s15
	s_mul_hi_u32 s26, s22, s24
	s_mul_hi_u32 s17, s22, s15
	;; [unrolled: 1-line block ×3, first 2 shown]
	s_mul_i32 s24, s23, s24
	s_add_u32 s25, s26, s25
	s_addc_u32 s17, 0, s17
	s_mul_hi_u32 s27, s23, s15
	s_add_u32 s24, s25, s24
	s_mul_i32 s15, s23, s15
	s_addc_u32 s17, s17, s28
	s_addc_u32 s24, s27, 0
	s_add_u32 s15, s17, s15
	s_addc_u32 s17, 0, s24
	s_mul_hi_u32 s24, s18, s15
	s_mul_i32 s25, s18, s17
	s_mul_i32 s26, s19, s15
	s_add_i32 s24, s24, s25
	s_mul_i32 s25, s18, s15
	s_add_i32 s24, s24, s26
	s_sub_i32 s26, s23, s24
	s_sub_u32 s22, s22, s25
	s_cselect_b32 s25, -1, 0
	s_cmp_lg_u32 s25, 0
	s_subb_u32 s26, s26, s19
	s_sub_u32 s27, s22, s18
	s_cselect_b32 s28, -1, 0
	s_cmp_lg_u32 s28, 0
	s_subb_u32 s26, s26, 0
	s_cmp_ge_u32 s26, s19
	s_cselect_b32 s28, -1, 0
	s_cmp_ge_u32 s27, s18
	s_cselect_b32 s27, -1, 0
	s_cmp_eq_u32 s26, s19
	s_cselect_b32 s26, s27, s28
	s_add_u32 s27, s15, 1
	s_addc_u32 s28, s17, 0
	s_add_u32 s29, s15, 2
	s_addc_u32 s30, s17, 0
	s_cmp_lg_u32 s26, 0
	s_cselect_b32 s26, s29, s27
	s_cselect_b32 s27, s30, s28
	s_cmp_lg_u32 s25, 0
	s_subb_u32 s23, s23, s24
	s_cmp_ge_u32 s23, s19
	s_cselect_b32 s24, -1, 0
	s_cmp_ge_u32 s22, s18
	s_cselect_b32 s18, -1, 0
	s_cmp_eq_u32 s23, s19
	s_cselect_b32 s18, s18, s24
	s_cmp_lg_u32 s18, 0
	s_cselect_b32 s19, s27, s17
	s_cselect_b32 s18, s26, s15
	s_xor_b64 s[20:21], s[20:21], 0
	s_xor_b64 s[18:19], s[18:19], s[20:21]
	s_sub_u32 s18, s18, s20
	s_andn2_b32 vcc_lo, exec_lo, s16
	s_cbranch_vccnz .LBB16_6
.LBB16_5:
	v_cvt_f32_u32_e32 v1, s9
	s_sub_i32 s16, 0, s9
	v_rcp_iflag_f32_e32 v1, v1
	v_mul_f32_e32 v1, 0x4f7ffffe, v1
	v_cvt_u32_f32_e32 v1, v1
	s_waitcnt lgkmcnt(0)
	v_readfirstlane_b32 s15, v1
	s_mul_i32 s16, s16, s15
	s_mul_hi_u32 s16, s15, s16
	s_add_i32 s15, s15, s16
	s_mul_hi_u32 s15, s11, s15
	s_mul_i32 s16, s15, s9
	s_sub_i32 s11, s11, s16
	s_add_i32 s16, s15, 1
	s_sub_i32 s17, s11, s9
	s_cmp_ge_u32 s11, s9
	s_cselect_b32 s15, s16, s15
	s_cselect_b32 s11, s17, s11
	s_add_i32 s16, s15, 1
	s_cmp_ge_u32 s11, s9
	s_cselect_b32 s18, s16, s15
.LBB16_6:
	s_cmp_eq_u32 s10, s18
	s_waitcnt lgkmcnt(0)
	s_mul_hi_u32 s11, s10, s12
	s_cselect_b32 s15, -1, 0
	s_add_i32 s11, s11, s10
	s_lshr_b32 s11, s11, s13
	s_mul_i32 s16, s11, s14
	s_cmp_eq_u32 s16, s10
	s_mul_hi_u32 s16, s18, s12
	s_cselect_b32 s17, -1, 0
	s_add_i32 s16, s16, s18
	s_lshr_b32 s16, s16, s13
	s_cmp_eq_u32 s11, s16
	s_mul_i32 s16, s16, s14
	s_cselect_b32 s19, -1, 0
	s_cmp_lg_u32 s16, s18
	s_cselect_b32 s16, -1, 0
	s_or_b32 s15, s15, s17
	s_and_b32 s16, s19, s16
	s_or_b32 s15, s15, s16
	s_and_b32 vcc_lo, exec_lo, s15
	s_cbranch_vccnz .LBB16_24
; %bb.7:
	s_load_dwordx8 s[16:23], s[4:5], 0x20
	s_waitcnt lgkmcnt(0)
	s_mul_hi_u32 s15, s10, s16
	s_load_dword s16, s[4:5], 0x40
	s_add_i32 s15, s15, s10
	s_lshr_b32 s15, s15, s17
	s_mul_i32 s17, s15, s18
	s_sub_i32 s17, s10, s17
	s_mul_hi_u32 s18, s17, s19
	s_add_i32 s18, s17, s18
	s_lshr_b32 s20, s18, s20
	s_mul_i32 s18, s20, s21
	s_sub_i32 s17, s17, s18
	s_mul_hi_u32 s18, s17, s22
	s_add_i32 s18, s17, s18
	s_lshr_b32 s18, s18, s23
	s_waitcnt lgkmcnt(0)
	s_mul_i32 s16, s18, s16
	s_lshl_b32 s22, s18, 3
	s_sub_i32 s16, s17, s16
	s_mul_hi_u32 s17, s16, s12
	s_add_i32 s16, s16, s17
	s_lshr_b32 s21, s16, s13
	s_add_i32 s21, s21, s7
	s_cmp_lt_i32 s21, s0
	s_cselect_b32 s16, -1, 0
	s_add_i32 s22, s22, s8
	s_cmp_lt_i32 s22, s2
	s_cselect_b32 s17, -1, 0
	s_and_b32 s16, s16, s17
	s_andn2_b32 vcc_lo, exec_lo, s16
	s_cbranch_vccnz .LBB16_24
; %bb.8:
	s_load_dwordx4 s[16:19], s[4:5], 0x0
	s_mov_b32 s4, 0
	s_lshl_b32 s24, s9, 5
	s_mov_b32 s25, s4
	s_lshl_b32 s5, s7, 3
	s_lshl_b64 s[24:25], s[24:25], 2
	s_mul_i32 s0, s15, s0
	s_add_i32 s5, s5, s8
	s_mul_i32 s20, s20, s2
	v_cvt_f32_u32_e32 v3, s9
	v_rcp_iflag_f32_e32 v3, v3
	s_waitcnt lgkmcnt(0)
	s_add_u32 s2, s18, s24
	s_addc_u32 s15, s19, s25
	s_add_i32 s0, s21, s0
	s_add_i32 s20, s22, s20
	s_mul_i32 s0, s0, s1
	v_mul_f32_e32 v7, 0x4f7ffffe, v3
	s_add_i32 s20, s20, s0
	s_add_i32 s0, s7, s6
	v_mad_u64_u32 v[1:2], null, 0x48, s20, v[0:1]
	s_lshl_b32 s0, s0, 3
	s_add_i32 s0, s0, s8
	s_ashr_i32 s1, s0, 31
	v_ashrrev_i32_e32 v2, 31, v1
	s_lshl_b64 s[0:1], s[0:1], 3
	s_add_u32 s0, s18, s0
	s_addc_u32 s1, s19, s1
	v_lshlrev_b64 v[1:2], 2, v[1:2]
	s_load_dwordx2 s[0:1], s[0:1], 0x0
	v_add_co_u32 v1, vcc_lo, s16, v1
	v_add_co_ci_u32_e64 v2, null, s17, v2, vcc_lo
	s_add_i32 s17, s6, -1
	v_mad_u64_u32 v[3:4], null, 0x48, s5, v[0:1]
	global_load_dword v5, v[1:2], off
	v_cvt_u32_f32_e32 v0, v7
	s_add_i32 s16, s9, s7
	s_waitcnt lgkmcnt(0)
	v_mov_b32_e32 v4, s1
	v_mov_b32_e32 v6, s0
.LBB16_9:                               ; =>This Inner Loop Header: Depth=1
	s_mul_hi_i32 s5, s17, s3
	s_mul_i32 s6, s17, s3
	s_cmp_lg_u64 s[4:5], 0
	s_mov_b32 s7, -1
                                        ; implicit-def: $sgpr0_sgpr1
	s_cbranch_scc0 .LBB16_11
; %bb.10:                               ;   in Loop: Header=BB16_9 Depth=1
	s_add_u32 s0, s9, 0
	s_addc_u32 s1, 0, 0
	s_xor_b64 s[0:1], s[0:1], 0
	v_cvt_f32_u32_e32 v7, s0
	v_cvt_f32_u32_e32 v8, s1
	s_sub_u32 s21, 0, s0
	s_subb_u32 s22, 0, s1
	v_fmac_f32_e32 v7, 0x4f800000, v8
	v_rcp_f32_e32 v7, v7
	v_mul_f32_e32 v7, 0x5f7ffffc, v7
	v_mul_f32_e32 v8, 0x2f800000, v7
	v_trunc_f32_e32 v8, v8
	v_fmac_f32_e32 v7, 0xcf800000, v8
	v_cvt_u32_f32_e32 v8, v8
	v_cvt_u32_f32_e32 v7, v7
	v_readfirstlane_b32 s7, v8
	v_readfirstlane_b32 s20, v7
	s_mul_i32 s23, s21, s7
	s_mul_hi_u32 s25, s21, s20
	s_mul_i32 s24, s22, s20
	s_add_i32 s23, s25, s23
	s_mul_i32 s26, s21, s20
	s_add_i32 s23, s23, s24
	s_mul_hi_u32 s25, s20, s26
	s_mul_i32 s28, s20, s23
	s_mul_hi_u32 s27, s7, s26
	s_mul_i32 s24, s7, s26
	s_mul_hi_u32 s26, s20, s23
	s_add_u32 s25, s25, s28
	s_addc_u32 s26, 0, s26
	s_mul_hi_u32 s29, s7, s23
	s_add_u32 s24, s25, s24
	s_mul_i32 s23, s7, s23
	s_addc_u32 s24, s26, s27
	s_addc_u32 s25, s29, 0
	s_add_u32 s23, s24, s23
	s_addc_u32 s24, 0, s25
	s_add_u32 s20, s20, s23
	s_cselect_b32 s23, -1, 0
	s_mul_hi_u32 s25, s21, s20
	s_cmp_lg_u32 s23, 0
	s_mul_i32 s23, s21, s20
	s_addc_u32 s7, s7, s24
	s_mul_i32 s22, s22, s20
	s_mul_i32 s21, s21, s7
	s_mul_hi_u32 s24, s20, s23
	s_add_i32 s21, s25, s21
	s_mul_hi_u32 s25, s7, s23
	s_add_i32 s21, s21, s22
	s_mul_i32 s22, s7, s23
	s_mul_i32 s27, s20, s21
	s_mul_hi_u32 s26, s20, s21
	s_add_u32 s24, s24, s27
	s_addc_u32 s26, 0, s26
	s_mul_hi_u32 s23, s7, s21
	s_add_u32 s22, s24, s22
	s_mul_i32 s21, s7, s21
	s_addc_u32 s22, s26, s25
	s_addc_u32 s23, s23, 0
	s_add_u32 s21, s22, s21
	s_addc_u32 s22, 0, s23
	s_add_u32 s24, s20, s21
	s_cselect_b32 s20, -1, 0
	s_cmp_lg_u32 s20, 0
	s_addc_u32 s7, s7, s22
	s_ashr_i32 s20, s5, 31
	s_add_u32 s22, s6, s20
	s_mov_b32 s21, s20
	s_addc_u32 s23, s5, s20
	s_xor_b64 s[22:23], s[22:23], s[20:21]
	s_mul_i32 s25, s22, s7
	s_mul_hi_u32 s26, s22, s24
	s_mul_hi_u32 s5, s22, s7
	;; [unrolled: 1-line block ×3, first 2 shown]
	s_mul_i32 s24, s23, s24
	s_add_u32 s25, s26, s25
	s_addc_u32 s5, 0, s5
	s_mul_hi_u32 s27, s23, s7
	s_add_u32 s24, s25, s24
	s_mul_i32 s7, s23, s7
	s_addc_u32 s5, s5, s28
	s_addc_u32 s24, s27, 0
	s_add_u32 s5, s5, s7
	s_addc_u32 s7, 0, s24
	s_mul_hi_u32 s24, s0, s5
	s_mul_i32 s25, s0, s7
	s_mul_i32 s26, s1, s5
	s_add_i32 s24, s24, s25
	s_mul_i32 s25, s0, s5
	s_add_i32 s24, s24, s26
	s_sub_i32 s26, s23, s24
	s_sub_u32 s22, s22, s25
	s_cselect_b32 s25, -1, 0
	s_cmp_lg_u32 s25, 0
	s_subb_u32 s26, s26, s1
	s_sub_u32 s27, s22, s0
	s_cselect_b32 s28, -1, 0
	s_cmp_lg_u32 s28, 0
	s_subb_u32 s26, s26, 0
	s_cmp_ge_u32 s26, s1
	s_cselect_b32 s28, -1, 0
	s_cmp_ge_u32 s27, s0
	s_cselect_b32 s27, -1, 0
	s_cmp_eq_u32 s26, s1
	s_cselect_b32 s26, s27, s28
	s_add_u32 s27, s5, 1
	s_addc_u32 s28, s7, 0
	s_add_u32 s29, s5, 2
	s_addc_u32 s30, s7, 0
	s_cmp_lg_u32 s26, 0
	s_cselect_b32 s26, s29, s27
	s_cselect_b32 s27, s30, s28
	s_cmp_lg_u32 s25, 0
	s_subb_u32 s23, s23, s24
	s_cmp_ge_u32 s23, s1
	s_cselect_b32 s24, -1, 0
	s_cmp_ge_u32 s22, s0
	s_cselect_b32 s0, -1, 0
	s_cmp_eq_u32 s23, s1
	s_cselect_b32 s0, s0, s24
	s_cmp_lg_u32 s0, 0
	s_cselect_b32 s1, s27, s7
	s_cselect_b32 s0, s26, s5
	s_xor_b64 s[20:21], s[20:21], 0
	s_mov_b32 s7, 0
	s_xor_b64 s[0:1], s[0:1], s[20:21]
	s_sub_u32 s0, s0, s20
.LBB16_11:                              ;   in Loop: Header=BB16_9 Depth=1
	s_andn2_b32 vcc_lo, exec_lo, s7
	s_cbranch_vccnz .LBB16_13
; %bb.12:                               ;   in Loop: Header=BB16_9 Depth=1
	v_readfirstlane_b32 s0, v0
	s_sub_i32 s1, 0, s9
	s_mul_i32 s1, s1, s0
	s_mul_hi_u32 s1, s0, s1
	s_add_i32 s0, s0, s1
	s_mul_hi_u32 s0, s6, s0
	s_mul_i32 s1, s0, s9
	s_add_i32 s5, s0, 1
	s_sub_i32 s1, s6, s1
	s_sub_i32 s6, s1, s9
	s_cmp_ge_u32 s1, s9
	s_cselect_b32 s0, s5, s0
	s_cselect_b32 s1, s6, s1
	s_add_i32 s5, s0, 1
	s_cmp_ge_u32 s1, s9
	s_cselect_b32 s0, s5, s0
.LBB16_13:                              ;   in Loop: Header=BB16_9 Depth=1
	s_cmp_lg_u32 s10, s0
	s_mov_b32 s6, -1
                                        ; implicit-def: $sgpr5
                                        ; implicit-def: $vgpr8
                                        ; implicit-def: $vgpr7
                                        ; implicit-def: $vgpr9
                                        ; implicit-def: $sgpr1
                                        ; implicit-def: $sgpr20
	s_cbranch_scc0 .LBB16_18
; %bb.14:                               ;   in Loop: Header=BB16_9 Depth=1
	s_add_i32 s1, s16, s17
	s_mov_b32 s7, s4
	s_lshl_b32 s1, s1, 3
	s_mov_b32 s20, s10
	s_add_i32 s6, s1, s8
	s_mul_hi_u32 s1, s0, s12
	s_lshl_b64 s[6:7], s[6:7], 3
	s_add_u32 s6, s18, s6
	s_addc_u32 s7, s19, s7
	s_add_i32 s1, s1, s0
	s_lshr_b32 s1, s1, s13
	s_mul_i32 s5, s1, s14
	s_cmp_eq_u32 s5, s0
	s_cselect_b32 s5, -1, 0
	s_cmp_lt_u32 s1, s11
	s_cselect_b32 s1, -1, 0
	s_or_b32 s1, s1, s5
	s_mov_b32 s5, -1
	s_and_b32 vcc_lo, exec_lo, s1
	s_mov_b32 s1, s17
	s_cbranch_vccnz .LBB16_16
; %bb.15:                               ;   in Loop: Header=BB16_9 Depth=1
	s_add_i32 s1, s17, -1
	s_mov_b32 s5, 0
	s_mov_b32 s20, s0
.LBB16_16:                              ;   in Loop: Header=BB16_9 Depth=1
	v_mad_u64_u32 v[7:8], null, 0x240, s17, v[3:4]
	s_load_dwordx2 s[6:7], s[6:7], 0x0
	v_ashrrev_i32_e32 v8, 31, v7
	v_lshlrev_b64 v[7:8], 2, v[7:8]
	v_add_co_u32 v7, vcc_lo, s2, v7
	v_add_co_ci_u32_e64 v8, null, s15, v8, vcc_lo
	s_waitcnt lgkmcnt(0)
	v_max_f32_e64 v9, s6, s6
	global_load_dword v8, v[7:8], off
	v_max_f32_e32 v7, v6, v6
	v_max_f32_e32 v7, v7, v9
	v_sub_f32_e32 v9, s6, v7
	v_sub_f32_e32 v10, v6, v7
	v_mul_f32_e32 v11, 0x3fb8aa3b, v9
	v_mul_f32_e32 v12, 0x3fb8aa3b, v10
	v_cmp_ngt_f32_e32 vcc_lo, 0xc2ce8ed0, v9
	v_fma_f32 v13, 0x3fb8aa3b, v9, -v11
	v_rndne_f32_e32 v14, v11
	v_fma_f32 v15, 0x3fb8aa3b, v10, -v12
	v_rndne_f32_e32 v16, v12
	v_fmac_f32_e32 v13, 0x32a5705f, v9
	v_sub_f32_e32 v11, v11, v14
	v_fmac_f32_e32 v15, 0x32a5705f, v10
	v_sub_f32_e32 v12, v12, v16
	v_add_f32_e32 v11, v11, v13
	v_cvt_i32_f32_e32 v13, v14
	v_add_f32_e32 v12, v12, v15
	v_cvt_i32_f32_e32 v14, v16
	v_exp_f32_e32 v11, v11
	v_exp_f32_e32 v12, v12
	v_ldexp_f32 v11, v11, v13
	v_ldexp_f32 v12, v12, v14
	v_cndmask_b32_e32 v11, 0, v11, vcc_lo
	v_cmp_ngt_f32_e32 vcc_lo, 0xc2ce8ed0, v10
	v_cndmask_b32_e32 v12, 0, v12, vcc_lo
	v_cmp_nlt_f32_e32 vcc_lo, 0x42b17218, v9
	v_cndmask_b32_e32 v11, 0x7f800000, v11, vcc_lo
	v_cmp_nlt_f32_e32 vcc_lo, 0x42b17218, v10
	v_cndmask_b32_e32 v12, 0x7f800000, v12, vcc_lo
	v_cmp_le_f32_e32 vcc_lo, 0xc1a00000, v9
	v_cndmask_b32_e32 v9, 0, v11, vcc_lo
	v_cmp_le_f32_e32 vcc_lo, 0xc1a00000, v10
	v_cndmask_b32_e32 v10, 0, v12, vcc_lo
	s_waitcnt vmcnt(0)
	v_mul_f32_e32 v8, v8, v9
	v_mul_f32_e32 v9, s7, v9
	v_fmac_f32_e32 v8, v5, v10
	v_fmac_f32_e32 v9, v4, v10
	s_cbranch_execz .LBB16_19
.LBB16_17:                              ;   in Loop: Header=BB16_9 Depth=1
	s_andn2_b32 vcc_lo, exec_lo, s5
	s_cbranch_vccnz .LBB16_20
	s_branch .LBB16_23
.LBB16_18:                              ;   in Loop: Header=BB16_9 Depth=1
	s_andn2_b32 vcc_lo, exec_lo, s6
	s_cbranch_vccnz .LBB16_17
.LBB16_19:                              ;   in Loop: Header=BB16_9 Depth=1
	v_mov_b32_e32 v9, v4
	v_mov_b32_e32 v7, v6
	s_waitcnt vmcnt(0)
	v_mov_b32_e32 v8, v5
	s_add_i32 s1, s17, -1
	s_mov_b32 s20, s10
	s_cbranch_execz .LBB16_23
.LBB16_20:                              ;   in Loop: Header=BB16_9 Depth=1
	v_mov_b32_e32 v4, v9
	v_mov_b32_e32 v6, v7
	s_waitcnt vmcnt(0)
	v_mov_b32_e32 v5, v8
	s_mov_b32 s10, s20
	s_mov_b32 s17, s1
	s_branch .LBB16_9
.LBB16_21:
                                        ; implicit-def: $sgpr10_sgpr11
	s_load_dwordx4 s[12:15], s[4:5], 0x44
	s_branch .LBB16_2
.LBB16_22:
                                        ; implicit-def: $sgpr18_sgpr19
	s_branch .LBB16_5
.LBB16_23:
	v_div_scale_f32 v0, null, v9, v9, v8
	v_rcp_f32_e32 v3, v0
	v_fma_f32 v4, -v0, v3, 1.0
	v_fmac_f32_e32 v3, v4, v3
	v_div_scale_f32 v4, vcc_lo, v8, v9, v8
	s_waitcnt vmcnt(0)
	v_mul_f32_e32 v5, v4, v3
	v_fma_f32 v6, -v0, v5, v4
	v_fmac_f32_e32 v5, v6, v3
	v_fma_f32 v0, -v0, v5, v4
	v_div_fmas_f32 v0, v0, v3, v5
	v_div_fixup_f32 v0, v0, v9, v8
	global_store_dword v[1:2], v0, off
.LBB16_24:
	s_endpgm
	.section	.rodata,"a",@progbits
	.p2align	6, 0x0
	.amdhsa_kernel _ZL33flash_attn_stream_k_fixup_generalILi72ELi1ELi8EEvPfPK15HIP_vector_typeIfLj2EEiiiiS1_IjLj3EES5_S5_S5_
		.amdhsa_group_segment_fixed_size 0
		.amdhsa_private_segment_fixed_size 0
		.amdhsa_kernarg_size 336
		.amdhsa_user_sgpr_count 6
		.amdhsa_user_sgpr_private_segment_buffer 1
		.amdhsa_user_sgpr_dispatch_ptr 0
		.amdhsa_user_sgpr_queue_ptr 0
		.amdhsa_user_sgpr_kernarg_segment_ptr 1
		.amdhsa_user_sgpr_dispatch_id 0
		.amdhsa_user_sgpr_flat_scratch_init 0
		.amdhsa_user_sgpr_private_segment_size 0
		.amdhsa_wavefront_size32 1
		.amdhsa_uses_dynamic_stack 0
		.amdhsa_system_sgpr_private_segment_wavefront_offset 0
		.amdhsa_system_sgpr_workgroup_id_x 1
		.amdhsa_system_sgpr_workgroup_id_y 1
		.amdhsa_system_sgpr_workgroup_id_z 1
		.amdhsa_system_sgpr_workgroup_info 0
		.amdhsa_system_vgpr_workitem_id 0
		.amdhsa_next_free_vgpr 17
		.amdhsa_next_free_sgpr 31
		.amdhsa_reserve_vcc 1
		.amdhsa_reserve_flat_scratch 0
		.amdhsa_float_round_mode_32 0
		.amdhsa_float_round_mode_16_64 0
		.amdhsa_float_denorm_mode_32 3
		.amdhsa_float_denorm_mode_16_64 3
		.amdhsa_dx10_clamp 1
		.amdhsa_ieee_mode 1
		.amdhsa_fp16_overflow 0
		.amdhsa_workgroup_processor_mode 1
		.amdhsa_memory_ordered 1
		.amdhsa_forward_progress 1
		.amdhsa_shared_vgpr_count 0
		.amdhsa_exception_fp_ieee_invalid_op 0
		.amdhsa_exception_fp_denorm_src 0
		.amdhsa_exception_fp_ieee_div_zero 0
		.amdhsa_exception_fp_ieee_overflow 0
		.amdhsa_exception_fp_ieee_underflow 0
		.amdhsa_exception_fp_ieee_inexact 0
		.amdhsa_exception_int_div_zero 0
	.end_amdhsa_kernel
	.section	.text._ZL33flash_attn_stream_k_fixup_generalILi72ELi1ELi8EEvPfPK15HIP_vector_typeIfLj2EEiiiiS1_IjLj3EES5_S5_S5_,"axG",@progbits,_ZL33flash_attn_stream_k_fixup_generalILi72ELi1ELi8EEvPfPK15HIP_vector_typeIfLj2EEiiiiS1_IjLj3EES5_S5_S5_,comdat
.Lfunc_end16:
	.size	_ZL33flash_attn_stream_k_fixup_generalILi72ELi1ELi8EEvPfPK15HIP_vector_typeIfLj2EEiiiiS1_IjLj3EES5_S5_S5_, .Lfunc_end16-_ZL33flash_attn_stream_k_fixup_generalILi72ELi1ELi8EEvPfPK15HIP_vector_typeIfLj2EEiiiiS1_IjLj3EES5_S5_S5_
                                        ; -- End function
	.set _ZL33flash_attn_stream_k_fixup_generalILi72ELi1ELi8EEvPfPK15HIP_vector_typeIfLj2EEiiiiS1_IjLj3EES5_S5_S5_.num_vgpr, 17
	.set _ZL33flash_attn_stream_k_fixup_generalILi72ELi1ELi8EEvPfPK15HIP_vector_typeIfLj2EEiiiiS1_IjLj3EES5_S5_S5_.num_agpr, 0
	.set _ZL33flash_attn_stream_k_fixup_generalILi72ELi1ELi8EEvPfPK15HIP_vector_typeIfLj2EEiiiiS1_IjLj3EES5_S5_S5_.numbered_sgpr, 31
	.set _ZL33flash_attn_stream_k_fixup_generalILi72ELi1ELi8EEvPfPK15HIP_vector_typeIfLj2EEiiiiS1_IjLj3EES5_S5_S5_.num_named_barrier, 0
	.set _ZL33flash_attn_stream_k_fixup_generalILi72ELi1ELi8EEvPfPK15HIP_vector_typeIfLj2EEiiiiS1_IjLj3EES5_S5_S5_.private_seg_size, 0
	.set _ZL33flash_attn_stream_k_fixup_generalILi72ELi1ELi8EEvPfPK15HIP_vector_typeIfLj2EEiiiiS1_IjLj3EES5_S5_S5_.uses_vcc, 1
	.set _ZL33flash_attn_stream_k_fixup_generalILi72ELi1ELi8EEvPfPK15HIP_vector_typeIfLj2EEiiiiS1_IjLj3EES5_S5_S5_.uses_flat_scratch, 0
	.set _ZL33flash_attn_stream_k_fixup_generalILi72ELi1ELi8EEvPfPK15HIP_vector_typeIfLj2EEiiiiS1_IjLj3EES5_S5_S5_.has_dyn_sized_stack, 0
	.set _ZL33flash_attn_stream_k_fixup_generalILi72ELi1ELi8EEvPfPK15HIP_vector_typeIfLj2EEiiiiS1_IjLj3EES5_S5_S5_.has_recursion, 0
	.set _ZL33flash_attn_stream_k_fixup_generalILi72ELi1ELi8EEvPfPK15HIP_vector_typeIfLj2EEiiiiS1_IjLj3EES5_S5_S5_.has_indirect_call, 0
	.section	.AMDGPU.csdata,"",@progbits
; Kernel info:
; codeLenInByte = 2944
; TotalNumSgprs: 33
; NumVgprs: 17
; ScratchSize: 0
; MemoryBound: 0
; FloatMode: 240
; IeeeMode: 1
; LDSByteSize: 0 bytes/workgroup (compile time only)
; SGPRBlocks: 0
; VGPRBlocks: 2
; NumSGPRsForWavesPerEU: 33
; NumVGPRsForWavesPerEU: 17
; Occupancy: 16
; WaveLimiterHint : 0
; COMPUTE_PGM_RSRC2:SCRATCH_EN: 0
; COMPUTE_PGM_RSRC2:USER_SGPR: 6
; COMPUTE_PGM_RSRC2:TRAP_HANDLER: 0
; COMPUTE_PGM_RSRC2:TGID_X_EN: 1
; COMPUTE_PGM_RSRC2:TGID_Y_EN: 1
; COMPUTE_PGM_RSRC2:TGID_Z_EN: 1
; COMPUTE_PGM_RSRC2:TIDIG_COMP_CNT: 0
	.section	.text._ZL15flash_attn_tileILi72ELi72ELi16ELi4ELb0EEvPKcS1_S1_S1_S1_PKiPfP15HIP_vector_typeIfLj2EEffffjfiS5_IjLj3EEiiiiiiiiiiiliiliiiiil,"axG",@progbits,_ZL15flash_attn_tileILi72ELi72ELi16ELi4ELb0EEvPKcS1_S1_S1_S1_PKiPfP15HIP_vector_typeIfLj2EEffffjfiS5_IjLj3EEiiiiiiiiiiiliiliiiiil,comdat
	.globl	_ZL15flash_attn_tileILi72ELi72ELi16ELi4ELb0EEvPKcS1_S1_S1_S1_PKiPfP15HIP_vector_typeIfLj2EEffffjfiS5_IjLj3EEiiiiiiiiiiiliiliiiiil ; -- Begin function _ZL15flash_attn_tileILi72ELi72ELi16ELi4ELb0EEvPKcS1_S1_S1_S1_PKiPfP15HIP_vector_typeIfLj2EEffffjfiS5_IjLj3EEiiiiiiiiiiiliiliiiiil
	.p2align	8
	.type	_ZL15flash_attn_tileILi72ELi72ELi16ELi4ELb0EEvPKcS1_S1_S1_S1_PKiPfP15HIP_vector_typeIfLj2EEffffjfiS5_IjLj3EEiiiiiiiiiiiliiliiiiil,@function
_ZL15flash_attn_tileILi72ELi72ELi16ELi4ELb0EEvPKcS1_S1_S1_S1_PKiPfP15HIP_vector_typeIfLj2EEffffjfiS5_IjLj3EEiiiiiiiiiiiliiliiiiil: ; @_ZL15flash_attn_tileILi72ELi72ELi16ELi4ELb0EEvPKcS1_S1_S1_S1_PKiPfP15HIP_vector_typeIfLj2EEffffjfiS5_IjLj3EEiiiiiiiiiiiliiliiiiil
; %bb.0:
	s_clause 0x1
	s_load_dwordx4 s[28:31], s[4:5], 0x5c
	s_load_dwordx2 s[38:39], s[4:5], 0x80
	s_mov_b32 s34, s7
	s_mov_b64 s[40:41], 0
	s_waitcnt lgkmcnt(0)
	s_ashr_i32 s0, s31, 31
	s_lshr_b32 s0, s0, 30
	s_add_i32 s0, s31, s0
	s_ashr_i32 s0, s0, 2
	v_cvt_f32_u32_e32 v2, s0
	s_sub_i32 s2, 0, s0
	v_rcp_iflag_f32_e32 v2, v2
	v_mul_f32_e32 v2, 0x4f7ffffe, v2
	v_cvt_u32_f32_e32 v2, v2
	v_readfirstlane_b32 s1, v2
	s_mul_i32 s2, s2, s1
	s_mul_hi_u32 s2, s1, s2
	s_add_i32 s1, s1, s2
	s_mul_hi_u32 s1, s8, s1
	s_mul_i32 s2, s1, s0
	s_add_i32 s3, s1, 1
	s_sub_i32 s2, s8, s2
	s_sub_i32 s7, s2, s0
	s_cmp_ge_u32 s2, s0
	s_cselect_b32 s1, s3, s1
	s_cselect_b32 s2, s7, s2
	s_add_i32 s3, s1, 1
	s_cmp_ge_u32 s2, s0
	s_cselect_b32 s35, s3, s1
	s_abs_i32 s0, s39
	s_lshl_b32 s3, s8, 2
	v_cvt_f32_u32_e32 v2, s0
	s_sub_i32 s2, 0, s0
	s_abs_i32 s8, s31
	s_mul_i32 s7, s35, s31
	v_rcp_iflag_f32_e32 v2, v2
	s_sub_i32 s36, s3, s7
	v_mul_f32_e32 v2, 0x4f7ffffe, v2
	v_cvt_u32_f32_e32 v2, v2
	v_readfirstlane_b32 s1, v2
	s_mul_i32 s2, s2, s1
	s_mul_hi_u32 s2, s1, s2
	s_add_i32 s1, s1, s2
	s_xor_b32 s2, s31, s39
	s_mul_hi_u32 s1, s8, s1
	s_ashr_i32 s2, s2, 31
	s_mul_i32 s3, s1, s0
	s_add_i32 s7, s1, 1
	s_sub_i32 s3, s8, s3
	s_sub_i32 s8, s3, s0
	s_cmp_ge_u32 s3, s0
	s_cselect_b32 s1, s7, s1
	s_cselect_b32 s3, s8, s3
	s_add_i32 s7, s1, 1
	s_cmp_ge_u32 s3, s0
	s_cselect_b32 s0, s7, s1
	s_xor_b32 s0, s0, s2
	s_sub_i32 s39, s0, s2
	s_clause 0x1
	s_load_dwordx16 s[12:27], s[4:5], 0x0
	s_load_dwordx2 s[0:1], s[4:5], 0xb8
	s_abs_i32 s7, s39
	v_cvt_f32_u32_e32 v2, s7
	v_rcp_iflag_f32_e32 v2, v2
	v_mul_f32_e32 v2, 0x4f7ffffe, v2
	s_waitcnt lgkmcnt(0)
	s_cmp_eq_u64 s[18:19], 0
	v_cvt_u32_f32_e32 v2, v2
	v_readfirstlane_b32 s42, v2
	s_cbranch_scc1 .LBB17_2
; %bb.1:
	s_abs_i32 s0, s0
	s_abs_i32 s8, s35
	v_cvt_f32_u32_e32 v2, s0
	s_sub_i32 s3, 0, s0
	v_rcp_iflag_f32_e32 v2, v2
	v_mul_f32_e32 v2, 0x4f7ffffe, v2
	v_cvt_u32_f32_e32 v2, v2
	v_readfirstlane_b32 s2, v2
	s_mul_i32 s3, s3, s2
	s_mul_hi_u32 s3, s2, s3
	s_add_i32 s2, s2, s3
	s_mul_hi_u32 s9, s8, s2
	s_load_dwordx2 s[2:3], s[4:5], 0xc8
	s_mul_i32 s9, s9, s0
	s_sub_i32 s8, s8, s9
	s_ashr_i32 s9, s35, 31
	s_sub_i32 s10, s8, s0
	s_cmp_ge_u32 s8, s0
	s_cselect_b32 s8, s10, s8
	s_sub_i32 s10, s8, s0
	s_cmp_ge_u32 s8, s0
	s_cselect_b32 s0, s10, s8
	s_xor_b32 s0, s0, s9
	s_sub_i32 s0, s0, s9
	s_ashr_i32 s8, s0, 31
	s_waitcnt lgkmcnt(0)
	s_mul_hi_u32 s9, s2, s0
	s_mul_i32 s8, s2, s8
	s_mul_i32 s3, s3, s0
	s_add_i32 s8, s9, s8
	s_mul_i32 s0, s2, s0
	s_add_i32 s8, s8, s3
	s_add_u32 s40, s18, s0
	s_addc_u32 s41, s19, s8
.LBB17_2:
	s_clause 0x1
	s_load_dwordx4 s[44:47], s[4:5], 0x70
	s_load_dword s10, s[4:5], 0x40
	v_lshlrev_b32_e32 v54, 2, v0
	s_lshl_b32 s33, s6, 4
	v_cmp_gt_u32_e64 s0, 18, v0
	v_lshlrev_b32_e32 v2, 3, v0
	v_lshl_add_u32 v3, v1, 1, s33
	v_lshlrev_b32_e32 v4, 2, v54
	s_waitcnt lgkmcnt(0)
	s_mul_i32 s3, s35, s46
	s_mul_i32 s8, s36, s45
	s_ashr_i32 s9, s3, 31
	s_add_u32 s3, s12, s3
	s_addc_u32 s9, s13, s9
	s_ashr_i32 s12, s8, 31
	s_add_u32 s11, s3, s8
	s_mov_b32 s2, s45
	s_addc_u32 s12, s9, s12
	s_ashr_i32 s3, s45, 31
	s_ashr_i32 s45, s44, 31
	s_lshr_b64 s[8:9], s[2:3], 2
	s_lshr_b64 s[2:3], s[44:45], 2
	s_mul_i32 s13, s9, 12
	s_mul_hi_u32 s18, s8, 12
	s_mul_i32 s19, s8, 12
	s_and_saveexec_b32 s37, s0
	s_cbranch_execz .LBB17_4
; %bb.3:
	v_mul_hi_u32 v5, v3, s28
	s_lshl_b64 s[44:45], s[8:9], 2
	v_mad_u32_u24 v21, 0x480, v1, v2
	s_add_u32 s43, s11, s44
	s_addc_u32 s46, s12, s45
	s_lshl_b64 s[44:45], s[8:9], 3
	s_add_u32 s44, s11, s44
	v_add_nc_u32_e32 v5, v3, v5
	s_addc_u32 s45, s12, s45
	s_add_i32 s47, s18, s13
	s_add_u32 s48, s11, s19
	s_addc_u32 s47, s12, s47
	v_lshrrev_b32_e32 v5, s29, v5
	v_mul_lo_u32 v5, v5, s30
	v_sub_nc_u32_e32 v7, v3, v5
	v_mad_u64_u32 v[5:6], null, s2, v7, 0
	v_mad_u64_u32 v[6:7], null, s3, v7, v[6:7]
	v_lshlrev_b64 v[5:6], 2, v[5:6]
	v_add_co_u32 v7, vcc_lo, s11, v5
	v_add_co_ci_u32_e64 v8, null, s12, v6, vcc_lo
	v_add_co_u32 v9, vcc_lo, s43, v5
	v_add_co_ci_u32_e64 v10, null, s46, v6, vcc_lo
	;; [unrolled: 2-line block ×8, first 2 shown]
	s_clause 0x3
	global_load_dwordx4 v[5:8], v[5:6], off
	global_load_dwordx4 v[9:12], v[9:10], off
	;; [unrolled: 1-line block ×4, first 2 shown]
	s_waitcnt vmcnt(3)
	v_fma_mixlo_f16 v5, s10, v5, 0
	v_fma_mixlo_f16 v6, s10, v6, 0
	;; [unrolled: 1-line block ×4, first 2 shown]
	s_waitcnt vmcnt(2)
	v_fma_mixlo_f16 v9, s10, v9, 0
	v_fma_mixlo_f16 v10, s10, v10, 0
	;; [unrolled: 1-line block ×4, first 2 shown]
	s_waitcnt vmcnt(1)
	v_fma_mixlo_f16 v13, s10, v13, 0
	v_fma_mixlo_f16 v14, s10, v14, 0
	s_waitcnt vmcnt(0)
	v_fma_mixlo_f16 v17, s10, v17, 0
	v_fma_mixlo_f16 v18, s10, v18, 0
	v_lshlrev_b32_e32 v6, 16, v6
	v_and_b32_e32 v5, 0xffff, v5
	v_lshlrev_b32_e32 v8, 16, v8
	v_and_b32_e32 v7, 0xffff, v7
	v_lshlrev_b32_e32 v10, 16, v10
	v_and_b32_e32 v9, 0xffff, v9
	v_fma_mixlo_f16 v15, s10, v15, 0
	v_fma_mixlo_f16 v16, s10, v16, 0
	;; [unrolled: 1-line block ×4, first 2 shown]
	v_lshlrev_b32_e32 v12, 16, v12
	v_and_b32_e32 v11, 0xffff, v11
	v_lshlrev_b32_e32 v14, 16, v14
	v_and_b32_e32 v13, 0xffff, v13
	;; [unrolled: 2-line block ×3, first 2 shown]
	v_or_b32_e32 v5, v6, v5
	v_or3_b32 v6, v8, v7, 0
	v_or_b32_e32 v7, v10, v9
	v_lshlrev_b32_e32 v16, 16, v16
	v_and_b32_e32 v15, 0xffff, v15
	v_lshlrev_b32_e32 v20, 16, v20
	v_and_b32_e32 v19, 0xffff, v19
	v_or3_b32 v8, v12, v11, 0
	v_or_b32_e32 v9, v14, v13
	v_or_b32_e32 v11, v18, v17
	v_or3_b32 v5, 0, 0, v5
	v_or3_b32 v7, 0, 0, v7
	;; [unrolled: 1-line block ×6, first 2 shown]
	ds_write2_b64 v21, v[5:6], v[7:8] offset1:18
	ds_write2_b64 v21, v[9:10], v[11:12] offset0:36 offset1:54
.LBB17_4:
	s_or_b32 exec_lo, exec_lo, s37
	v_lshlrev_b32_e32 v5, 3, v1
	v_or_b32_e32 v6, 4, v5
	v_lshrrev_b32_e32 v66, 2, v6
	s_and_saveexec_b32 s37, s0
	s_cbranch_execnz .LBB17_14
; %bb.5:
	s_or_b32 exec_lo, exec_lo, s37
	v_or_b32_e32 v65, 5, v5
	s_and_saveexec_b32 s37, s0
	s_cbranch_execnz .LBB17_15
.LBB17_6:
	s_or_b32 exec_lo, exec_lo, s37
	v_or_b32_e32 v64, 6, v5
	s_and_saveexec_b32 s37, s0
	s_cbranch_execnz .LBB17_16
.LBB17_7:
	s_or_b32 exec_lo, exec_lo, s37
	v_or_b32_e32 v63, 7, v5
	s_and_saveexec_b32 s8, s0
	s_cbranch_execz .LBB17_9
.LBB17_8:
	v_lshrrev_b32_e32 v5, 2, v63
	s_add_i32 s18, s18, s13
	v_mad_u32_u24 v8, 0x90, v63, v2
	v_add_nc_u32_e32 v5, s33, v5
	v_mul_hi_u32 v6, v5, s28
	v_add_nc_u32_e32 v6, v5, v6
	v_lshrrev_b32_e32 v6, s29, v6
	v_mul_lo_u32 v6, v6, s30
	v_sub_nc_u32_e32 v7, v5, v6
	v_mad_u64_u32 v[5:6], null, s2, v7, 0
	s_add_u32 s2, s11, s19
	v_mad_u64_u32 v[6:7], null, s3, v7, v[6:7]
	s_addc_u32 s3, s12, s18
	v_lshlrev_b64 v[5:6], 2, v[5:6]
	v_add_co_u32 v5, vcc_lo, s2, v5
	v_add_co_ci_u32_e64 v6, null, s3, v6, vcc_lo
	v_add_co_u32 v4, vcc_lo, v5, v4
	v_add_co_ci_u32_e64 v5, null, 0, v6, vcc_lo
	global_load_dwordx4 v[4:7], v[4:5], off
	s_waitcnt vmcnt(0)
	v_fma_mixlo_f16 v5, s10, v5, 0
	v_fma_mixlo_f16 v4, s10, v4, 0
	v_fma_mixlo_f16 v6, s10, v6, 0
	v_fma_mixlo_f16 v7, s10, v7, 0
	v_lshlrev_b32_e32 v5, 16, v5
	v_and_b32_e32 v4, 0xffff, v4
	v_and_b32_e32 v6, 0xffff, v6
	v_lshlrev_b32_e32 v7, 16, v7
	v_or_b32_e32 v4, v5, v4
	v_or3_b32 v5, v7, v6, 0
	v_or3_b32 v4, 0, 0, v4
	ds_write_b64 v8, v[4:5]
.LBB17_9:
	s_or_b32 exec_lo, exec_lo, s8
	s_cmp_eq_u64 s[22:23], 0
	s_waitcnt lgkmcnt(0)
	s_barrier
	buffer_gl0_inv
	s_cbranch_scc1 .LBB17_11
; %bb.10:
	s_load_dword s2, s[4:5], 0xd0
	s_mov_b32 s3, 0
	s_waitcnt lgkmcnt(0)
	s_mul_i32 s2, s2, s35
	s_add_i32 s2, s2, s6
	s_lshl_b64 s[2:3], s[2:3], 2
	s_add_u32 s2, s22, s2
	s_addc_u32 s3, s23, s3
	s_load_dword s38, s[2:3], 0x0
.LBB17_11:
	v_mbcnt_lo_u32_b32 v70, -1, 0
	s_lshl_b32 s37, s34, 5
	s_waitcnt lgkmcnt(0)
	s_cmp_lt_i32 s37, s38
	s_cbranch_scc1 .LBB17_17
; %bb.12:
	v_mbcnt_lo_u32_b32 v10, -1, 0
	v_mov_b32_e32 v67, 32
	v_xor_b32_e32 v73, 16, v10
	v_xor_b32_e32 v72, 8, v10
	;; [unrolled: 1-line block ×5, first 2 shown]
	s_cbranch_execz .LBB17_18
; %bb.13:
	v_mov_b32_e32 v42, 0
	v_mov_b32_e32 v87, 0
	v_mov_b32_e32 v9, 0xfeffffff
	v_mov_b32_e32 v8, 0xfeffffff
	v_mov_b32_e32 v7, 0xfeffffff
	v_mov_b32_e32 v6, 0xfeffffff
	v_mov_b32_e32 v5, 0xfeffffff
	v_mov_b32_e32 v4, 0xfeffffff
	v_mov_b32_e32 v3, 0xfeffffff
	v_mov_b32_e32 v2, 0xfeffffff
	v_mov_b32_e32 v88, 0
	v_mov_b32_e32 v89, 0
	v_mov_b32_e32 v90, 0
	v_mov_b32_e32 v91, 0
	v_mov_b32_e32 v92, 0
	v_mov_b32_e32 v93, 0
	v_mov_b32_e32 v94, 0
	v_mov_b32_e32 v43, 0
	v_mov_b32_e32 v40, 0
	v_mov_b32_e32 v41, 0
	v_mov_b32_e32 v38, 0
	v_mov_b32_e32 v39, 0
	v_mov_b32_e32 v36, 0
	v_mov_b32_e32 v37, 0
	v_mov_b32_e32 v34, 0
	v_mov_b32_e32 v35, 0
	v_mov_b32_e32 v32, 0
	v_mov_b32_e32 v33, 0
	v_mov_b32_e32 v30, 0
	v_mov_b32_e32 v31, 0
	v_mov_b32_e32 v29, 0
	v_mov_b32_e32 v28, 0
	s_branch .LBB17_26
.LBB17_14:
	v_add_nc_u32_e32 v7, s33, v66
	v_mad_u32_u24 v11, 0x90, v6, v2
	v_mul_hi_u32 v8, v7, s28
	v_add_nc_u32_e32 v8, v7, v8
	v_lshrrev_b32_e32 v8, s29, v8
	v_mul_lo_u32 v8, v8, s30
	v_sub_nc_u32_e32 v9, v7, v8
	v_mad_u64_u32 v[7:8], null, s2, v9, 0
	v_mad_u64_u32 v[8:9], null, s3, v9, v[8:9]
	v_lshlrev_b64 v[7:8], 2, v[7:8]
	v_add_co_u32 v7, vcc_lo, s11, v7
	v_add_co_ci_u32_e64 v8, null, s12, v8, vcc_lo
	v_add_co_u32 v7, vcc_lo, v7, v4
	v_add_co_ci_u32_e64 v8, null, 0, v8, vcc_lo
	global_load_dwordx4 v[7:10], v[7:8], off
	s_waitcnt vmcnt(0)
	v_fma_mixlo_f16 v8, s10, v8, 0
	v_fma_mixlo_f16 v7, s10, v7, 0
	v_fma_mixlo_f16 v9, s10, v9, 0
	v_fma_mixlo_f16 v10, s10, v10, 0
	v_lshlrev_b32_e32 v8, 16, v8
	v_and_b32_e32 v7, 0xffff, v7
	v_and_b32_e32 v9, 0xffff, v9
	v_lshlrev_b32_e32 v10, 16, v10
	v_or_b32_e32 v8, v8, v7
	v_or3_b32 v7, v10, v9, 0
	v_or3_b32 v6, 0, 0, v8
	ds_write_b64 v11, v[6:7]
	s_or_b32 exec_lo, exec_lo, s37
	v_or_b32_e32 v65, 5, v5
	s_and_saveexec_b32 s37, s0
	s_cbranch_execz .LBB17_6
.LBB17_15:
	v_lshrrev_b32_e32 v6, 2, v65
	s_lshl_b64 s[44:45], s[8:9], 2
	v_mad_u32_u24 v10, 0x90, v65, v2
	s_add_u32 s43, s11, s44
	s_addc_u32 s44, s12, s45
	v_add_nc_u32_e32 v6, s33, v6
	v_mul_hi_u32 v7, v6, s28
	v_add_nc_u32_e32 v7, v6, v7
	v_lshrrev_b32_e32 v7, s29, v7
	v_mul_lo_u32 v7, v7, s30
	v_sub_nc_u32_e32 v8, v6, v7
	v_mad_u64_u32 v[6:7], null, s2, v8, 0
	v_mad_u64_u32 v[7:8], null, s3, v8, v[7:8]
	v_lshlrev_b64 v[6:7], 2, v[6:7]
	v_add_co_u32 v6, vcc_lo, s43, v6
	v_add_co_ci_u32_e64 v7, null, s44, v7, vcc_lo
	v_add_co_u32 v6, vcc_lo, v6, v4
	v_add_co_ci_u32_e64 v7, null, 0, v7, vcc_lo
	global_load_dwordx4 v[6:9], v[6:7], off
	s_waitcnt vmcnt(0)
	v_fma_mixlo_f16 v7, s10, v7, 0
	v_fma_mixlo_f16 v6, s10, v6, 0
	;; [unrolled: 1-line block ×4, first 2 shown]
	v_lshlrev_b32_e32 v7, 16, v7
	v_and_b32_e32 v6, 0xffff, v6
	v_and_b32_e32 v8, 0xffff, v8
	v_lshlrev_b32_e32 v9, 16, v9
	v_or_b32_e32 v6, v7, v6
	v_or3_b32 v7, v9, v8, 0
	v_or3_b32 v6, 0, 0, v6
	ds_write_b64 v10, v[6:7]
	s_or_b32 exec_lo, exec_lo, s37
	v_or_b32_e32 v64, 6, v5
	s_and_saveexec_b32 s37, s0
	s_cbranch_execz .LBB17_7
.LBB17_16:
	v_lshrrev_b32_e32 v6, 2, v64
	s_lshl_b64 s[8:9], s[8:9], 3
	v_mad_u32_u24 v10, 0x90, v64, v2
	s_add_u32 s8, s11, s8
	s_addc_u32 s9, s12, s9
	v_add_nc_u32_e32 v6, s33, v6
	v_mul_hi_u32 v7, v6, s28
	v_add_nc_u32_e32 v7, v6, v7
	v_lshrrev_b32_e32 v7, s29, v7
	v_mul_lo_u32 v7, v7, s30
	v_sub_nc_u32_e32 v8, v6, v7
	v_mad_u64_u32 v[6:7], null, s2, v8, 0
	v_mad_u64_u32 v[7:8], null, s3, v8, v[7:8]
	v_lshlrev_b64 v[6:7], 2, v[6:7]
	v_add_co_u32 v6, vcc_lo, s8, v6
	v_add_co_ci_u32_e64 v7, null, s9, v7, vcc_lo
	v_add_co_u32 v6, vcc_lo, v6, v4
	v_add_co_ci_u32_e64 v7, null, 0, v7, vcc_lo
	global_load_dwordx4 v[6:9], v[6:7], off
	s_waitcnt vmcnt(0)
	v_fma_mixlo_f16 v7, s10, v7, 0
	v_fma_mixlo_f16 v6, s10, v6, 0
	;; [unrolled: 1-line block ×4, first 2 shown]
	v_lshlrev_b32_e32 v7, 16, v7
	v_and_b32_e32 v6, 0xffff, v6
	v_and_b32_e32 v8, 0xffff, v8
	v_lshlrev_b32_e32 v9, 16, v9
	v_or_b32_e32 v6, v7, v6
	v_or3_b32 v7, v9, v8, 0
	v_or3_b32 v6, 0, 0, v6
	ds_write_b64 v10, v[6:7]
	s_or_b32 exec_lo, exec_lo, s37
	v_or_b32_e32 v63, 7, v5
	s_and_saveexec_b32 s8, s0
	s_cbranch_execnz .LBB17_8
	s_branch .LBB17_9
.LBB17_17:
                                        ; implicit-def: $vgpr10
                                        ; implicit-def: $vgpr67
                                        ; implicit-def: $vgpr73
                                        ; implicit-def: $vgpr72
                                        ; implicit-def: $vgpr71
                                        ; implicit-def: $vgpr69
                                        ; implicit-def: $vgpr68
.LBB17_18:
	s_clause 0x1
	s_load_dwordx4 s[8:11], s[4:5], 0x98
	s_load_dwordx2 s[2:3], s[4:5], 0x8c
	v_add_nc_u32_e32 v7, 1, v3
	s_sub_i32 s6, 0, s7
	v_mul_hi_u32 v4, s28, v3
	s_mul_i32 s6, s6, s42
	v_lshrrev_b32_e32 v6, 3, v0
	v_mul_hi_u32 v5, s28, v7
	s_mul_hi_u32 s6, s42, s6
	s_abs_i32 s18, s36
	s_add_i32 s42, s42, s6
	s_ashr_i32 s23, s35, 31
	s_ashr_i32 s22, s39, 31
	s_mul_hi_u32 s6, s18, s42
	v_lshl_add_u32 v9, v1, 2, v6
	v_add_nc_u32_e32 v6, v3, v4
	v_add_nc_u32_e32 v5, v7, v5
	s_ashr_i32 s19, s36, 31
	s_load_dwordx2 s[12:13], s[4:5], 0xa8
	s_ashr_i32 s1, s1, 1
	s_waitcnt lgkmcnt(0)
	s_ashr_i32 s39, s10, 2
	s_ashr_i32 s42, s2, 2
	s_mul_hi_u32 s2, s8, s35
	s_mul_i32 s10, s8, s23
	s_mul_i32 s9, s9, s35
	s_add_i32 s2, s2, s10
	s_mul_i32 s8, s8, s35
	s_mul_i32 s43, s6, s7
	s_add_i32 s2, s2, s9
	s_add_u32 s8, s14, s8
	s_addc_u32 s2, s15, s2
	s_sub_i32 s10, s18, s43
	v_lshrrev_b32_e32 v6, s29, v6
	v_lshrrev_b32_e32 v5, s29, v5
	s_xor_b32 s9, s19, s22
	s_add_i32 s14, s6, 1
	s_sub_i32 s15, s10, s7
	s_cmp_ge_u32 s10, s7
	v_mul_lo_u32 v10, v6, s30
	s_cselect_b32 s6, s14, s6
	s_cselect_b32 s10, s15, s10
	v_mul_lo_u32 v14, v5, s30
	s_add_i32 s14, s6, 1
	s_cmp_ge_u32 s10, s7
	v_and_b32_e32 v12, 28, v54
	s_cselect_b32 s6, s14, s6
	v_lshl_add_u32 v11, v1, 5, v0
	s_xor_b32 s6, s6, s9
	v_mul_u32_u24_e32 v8, 0xa0, v9
	s_sub_i32 s6, s6, s9
	v_lshlrev_b32_e32 v13, 2, v12
	v_sub_nc_u32_e32 v3, v3, v10
	v_sub_nc_u32_e32 v10, v7, v14
	s_mul_i32 s3, s6, s3
	s_mul_hi_u32 s7, s12, s35
	s_mul_i32 s10, s12, s23
	s_mul_i32 s9, s13, s35
	s_ashr_i32 s13, s3, 31
	s_add_u32 s43, s8, s3
	v_mul_lo_u32 v4, s42, v9
	v_mul_lo_u32 v6, s42, v11
	v_add3_u32 v74, v8, v13, 0x2400
	v_mul_lo_u32 v8, s39, v11
	v_mul_lo_u32 v79, v10, s1
	;; [unrolled: 1-line block ×3, first 2 shown]
	s_addc_u32 s44, s2, s13
	s_add_i32 s2, s7, s10
	s_mul_i32 s12, s12, s35
	s_mul_i32 s6, s6, s11
	s_add_i32 s2, s2, s9
	s_add_u32 s3, s16, s12
	s_addc_u32 s2, s17, s2
	s_ashr_i32 s7, s6, 31
	s_add_u32 s45, s3, s6
	s_movk_i32 s3, 0x2480
	v_mul_lo_u32 v78, v3, s1
	s_movk_i32 s1, 0x90
	v_cmp_gt_u32_e32 vcc_lo, 32, v11
	v_ashrrev_i32_e32 v5, 31, v4
	v_ashrrev_i32_e32 v7, 31, v6
	v_mad_u32_u24 v77, 0xa0, v11, s3
	v_mul_u32_u24_e32 v14, 0x90, v9
	v_ashrrev_i32_e32 v9, 31, v8
	v_mad_u32_u24 v81, v11, s1, 0x2480
	v_ashrrev_i32_e32 v11, 31, v10
	v_lshlrev_b32_e32 v3, 4, v0
	v_lshl_add_u32 v80, v1, 9, 0x38e0
	v_lshlrev_b64 v[55:56], 2, v[6:7]
	v_lshlrev_b64 v[57:58], 2, v[4:5]
	;; [unrolled: 1-line block ×4, first 2 shown]
	v_mov_b32_e32 v28, 0
	v_mul_u32_u24_e32 v75, 0xa0, v0
	v_mul_u32_u24_e32 v76, 0x480, v1
	v_add_nc_u32_e32 v82, 0x2400, v2
	v_add3_u32 v83, v14, v13, 0x2400
	v_mov_b32_e32 v18, 0xfeffffff
	v_lshlrev_b32_e32 v84, 2, v12
	v_mov_b32_e32 v67, 32
	v_xor_b32_e32 v73, 16, v70
	v_xor_b32_e32 v72, 8, v70
	;; [unrolled: 1-line block ×5, first 2 shown]
	v_add_nc_u32_e32 v85, v80, v3
	v_mov_b32_e32 v86, 0x10001
	v_mov_b32_e32 v29, 0
	;; [unrolled: 1-line block ×31, first 2 shown]
	s_addc_u32 s46, s2, s7
	s_add_u32 s22, s4, 0xd0
	s_addc_u32 s23, s5, 0
.LBB17_19:                              ; =>This Inner Loop Header: Depth=1
	s_mul_hi_i32 s3, s37, s42
	s_mul_i32 s2, s37, s42
	s_lshl_b64 s[2:3], s[2:3], 2
	s_add_u32 s2, s43, s2
	s_addc_u32 s3, s44, s3
	s_and_saveexec_b32 s6, vcc_lo
	s_cbranch_execz .LBB17_21
; %bb.20:                               ;   in Loop: Header=BB17_19 Depth=1
	v_add_co_u32 v2, s1, s2, v55
	v_add_co_ci_u32_e64 v3, null, s3, v56, s1
	global_load_dwordx4 v[2:5], v[2:3], off offset:128
	s_waitcnt vmcnt(0)
	ds_write_b128 v77, v[2:5]
.LBB17_21:                              ;   in Loop: Header=BB17_19 Depth=1
	s_or_b32 exec_lo, exec_lo, s6
	v_add_co_u32 v2, s1, s2, v57
	v_add_co_ci_u32_e64 v3, null, s3, v58, s1
	v_mov_b32_e32 v6, 0
	v_add_co_u32 v2, s1, v2, v84
	v_add_co_ci_u32_e64 v3, null, 0, v3, s1
	v_mov_b32_e32 v7, 0
	v_mov_b32_e32 v8, 0
	;; [unrolled: 1-line block ×3, first 2 shown]
	global_load_dwordx4 v[2:5], v[2:3], off
	v_add_nc_u32_e32 v27, s37, v0
	s_mul_hi_i32 s29, s37, s39
	s_mul_i32 s28, s37, s39
	s_lshl_b64 s[28:29], s[28:29], 2
	v_add_nc_u32_e32 v26, v27, v78
	v_add_nc_u32_e32 v52, v27, v79
	s_add_u32 s28, s45, s28
	s_addc_u32 s29, s46, s29
	v_ashrrev_i32_e32 v27, 31, v26
	v_ashrrev_i32_e32 v53, 31, v52
	v_lshlrev_b64 v[26:27], 1, v[26:27]
	v_lshlrev_b64 v[52:53], 1, v[52:53]
	v_add_co_u32 v26, s1, s40, v26
	v_add_co_ci_u32_e64 v27, null, s41, v27, s1
	v_add_co_u32 v52, s1, s40, v52
	v_add_co_ci_u32_e64 v53, null, s41, v53, s1
	v_cmp_gt_i32_e64 s1, 32, v73
	s_waitcnt vmcnt(0)
	ds_write_b128 v74, v[2:5]
	s_waitcnt lgkmcnt(0)
	s_barrier
	buffer_gl0_inv
	ds_read_b128 v[44:47], v75 offset:9216
	ds_read_b128 v[48:51], v76
	ds_read_b128 v[87:90], v76 offset:144
	ds_read_b128 v[91:94], v76 offset:288
	;; [unrolled: 1-line block ×7, first 2 shown]
	v_mov_b32_e32 v2, 0
	v_mov_b32_e32 v3, 0
	;; [unrolled: 1-line block ×4, first 2 shown]
	s_waitcnt lgkmcnt(7)
	;;#ASMSTART
	v_dot2_f32_f16 v2, v44, v48, v2
	;;#ASMEND
	;;#ASMSTART
	v_dot2_f32_f16 v2, v45, v49, v2
	;;#ASMEND
	;;#ASMSTART
	v_dot2_f32_f16 v2, v46, v50, v2
	;;#ASMEND
	;;#ASMSTART
	v_dot2_f32_f16 v2, v47, v51, v2
	;;#ASMEND
	s_waitcnt lgkmcnt(6)
	;;#ASMSTART
	v_dot2_f32_f16 v3, v44, v87, v3
	;;#ASMEND
	;;#ASMSTART
	v_dot2_f32_f16 v3, v45, v88, v3
	;;#ASMEND
	;;#ASMSTART
	v_dot2_f32_f16 v3, v46, v89, v3
	;;#ASMEND
	;;#ASMSTART
	v_dot2_f32_f16 v3, v47, v90, v3
	;;#ASMEND
	;; [unrolled: 13-line block ×8, first 2 shown]
	ds_read_b128 v[44:47], v75 offset:9232
	ds_read_b128 v[48:51], v76 offset:16
	;; [unrolled: 1-line block ×9, first 2 shown]
	s_waitcnt lgkmcnt(7)
	;;#ASMSTART
	v_dot2_f32_f16 v2, v44, v48, v2
	;;#ASMEND
	;;#ASMSTART
	v_dot2_f32_f16 v2, v45, v49, v2
	;;#ASMEND
	;;#ASMSTART
	v_dot2_f32_f16 v2, v46, v50, v2
	;;#ASMEND
	;;#ASMSTART
	v_dot2_f32_f16 v2, v47, v51, v2
	;;#ASMEND
	s_waitcnt lgkmcnt(6)
	;;#ASMSTART
	v_dot2_f32_f16 v3, v44, v87, v3
	;;#ASMEND
	;;#ASMSTART
	v_dot2_f32_f16 v3, v45, v88, v3
	;;#ASMEND
	;;#ASMSTART
	v_dot2_f32_f16 v3, v46, v89, v3
	;;#ASMEND
	;;#ASMSTART
	v_dot2_f32_f16 v3, v47, v90, v3
	;;#ASMEND
	;; [unrolled: 13-line block ×8, first 2 shown]
	ds_read_b128 v[44:47], v75 offset:9248
	ds_read_b128 v[48:51], v76 offset:32
	;; [unrolled: 1-line block ×9, first 2 shown]
	s_waitcnt lgkmcnt(7)
	;;#ASMSTART
	v_dot2_f32_f16 v2, v44, v48, v2
	;;#ASMEND
	;;#ASMSTART
	v_dot2_f32_f16 v2, v45, v49, v2
	;;#ASMEND
	;;#ASMSTART
	v_dot2_f32_f16 v2, v46, v50, v2
	;;#ASMEND
	;;#ASMSTART
	v_dot2_f32_f16 v2, v47, v51, v2
	;;#ASMEND
	s_waitcnt lgkmcnt(6)
	;;#ASMSTART
	v_dot2_f32_f16 v3, v44, v87, v3
	;;#ASMEND
	;;#ASMSTART
	v_dot2_f32_f16 v3, v45, v88, v3
	;;#ASMEND
	;;#ASMSTART
	v_dot2_f32_f16 v3, v46, v89, v3
	;;#ASMEND
	;;#ASMSTART
	v_dot2_f32_f16 v3, v47, v90, v3
	;;#ASMEND
	s_waitcnt lgkmcnt(5)
	;;#ASMSTART
	v_dot2_f32_f16 v4, v44, v91, v4
	;;#ASMEND
	;;#ASMSTART
	v_dot2_f32_f16 v4, v45, v92, v4
	;;#ASMEND
	;;#ASMSTART
	v_dot2_f32_f16 v4, v46, v93, v4
	;;#ASMEND
	;;#ASMSTART
	v_dot2_f32_f16 v4, v47, v94, v4
	;;#ASMEND
	s_waitcnt lgkmcnt(4)
	;;#ASMSTART
	v_dot2_f32_f16 v5, v44, v95, v5
	;;#ASMEND
	;;#ASMSTART
	v_dot2_f32_f16 v5, v45, v96, v5
	;;#ASMEND
	;;#ASMSTART
	v_dot2_f32_f16 v5, v46, v97, v5
	;;#ASMEND
	;;#ASMSTART
	v_dot2_f32_f16 v5, v47, v98, v5
	;;#ASMEND
	s_waitcnt lgkmcnt(3)
	;;#ASMSTART
	v_dot2_f32_f16 v6, v44, v99, v6
	;;#ASMEND
	;;#ASMSTART
	v_dot2_f32_f16 v6, v45, v100, v6
	;;#ASMEND
	;;#ASMSTART
	v_dot2_f32_f16 v6, v46, v101, v6
	;;#ASMEND
	;;#ASMSTART
	v_dot2_f32_f16 v6, v47, v102, v6
	;;#ASMEND
	s_waitcnt lgkmcnt(2)
	;;#ASMSTART
	v_dot2_f32_f16 v7, v44, v103, v7
	;;#ASMEND
	;;#ASMSTART
	v_dot2_f32_f16 v7, v45, v104, v7
	;;#ASMEND
	;;#ASMSTART
	v_dot2_f32_f16 v7, v46, v105, v7
	;;#ASMEND
	;;#ASMSTART
	v_dot2_f32_f16 v7, v47, v106, v7
	;;#ASMEND
	s_waitcnt lgkmcnt(1)
	;;#ASMSTART
	v_dot2_f32_f16 v8, v44, v107, v8
	;;#ASMEND
	;;#ASMSTART
	v_dot2_f32_f16 v8, v45, v108, v8
	;;#ASMEND
	;;#ASMSTART
	v_dot2_f32_f16 v8, v46, v109, v8
	;;#ASMEND
	;;#ASMSTART
	v_dot2_f32_f16 v8, v47, v110, v8
	;;#ASMEND
	s_waitcnt lgkmcnt(0)
	;;#ASMSTART
	v_dot2_f32_f16 v9, v44, v111, v9
	;;#ASMEND
	;;#ASMSTART
	v_dot2_f32_f16 v9, v45, v112, v9
	;;#ASMEND
	;;#ASMSTART
	v_dot2_f32_f16 v9, v46, v113, v9
	;;#ASMEND
	;;#ASMSTART
	v_dot2_f32_f16 v9, v47, v114, v9
	;;#ASMEND
	ds_read_b128 v[44:47], v75 offset:9264
	ds_read_b128 v[48:51], v76 offset:48
	;; [unrolled: 1-line block ×9, first 2 shown]
	s_waitcnt lgkmcnt(7)
	;;#ASMSTART
	v_dot2_f32_f16 v2, v44, v48, v2
	;;#ASMEND
	;;#ASMSTART
	v_dot2_f32_f16 v2, v45, v49, v2
	;;#ASMEND
	;;#ASMSTART
	v_dot2_f32_f16 v2, v46, v50, v2
	;;#ASMEND
	;;#ASMSTART
	v_dot2_f32_f16 v2, v47, v51, v2
	;;#ASMEND
	s_waitcnt lgkmcnt(6)
	;;#ASMSTART
	v_dot2_f32_f16 v3, v44, v87, v3
	;;#ASMEND
	;;#ASMSTART
	v_dot2_f32_f16 v3, v45, v88, v3
	;;#ASMEND
	;;#ASMSTART
	v_dot2_f32_f16 v3, v46, v89, v3
	;;#ASMEND
	;;#ASMSTART
	v_dot2_f32_f16 v3, v47, v90, v3
	;;#ASMEND
	;; [unrolled: 13-line block ×8, first 2 shown]
	ds_read_b128 v[44:47], v75 offset:9280
	ds_read_b128 v[48:51], v76 offset:64
	;; [unrolled: 1-line block ×9, first 2 shown]
	s_waitcnt lgkmcnt(7)
	;;#ASMSTART
	v_dot2_f32_f16 v2, v44, v48, v2
	;;#ASMEND
	;;#ASMSTART
	v_dot2_f32_f16 v2, v45, v49, v2
	;;#ASMEND
	;;#ASMSTART
	v_dot2_f32_f16 v2, v46, v50, v2
	;;#ASMEND
	;;#ASMSTART
	v_dot2_f32_f16 v2, v47, v51, v2
	;;#ASMEND
	s_waitcnt lgkmcnt(6)
	;;#ASMSTART
	v_dot2_f32_f16 v3, v44, v87, v3
	;;#ASMEND
	;;#ASMSTART
	v_dot2_f32_f16 v3, v45, v88, v3
	;;#ASMEND
	;;#ASMSTART
	v_dot2_f32_f16 v3, v46, v89, v3
	;;#ASMEND
	;;#ASMSTART
	v_dot2_f32_f16 v3, v47, v90, v3
	;;#ASMEND
	;; [unrolled: 13-line block ×8, first 2 shown]
	ds_read_b128 v[44:47], v75 offset:9296
	ds_read_b128 v[48:51], v76 offset:80
	;; [unrolled: 1-line block ×9, first 2 shown]
	s_waitcnt lgkmcnt(7)
	;;#ASMSTART
	v_dot2_f32_f16 v2, v44, v48, v2
	;;#ASMEND
	;;#ASMSTART
	v_dot2_f32_f16 v2, v45, v49, v2
	;;#ASMEND
	;;#ASMSTART
	v_dot2_f32_f16 v2, v46, v50, v2
	;;#ASMEND
	;;#ASMSTART
	v_dot2_f32_f16 v2, v47, v51, v2
	;;#ASMEND
	s_waitcnt lgkmcnt(6)
	;;#ASMSTART
	v_dot2_f32_f16 v3, v44, v87, v3
	;;#ASMEND
	;;#ASMSTART
	v_dot2_f32_f16 v3, v45, v88, v3
	;;#ASMEND
	;;#ASMSTART
	v_dot2_f32_f16 v3, v46, v89, v3
	;;#ASMEND
	;;#ASMSTART
	v_dot2_f32_f16 v3, v47, v90, v3
	;;#ASMEND
	s_waitcnt lgkmcnt(5)
	;;#ASMSTART
	v_dot2_f32_f16 v4, v44, v91, v4
	;;#ASMEND
	;;#ASMSTART
	v_dot2_f32_f16 v4, v45, v92, v4
	;;#ASMEND
	;;#ASMSTART
	v_dot2_f32_f16 v4, v46, v93, v4
	;;#ASMEND
	;;#ASMSTART
	v_dot2_f32_f16 v4, v47, v94, v4
	;;#ASMEND
	s_waitcnt lgkmcnt(4)
	;;#ASMSTART
	v_dot2_f32_f16 v5, v44, v95, v5
	;;#ASMEND
	;;#ASMSTART
	v_dot2_f32_f16 v5, v45, v96, v5
	;;#ASMEND
	;;#ASMSTART
	v_dot2_f32_f16 v5, v46, v97, v5
	;;#ASMEND
	;;#ASMSTART
	v_dot2_f32_f16 v5, v47, v98, v5
	;;#ASMEND
	s_waitcnt lgkmcnt(3)
	;;#ASMSTART
	v_dot2_f32_f16 v6, v44, v99, v6
	;;#ASMEND
	;;#ASMSTART
	v_dot2_f32_f16 v6, v45, v100, v6
	;;#ASMEND
	;;#ASMSTART
	v_dot2_f32_f16 v6, v46, v101, v6
	;;#ASMEND
	;;#ASMSTART
	v_dot2_f32_f16 v6, v47, v102, v6
	;;#ASMEND
	s_waitcnt lgkmcnt(2)
	;;#ASMSTART
	v_dot2_f32_f16 v7, v44, v103, v7
	;;#ASMEND
	;;#ASMSTART
	v_dot2_f32_f16 v7, v45, v104, v7
	;;#ASMEND
	;;#ASMSTART
	v_dot2_f32_f16 v7, v46, v105, v7
	;;#ASMEND
	;;#ASMSTART
	v_dot2_f32_f16 v7, v47, v106, v7
	;;#ASMEND
	s_waitcnt lgkmcnt(1)
	;;#ASMSTART
	v_dot2_f32_f16 v8, v44, v107, v8
	;;#ASMEND
	;;#ASMSTART
	v_dot2_f32_f16 v8, v45, v108, v8
	;;#ASMEND
	;;#ASMSTART
	v_dot2_f32_f16 v8, v46, v109, v8
	;;#ASMEND
	;;#ASMSTART
	v_dot2_f32_f16 v8, v47, v110, v8
	;;#ASMEND
	s_waitcnt lgkmcnt(0)
	;;#ASMSTART
	v_dot2_f32_f16 v9, v44, v111, v9
	;;#ASMEND
	;;#ASMSTART
	v_dot2_f32_f16 v9, v45, v112, v9
	;;#ASMEND
	;;#ASMSTART
	v_dot2_f32_f16 v9, v46, v113, v9
	;;#ASMEND
	;;#ASMSTART
	v_dot2_f32_f16 v9, v47, v114, v9
	;;#ASMEND
	ds_read_b128 v[44:47], v75 offset:9312
	ds_read_b128 v[48:51], v76 offset:96
	;; [unrolled: 1-line block ×9, first 2 shown]
	s_waitcnt lgkmcnt(7)
	;;#ASMSTART
	v_dot2_f32_f16 v2, v44, v48, v2
	;;#ASMEND
	;;#ASMSTART
	v_dot2_f32_f16 v2, v45, v49, v2
	;;#ASMEND
	;;#ASMSTART
	v_dot2_f32_f16 v2, v46, v50, v2
	;;#ASMEND
	;;#ASMSTART
	v_dot2_f32_f16 v2, v47, v51, v2
	;;#ASMEND
	s_waitcnt lgkmcnt(6)
	;;#ASMSTART
	v_dot2_f32_f16 v3, v44, v87, v3
	;;#ASMEND
	;;#ASMSTART
	v_dot2_f32_f16 v3, v45, v88, v3
	;;#ASMEND
	;;#ASMSTART
	v_dot2_f32_f16 v3, v46, v89, v3
	;;#ASMEND
	;;#ASMSTART
	v_dot2_f32_f16 v3, v47, v90, v3
	;;#ASMEND
	;; [unrolled: 13-line block ×8, first 2 shown]
	ds_read_b128 v[44:47], v75 offset:9328
	ds_read_b128 v[48:51], v76 offset:112
	;; [unrolled: 1-line block ×9, first 2 shown]
	s_waitcnt lgkmcnt(7)
	;;#ASMSTART
	v_dot2_f32_f16 v2, v44, v48, v2
	;;#ASMEND
	;;#ASMSTART
	v_dot2_f32_f16 v2, v45, v49, v2
	;;#ASMEND
	;;#ASMSTART
	v_dot2_f32_f16 v2, v46, v50, v2
	;;#ASMEND
	;;#ASMSTART
	v_dot2_f32_f16 v2, v47, v51, v2
	;;#ASMEND
	s_waitcnt lgkmcnt(6)
	;;#ASMSTART
	v_dot2_f32_f16 v3, v44, v87, v3
	;;#ASMEND
	;;#ASMSTART
	v_dot2_f32_f16 v3, v45, v88, v3
	;;#ASMEND
	;;#ASMSTART
	v_dot2_f32_f16 v3, v46, v89, v3
	;;#ASMEND
	;;#ASMSTART
	v_dot2_f32_f16 v3, v47, v90, v3
	;;#ASMEND
	;; [unrolled: 13-line block ×8, first 2 shown]
	ds_read_b128 v[44:47], v75 offset:9344
	ds_read_b128 v[48:51], v76 offset:128
	;; [unrolled: 1-line block ×9, first 2 shown]
	s_waitcnt lgkmcnt(7)
	;;#ASMSTART
	v_dot2_f32_f16 v2, v44, v48, v2
	;;#ASMEND
	;;#ASMSTART
	v_dot2_f32_f16 v2, v45, v49, v2
	;;#ASMEND
	;;#ASMSTART
	v_dot2_f32_f16 v2, v46, v50, v2
	;;#ASMEND
	;;#ASMSTART
	v_dot2_f32_f16 v2, v47, v51, v2
	;;#ASMEND
	s_waitcnt lgkmcnt(6)
	;;#ASMSTART
	v_dot2_f32_f16 v3, v44, v87, v3
	;;#ASMEND
	;;#ASMSTART
	v_dot2_f32_f16 v3, v45, v88, v3
	;;#ASMEND
	;;#ASMSTART
	v_dot2_f32_f16 v3, v46, v89, v3
	;;#ASMEND
	;;#ASMSTART
	v_dot2_f32_f16 v3, v47, v90, v3
	;;#ASMEND
	;; [unrolled: 13-line block ×8, first 2 shown]
	s_clause 0x1
	global_load_ushort v26, v[26:27], off
	global_load_ushort v27, v[52:53], off
	v_cndmask_b32_e64 v44, v70, v73, s1
	v_max_f32_e32 v45, v18, v18
	v_max_f32_e32 v46, v19, v19
	;; [unrolled: 1-line block ×4, first 2 shown]
	v_lshlrev_b32_e32 v44, 2, v44
	v_max_f32_e32 v48, v21, v21
	v_max_f32_e32 v50, v23, v23
	;; [unrolled: 1-line block ×4, first 2 shown]
	v_cmp_gt_i32_e64 s1, 32, v72
	s_waitcnt vmcnt(0)
	s_barrier
	buffer_gl0_inv
	v_cvt_f32_f16_e32 v26, v26
	v_cvt_f32_f16_e32 v27, v27
	v_add_f32_e32 v53, v2, v26
	v_add_f32_e32 v87, v3, v26
	;; [unrolled: 1-line block ×10, first 2 shown]
	v_max_f32_e32 v2, v45, v2
	v_add_f32_e32 v93, v9, v27
	v_add_f32_e32 v4, 0x40051340, v88
	;; [unrolled: 1-line block ×5, first 2 shown]
	v_max_f32_e32 v3, v46, v3
	v_max_f32_e32 v6, v49, v6
	ds_bpermute_b32 v26, v44, v2
	v_add_f32_e32 v9, 0x40051340, v93
	v_max_f32_e32 v4, v47, v4
	v_max_f32_e32 v5, v48, v5
	;; [unrolled: 1-line block ×4, first 2 shown]
	ds_bpermute_b32 v27, v44, v3
	ds_bpermute_b32 v47, v44, v6
	v_max_f32_e32 v9, v52, v9
	ds_bpermute_b32 v45, v44, v4
	ds_bpermute_b32 v46, v44, v5
	;; [unrolled: 1-line block ×5, first 2 shown]
	v_cndmask_b32_e64 v50, v70, v72, s1
	v_cmp_gt_i32_e64 s1, 32, v71
	v_lshlrev_b32_e32 v50, 2, v50
	s_waitcnt lgkmcnt(7)
	v_max_f32_e32 v26, v26, v26
	v_max_f32_e32 v2, v2, v26
	s_waitcnt lgkmcnt(6)
	v_max_f32_e32 v27, v27, v27
	s_waitcnt lgkmcnt(5)
	;; [unrolled: 2-line block ×6, first 2 shown]
	v_max_f32_e32 v49, v49, v49
	v_max_f32_e32 v3, v3, v27
	;; [unrolled: 1-line block ×3, first 2 shown]
	ds_bpermute_b32 v26, v50, v2
	s_waitcnt lgkmcnt(1)
	v_max_f32_e32 v44, v44, v44
	v_max_f32_e32 v4, v4, v45
	;; [unrolled: 1-line block ×5, first 2 shown]
	ds_bpermute_b32 v27, v50, v3
	ds_bpermute_b32 v46, v50, v6
	v_max_f32_e32 v9, v9, v44
	ds_bpermute_b32 v44, v50, v4
	ds_bpermute_b32 v47, v50, v7
	;; [unrolled: 1-line block ×5, first 2 shown]
	v_cndmask_b32_e64 v50, v70, v71, s1
	v_cmp_gt_i32_e64 s1, 32, v69
	v_lshlrev_b32_e32 v50, 2, v50
	s_waitcnt lgkmcnt(7)
	v_max_f32_e32 v26, v26, v26
	v_max_f32_e32 v2, v2, v26
	s_waitcnt lgkmcnt(6)
	v_max_f32_e32 v27, v27, v27
	s_waitcnt lgkmcnt(5)
	;; [unrolled: 2-line block ×5, first 2 shown]
	v_max_f32_e32 v48, v48, v48
	v_max_f32_e32 v3, v3, v27
	;; [unrolled: 1-line block ×3, first 2 shown]
	ds_bpermute_b32 v26, v50, v2
	s_waitcnt lgkmcnt(2)
	v_max_f32_e32 v45, v45, v45
	s_waitcnt lgkmcnt(1)
	v_max_f32_e32 v49, v49, v49
	v_max_f32_e32 v4, v4, v44
	;; [unrolled: 1-line block ×4, first 2 shown]
	ds_bpermute_b32 v27, v50, v3
	ds_bpermute_b32 v46, v50, v6
	v_max_f32_e32 v5, v5, v45
	v_max_f32_e32 v9, v9, v49
	ds_bpermute_b32 v44, v50, v4
	ds_bpermute_b32 v47, v50, v7
	;; [unrolled: 1-line block ×5, first 2 shown]
	v_cndmask_b32_e64 v50, v70, v69, s1
	v_cmp_gt_i32_e64 s1, 32, v68
	s_waitcnt lgkmcnt(7)
	v_max_f32_e32 v26, v26, v26
	v_lshlrev_b32_e32 v50, 2, v50
	v_max_f32_e32 v2, v2, v26
	s_waitcnt lgkmcnt(6)
	v_max_f32_e32 v27, v27, v27
	s_waitcnt lgkmcnt(5)
	;; [unrolled: 2-line block ×5, first 2 shown]
	v_max_f32_e32 v48, v48, v48
	v_max_f32_e32 v3, v3, v27
	;; [unrolled: 1-line block ×3, first 2 shown]
	ds_bpermute_b32 v26, v50, v2
	s_waitcnt lgkmcnt(2)
	v_max_f32_e32 v45, v45, v45
	s_waitcnt lgkmcnt(1)
	v_max_f32_e32 v49, v49, v49
	v_max_f32_e32 v4, v4, v44
	;; [unrolled: 1-line block ×4, first 2 shown]
	ds_bpermute_b32 v27, v50, v3
	ds_bpermute_b32 v46, v50, v6
	v_max_f32_e32 v5, v5, v45
	v_max_f32_e32 v9, v9, v49
	ds_bpermute_b32 v44, v50, v4
	ds_bpermute_b32 v47, v50, v7
	;; [unrolled: 1-line block ×5, first 2 shown]
	v_cndmask_b32_e64 v50, v70, v68, s1
	s_waitcnt lgkmcnt(7)
	v_max_f32_e32 v26, v26, v26
	v_lshlrev_b32_e32 v50, 2, v50
	v_max_f32_e32 v2, v2, v26
	s_waitcnt lgkmcnt(6)
	v_max_f32_e32 v27, v27, v27
	s_waitcnt lgkmcnt(5)
	;; [unrolled: 2-line block ×5, first 2 shown]
	v_max_f32_e32 v48, v48, v48
	v_max_f32_e32 v3, v3, v27
	;; [unrolled: 1-line block ×3, first 2 shown]
	ds_bpermute_b32 v26, v50, v2
	s_waitcnt lgkmcnt(2)
	v_max_f32_e32 v45, v45, v45
	s_waitcnt lgkmcnt(1)
	v_max_f32_e32 v49, v49, v49
	v_max_f32_e32 v4, v4, v44
	;; [unrolled: 1-line block ×4, first 2 shown]
	ds_bpermute_b32 v27, v50, v3
	ds_bpermute_b32 v46, v50, v6
	v_max_f32_e32 v5, v5, v45
	v_max_f32_e32 v9, v9, v49
	ds_bpermute_b32 v44, v50, v4
	ds_bpermute_b32 v47, v50, v7
	;; [unrolled: 1-line block ×5, first 2 shown]
	s_waitcnt lgkmcnt(7)
	v_max_f32_e32 v26, v26, v26
	v_max_f32_e32 v2, v2, v26
	s_waitcnt lgkmcnt(6)
	v_max_f32_e32 v27, v27, v27
	s_waitcnt lgkmcnt(5)
	;; [unrolled: 2-line block ×5, first 2 shown]
	v_max_f32_e32 v48, v48, v48
	v_max_f32_e32 v3, v3, v27
	;; [unrolled: 1-line block ×3, first 2 shown]
	v_sub_f32_e32 v46, v53, v2
	s_waitcnt lgkmcnt(1)
	v_max_f32_e32 v45, v45, v45
	s_waitcnt lgkmcnt(0)
	v_max_f32_e32 v49, v49, v49
	v_max_f32_e32 v4, v4, v44
	;; [unrolled: 1-line block ×4, first 2 shown]
	v_sub_f32_e32 v47, v87, v3
	v_mul_f32_e32 v50, 0x3fb8aa3b, v46
	v_max_f32_e32 v5, v5, v45
	v_max_f32_e32 v9, v9, v49
	v_sub_f32_e32 v45, v18, v2
	v_sub_f32_e32 v27, v20, v4
	v_sub_f32_e32 v48, v88, v4
	v_sub_f32_e32 v20, v23, v7
	v_sub_f32_e32 v23, v91, v7
	v_sub_f32_e32 v18, v24, v8
	v_sub_f32_e32 v24, v92, v8
	v_mul_f32_e32 v51, 0x3fb8aa3b, v47
	v_fma_f32 v91, 0x3fb8aa3b, v46, -v50
	v_rndne_f32_e32 v92, v50
	v_sub_f32_e32 v44, v19, v3
	v_sub_f32_e32 v49, v89, v5
	;; [unrolled: 1-line block ×4, first 2 shown]
	v_mul_f32_e32 v52, 0x3fb8aa3b, v48
	v_fma_f32 v93, 0x3fb8aa3b, v47, -v51
	v_rndne_f32_e32 v94, v51
	v_fmac_f32_e32 v91, 0x32a5705f, v46
	v_sub_f32_e32 v50, v50, v92
	v_sub_f32_e32 v26, v21, v5
	;; [unrolled: 1-line block ×4, first 2 shown]
	v_mul_f32_e32 v53, 0x3fb8aa3b, v49
	v_fma_f32 v95, 0x3fb8aa3b, v48, -v52
	v_rndne_f32_e32 v96, v52
	v_fmac_f32_e32 v93, 0x32a5705f, v47
	v_sub_f32_e32 v51, v51, v94
	v_add_f32_e32 v50, v50, v91
	v_mul_f32_e32 v87, 0x3fb8aa3b, v22
	v_fma_f32 v97, 0x3fb8aa3b, v49, -v53
	v_rndne_f32_e32 v98, v53
	v_fmac_f32_e32 v95, 0x32a5705f, v48
	v_sub_f32_e32 v52, v52, v96
	v_add_f32_e32 v51, v51, v93
	v_exp_f32_e32 v50, v50
	v_mul_f32_e32 v88, 0x3fb8aa3b, v23
	v_fma_f32 v99, 0x3fb8aa3b, v22, -v87
	v_rndne_f32_e32 v100, v87
	v_cvt_i32_f32_e32 v92, v92
	v_fmac_f32_e32 v97, 0x32a5705f, v49
	v_sub_f32_e32 v53, v53, v98
	v_add_f32_e32 v52, v52, v95
	v_exp_f32_e32 v51, v51
	v_mul_f32_e32 v89, 0x3fb8aa3b, v24
	v_fma_f32 v101, 0x3fb8aa3b, v23, -v88
	v_rndne_f32_e32 v102, v88
	v_cvt_i32_f32_e32 v94, v94
	v_fmac_f32_e32 v99, 0x32a5705f, v22
	v_sub_f32_e32 v87, v87, v100
	v_add_f32_e32 v53, v53, v97
	v_exp_f32_e32 v52, v52
	v_ldexp_f32 v50, v50, v92
	v_cmp_ngt_f32_e64 s18, 0xc2ce8ed0, v46
	v_mul_f32_e32 v90, 0x3fb8aa3b, v25
	v_fma_f32 v103, 0x3fb8aa3b, v24, -v89
	v_rndne_f32_e32 v104, v89
	v_cvt_i32_f32_e32 v96, v96
	v_fmac_f32_e32 v101, 0x32a5705f, v23
	v_sub_f32_e32 v88, v88, v102
	v_add_f32_e32 v87, v87, v99
	v_exp_f32_e32 v53, v53
	v_ldexp_f32 v51, v51, v94
	v_cndmask_b32_e64 v50, 0, v50, s18
	v_cmp_ngt_f32_e64 s18, 0xc2ce8ed0, v47
	v_fma_f32 v105, 0x3fb8aa3b, v25, -v90
	v_rndne_f32_e32 v106, v90
	v_cvt_i32_f32_e32 v98, v98
	v_fmac_f32_e32 v103, 0x32a5705f, v24
	v_sub_f32_e32 v89, v89, v104
	v_add_f32_e32 v88, v88, v101
	v_exp_f32_e32 v87, v87
	v_ldexp_f32 v52, v52, v96
	v_cndmask_b32_e64 v51, 0, v51, s18
	v_cmp_ngt_f32_e64 s18, 0xc2ce8ed0, v48
	v_cvt_i32_f32_e32 v100, v100
	v_fmac_f32_e32 v105, 0x32a5705f, v25
	v_sub_f32_e32 v90, v90, v106
	v_add_f32_e32 v89, v89, v103
	v_exp_f32_e32 v88, v88
	v_ldexp_f32 v53, v53, v98
	v_cndmask_b32_e64 v52, 0, v52, s18
	v_cmp_ngt_f32_e64 s18, 0xc2ce8ed0, v49
	v_cvt_i32_f32_e32 v102, v102
	v_add_f32_e32 v90, v90, v105
	v_exp_f32_e32 v89, v89
	v_ldexp_f32 v87, v87, v100
	v_cndmask_b32_e64 v53, 0, v53, s18
	v_cmp_ngt_f32_e64 s18, 0xc2ce8ed0, v22
	v_exp_f32_e32 v90, v90
	v_cvt_i32_f32_e32 v91, v104
	v_ldexp_f32 v88, v88, v102
	v_cvt_i32_f32_e32 v93, v106
	v_cndmask_b32_e64 v87, 0, v87, s18
	v_cmp_ngt_f32_e64 s18, 0xc2ce8ed0, v23
	v_ldexp_f32 v89, v89, v91
	v_cmp_ngt_f32_e64 s7, 0xc2ce8ed0, v45
	v_cmp_nlt_f32_e64 s1, 0x42b17218, v45
	v_cmp_ngt_f32_e64 s9, 0xc2ce8ed0, v44
	v_cndmask_b32_e64 v88, 0, v88, s18
	v_cmp_ngt_f32_e64 s18, 0xc2ce8ed0, v24
	v_ldexp_f32 v90, v90, v93
	v_cmp_nlt_f32_e64 s2, 0x42b17218, v44
	v_cmp_ngt_f32_e64 s11, 0xc2ce8ed0, v27
	v_cmp_nlt_f32_e64 s3, 0x42b17218, v27
	v_cndmask_b32_e64 v95, 0, v89, s18
	v_cmp_ngt_f32_e64 s18, 0xc2ce8ed0, v25
	v_cmp_ngt_f32_e64 s13, 0xc2ce8ed0, v26
	v_cmp_nlt_f32_e64 s6, 0x42b17218, v26
	v_cmp_ngt_f32_e64 s14, 0xc2ce8ed0, v21
	v_cmp_nlt_f32_e64 s8, 0x42b17218, v21
	v_cndmask_b32_e64 v96, 0, v90, s18
	v_cmp_nlt_f32_e64 s18, 0x42b17218, v46
	v_cmp_ngt_f32_e64 s15, 0xc2ce8ed0, v20
	v_cmp_nlt_f32_e64 s10, 0x42b17218, v20
	v_cmp_ngt_f32_e64 s16, 0xc2ce8ed0, v18
	v_cmp_nlt_f32_e64 s12, 0x42b17218, v18
	v_cndmask_b32_e64 v94, 0x7f800000, v50, s18
	v_cmp_nlt_f32_e64 s18, 0x42b17218, v47
	v_cmp_ngt_f32_e64 s17, 0xc2ce8ed0, v19
	v_cndmask_b32_e64 v93, 0x7f800000, v51, s18
	v_cmp_nlt_f32_e64 s18, 0x42b17218, v48
	v_cndmask_b32_e64 v92, 0x7f800000, v52, s18
	v_cmp_nlt_f32_e64 s18, 0x42b17218, v49
	v_cvt_f16_f32_e32 v49, v93
	v_cndmask_b32_e64 v91, 0x7f800000, v53, s18
	v_cmp_nlt_f32_e64 s18, 0x42b17218, v22
	v_cvt_f16_f32_e32 v22, v94
	v_cvt_f16_f32_e32 v48, v91
	v_cndmask_b32_e64 v90, 0x7f800000, v87, s18
	v_cmp_nlt_f32_e64 s18, 0x42b17218, v23
	v_cvt_f16_f32_e32 v23, v92
	v_pack_b32_f16 v22, v22, v49
	v_cndmask_b32_e64 v89, 0x7f800000, v88, s18
	v_cmp_nlt_f32_e64 s18, 0x42b17218, v24
	v_cvt_f16_f32_e32 v24, v90
	v_pack_b32_f16 v23, v23, v48
	v_cvt_f16_f32_e32 v47, v89
	v_cndmask_b32_e64 v88, 0x7f800000, v95, s18
	v_cmp_nlt_f32_e64 s18, 0x42b17218, v25
	v_pack_b32_f16 v24, v24, v47
	v_cvt_f16_f32_e32 v25, v88
	v_cndmask_b32_e64 v87, 0x7f800000, v96, s18
	v_cmp_nlt_f32_e64 s18, 0x42b17218, v19
	v_cvt_f16_f32_e32 v46, v87
	v_pack_b32_f16 v25, v25, v46
	ds_write_b128 v85, v[22:25]
	s_and_saveexec_b32 s47, vcc_lo
	s_cbranch_execz .LBB17_23
; %bb.22:                               ;   in Loop: Header=BB17_19 Depth=1
	v_add_co_u32 v22, s19, s28, v59
	v_add_co_ci_u32_e64 v23, null, s29, v60, s19
	global_load_dwordx4 v[22:25], v[22:23], off offset:128
	s_waitcnt vmcnt(0)
	ds_write_b128 v81, v[22:25]
.LBB17_23:                              ;   in Loop: Header=BB17_19 Depth=1
	s_or_b32 exec_lo, exec_lo, s47
	v_add_co_u32 v22, s19, s28, v61
	v_add_co_ci_u32_e64 v23, null, s29, v62, s19
	v_mul_f32_e32 v51, 0x3fb8aa3b, v20
	v_add_co_u32 v22, s19, v22, v84
	v_add_co_ci_u32_e64 v23, null, 0, v23, s19
	v_mul_f32_e32 v52, 0x3fb8aa3b, v18
	v_fma_f32 v105, 0x3fb8aa3b, v20, -v51
	v_rndne_f32_e32 v106, v51
	global_load_dwordx4 v[22:25], v[22:23], off
	v_mul_f32_e32 v46, 0x3fb8aa3b, v45
	v_fma_f32 v107, 0x3fb8aa3b, v18, -v52
	v_rndne_f32_e32 v108, v52
	v_fmac_f32_e32 v105, 0x32a5705f, v20
	v_sub_f32_e32 v20, v51, v106
	v_mul_f32_e32 v47, 0x3fb8aa3b, v44
	v_fmac_f32_e32 v107, 0x32a5705f, v18
	v_sub_f32_e32 v18, v52, v108
	v_mul_f32_e32 v48, 0x3fb8aa3b, v27
	v_add_f32_e32 v20, v20, v105
	v_mul_f32_e32 v49, 0x3fb8aa3b, v26
	v_mul_f32_e32 v50, 0x3fb8aa3b, v21
	v_add_f32_e32 v18, v18, v107
	v_mul_f32_e32 v53, 0x3fb8aa3b, v19
	v_exp_f32_e32 v20, v20
	v_fma_f32 v95, 0x3fb8aa3b, v45, -v46
	v_rndne_f32_e32 v96, v46
	v_exp_f32_e32 v18, v18
	v_fma_f32 v97, 0x3fb8aa3b, v44, -v47
	v_rndne_f32_e32 v98, v47
	v_fma_f32 v99, 0x3fb8aa3b, v27, -v48
	v_rndne_f32_e32 v100, v48
	;; [unrolled: 2-line block ×5, first 2 shown]
	v_cvt_i32_f32_e32 v51, v106
	v_cvt_i32_f32_e32 v52, v108
	v_fmac_f32_e32 v95, 0x32a5705f, v45
	v_sub_f32_e32 v45, v46, v96
	v_fmac_f32_e32 v97, 0x32a5705f, v44
	v_sub_f32_e32 v44, v47, v98
	;; [unrolled: 2-line block ×6, first 2 shown]
	v_ldexp_f32 v20, v20, v51
	v_ldexp_f32 v18, v18, v52
	v_add_f32_e32 v45, v45, v95
	v_add_f32_e32 v44, v44, v97
	;; [unrolled: 1-line block ×6, first 2 shown]
	v_cndmask_b32_e64 v20, 0, v20, s15
	v_cndmask_b32_e64 v18, 0, v18, s16
	v_exp_f32_e32 v45, v45
	v_exp_f32_e32 v44, v44
	;; [unrolled: 1-line block ×6, first 2 shown]
	v_cndmask_b32_e64 v20, 0x7f800000, v20, s10
	v_cndmask_b32_e64 v18, 0x7f800000, v18, s12
	v_cvt_i32_f32_e32 v46, v96
	v_cvt_i32_f32_e32 v47, v98
	;; [unrolled: 1-line block ×6, first 2 shown]
	v_fmac_f32_e32 v89, v15, v20
	v_fmac_f32_e32 v88, v16, v18
	v_cvt_f16_f32_e32 v15, v20
	v_cvt_f16_f32_e32 v16, v18
	v_ldexp_f32 v45, v45, v46
	v_ldexp_f32 v44, v44, v47
	;; [unrolled: 1-line block ×6, first 2 shown]
	v_mul_u32_u24_sdwa v15, v15, v86 dst_sel:DWORD dst_unused:UNUSED_PAD src0_sel:WORD_0 src1_sel:DWORD
	v_mul_u32_u24_sdwa v16, v16, v86 dst_sel:DWORD dst_unused:UNUSED_PAD src0_sel:WORD_0 src1_sel:DWORD
	v_cndmask_b32_e64 v45, 0, v45, s7
	v_cndmask_b32_e64 v44, 0, v44, s9
	;; [unrolled: 1-line block ×6, first 2 shown]
	v_pk_mul_f16 v106, v32, v15
	v_pk_mul_f16 v104, v33, v15
	;; [unrolled: 1-line block ×4, first 2 shown]
	v_cndmask_b32_e64 v45, 0x7f800000, v45, s1
	v_cndmask_b32_e64 v44, 0x7f800000, v44, s2
	;; [unrolled: 1-line block ×6, first 2 shown]
	v_fmac_f32_e32 v94, v10, v45
	v_fmac_f32_e32 v93, v11, v44
	;; [unrolled: 1-line block ×6, first 2 shown]
	v_cvt_f16_f32_e32 v10, v45
	v_cvt_f16_f32_e32 v11, v44
	;; [unrolled: 1-line block ×6, first 2 shown]
	v_mul_u32_u24_sdwa v10, v10, v86 dst_sel:DWORD dst_unused:UNUSED_PAD src0_sel:WORD_0 src1_sel:DWORD
	v_mul_u32_u24_sdwa v11, v11, v86 dst_sel:DWORD dst_unused:UNUSED_PAD src0_sel:WORD_0 src1_sel:DWORD
	;; [unrolled: 1-line block ×6, first 2 shown]
	v_pk_mul_f16 v98, v42, v10
	v_pk_mul_f16 v96, v43, v10
	;; [unrolled: 1-line block ×12, first 2 shown]
	s_waitcnt vmcnt(0)
	ds_write_b128 v83, v[22:25]
	s_waitcnt lgkmcnt(0)
	s_barrier
	buffer_gl0_inv
	ds_read_b128 v[30:33], v80
	ds_read_b128 v[26:29], v80 offset:16
	ds_read2_b64 v[10:13], v82 offset1:18
	ds_read_b128 v[22:25], v80 offset:32
	ds_read_b128 v[18:21], v80 offset:48
	ds_read2_b64 v[14:17], v82 offset0:36 offset1:54
	ds_read_b128 v[38:41], v80 offset:64
	ds_read_b128 v[42:45], v80 offset:80
	;; [unrolled: 1-line block ×6, first 2 shown]
	ds_read2_b64 v[123:126], v82 offset0:72 offset1:90
	ds_read2_b64 v[50:53], v82 offset0:108 offset1:126
	;; [unrolled: 1-line block ×4, first 2 shown]
	ds_read_b128 v[131:134], v80 offset:160
	ds_read_b128 v[135:138], v80 offset:176
	s_waitcnt lgkmcnt(16)
	v_mul_u32_u24_sdwa v143, v26, v86 dst_sel:DWORD dst_unused:UNUSED_PAD src0_sel:WORD_0 src1_sel:DWORD
	v_mul_u32_u24_sdwa v26, v26, v86 dst_sel:DWORD dst_unused:UNUSED_PAD src0_sel:WORD_1 src1_sel:DWORD
	v_mul_u32_u24_sdwa v144, v27, v86 dst_sel:DWORD dst_unused:UNUSED_PAD src0_sel:WORD_0 src1_sel:DWORD
	v_mul_u32_u24_sdwa v27, v27, v86 dst_sel:DWORD dst_unused:UNUSED_PAD src0_sel:WORD_1 src1_sel:DWORD
	;; [unrolled: 2-line block ×4, first 2 shown]
	s_waitcnt lgkmcnt(14)
	v_mul_u32_u24_sdwa v147, v22, v86 dst_sel:DWORD dst_unused:UNUSED_PAD src0_sel:WORD_0 src1_sel:DWORD
	v_mul_u32_u24_sdwa v22, v22, v86 dst_sel:DWORD dst_unused:UNUSED_PAD src0_sel:WORD_1 src1_sel:DWORD
	v_mul_u32_u24_sdwa v148, v23, v86 dst_sel:DWORD dst_unused:UNUSED_PAD src0_sel:WORD_0 src1_sel:DWORD
	v_mul_u32_u24_sdwa v23, v23, v86 dst_sel:DWORD dst_unused:UNUSED_PAD src0_sel:WORD_1 src1_sel:DWORD
	;; [unrolled: 2-line block ×3, first 2 shown]
	v_mul_u32_u24_sdwa v150, v25, v86 dst_sel:DWORD dst_unused:UNUSED_PAD src0_sel:WORD_0 src1_sel:DWORD
	v_mul_u32_u24_sdwa v139, v30, v86 dst_sel:DWORD dst_unused:UNUSED_PAD src0_sel:WORD_0 src1_sel:DWORD
	v_mul_u32_u24_sdwa v30, v30, v86 dst_sel:DWORD dst_unused:UNUSED_PAD src0_sel:WORD_1 src1_sel:DWORD
	v_mul_u32_u24_sdwa v140, v31, v86 dst_sel:DWORD dst_unused:UNUSED_PAD src0_sel:WORD_0 src1_sel:DWORD
	v_mul_u32_u24_sdwa v31, v31, v86 dst_sel:DWORD dst_unused:UNUSED_PAD src0_sel:WORD_1 src1_sel:DWORD
	;; [unrolled: 2-line block ×4, first 2 shown]
	v_pk_fma_f16 v98, v10, v139, v98
	v_pk_fma_f16 v101, v10, v30, v101
	;; [unrolled: 1-line block ×16, first 2 shown]
	v_mul_u32_u24_sdwa v25, v25, v86 dst_sel:DWORD dst_unused:UNUSED_PAD src0_sel:WORD_1 src1_sel:DWORD
	v_pk_fma_f16 v33, v12, v143, v98
	v_pk_fma_f16 v98, v12, v26, v101
	;; [unrolled: 1-line block ×16, first 2 shown]
	s_waitcnt lgkmcnt(13)
	v_mul_u32_u24_sdwa v151, v18, v86 dst_sel:DWORD dst_unused:UNUSED_PAD src0_sel:WORD_0 src1_sel:DWORD
	v_mul_u32_u24_sdwa v18, v18, v86 dst_sel:DWORD dst_unused:UNUSED_PAD src0_sel:WORD_1 src1_sel:DWORD
	v_mul_u32_u24_sdwa v152, v19, v86 dst_sel:DWORD dst_unused:UNUSED_PAD src0_sel:WORD_0 src1_sel:DWORD
	v_mul_u32_u24_sdwa v19, v19, v86 dst_sel:DWORD dst_unused:UNUSED_PAD src0_sel:WORD_1 src1_sel:DWORD
	;; [unrolled: 2-line block ×4, first 2 shown]
	s_waitcnt lgkmcnt(12)
	v_pk_fma_f16 v12, v14, v147, v33
	v_pk_fma_f16 v13, v15, v147, v96
	;; [unrolled: 1-line block ×16, first 2 shown]
	s_waitcnt lgkmcnt(11)
	v_mul_u32_u24_sdwa v155, v38, v86 dst_sel:DWORD dst_unused:UNUSED_PAD src0_sel:WORD_0 src1_sel:DWORD
	v_mul_u32_u24_sdwa v38, v38, v86 dst_sel:DWORD dst_unused:UNUSED_PAD src0_sel:WORD_1 src1_sel:DWORD
	v_mul_u32_u24_sdwa v156, v39, v86 dst_sel:DWORD dst_unused:UNUSED_PAD src0_sel:WORD_0 src1_sel:DWORD
	v_mul_u32_u24_sdwa v39, v39, v86 dst_sel:DWORD dst_unused:UNUSED_PAD src0_sel:WORD_1 src1_sel:DWORD
	;; [unrolled: 2-line block ×4, first 2 shown]
	v_pk_fma_f16 v12, v16, v151, v12
	v_pk_fma_f16 v15, v16, v18, v29
	;; [unrolled: 1-line block ×16, first 2 shown]
	s_waitcnt lgkmcnt(10)
	v_mul_u32_u24_sdwa v159, v42, v86 dst_sel:DWORD dst_unused:UNUSED_PAD src0_sel:WORD_0 src1_sel:DWORD
	v_mul_u32_u24_sdwa v42, v42, v86 dst_sel:DWORD dst_unused:UNUSED_PAD src0_sel:WORD_1 src1_sel:DWORD
	v_mul_u32_u24_sdwa v160, v43, v86 dst_sel:DWORD dst_unused:UNUSED_PAD src0_sel:WORD_0 src1_sel:DWORD
	v_mul_u32_u24_sdwa v43, v43, v86 dst_sel:DWORD dst_unused:UNUSED_PAD src0_sel:WORD_1 src1_sel:DWORD
	;; [unrolled: 2-line block ×4, first 2 shown]
	s_waitcnt lgkmcnt(5)
	v_pk_fma_f16 v12, v123, v155, v12
	v_pk_fma_f16 v15, v123, v38, v15
	;; [unrolled: 1-line block ×16, first 2 shown]
	v_mul_u32_u24_sdwa v163, v46, v86 dst_sel:DWORD dst_unused:UNUSED_PAD src0_sel:WORD_0 src1_sel:DWORD
	v_mul_u32_u24_sdwa v46, v46, v86 dst_sel:DWORD dst_unused:UNUSED_PAD src0_sel:WORD_1 src1_sel:DWORD
	v_mul_u32_u24_sdwa v164, v47, v86 dst_sel:DWORD dst_unused:UNUSED_PAD src0_sel:WORD_0 src1_sel:DWORD
	v_mul_u32_u24_sdwa v47, v47, v86 dst_sel:DWORD dst_unused:UNUSED_PAD src0_sel:WORD_1 src1_sel:DWORD
	;; [unrolled: 2-line block ×4, first 2 shown]
	v_pk_fma_f16 v12, v125, v159, v12
	v_pk_fma_f16 v15, v125, v42, v15
	;; [unrolled: 1-line block ×16, first 2 shown]
	v_mul_u32_u24_sdwa v167, v111, v86 dst_sel:DWORD dst_unused:UNUSED_PAD src0_sel:WORD_0 src1_sel:DWORD
	v_mul_u32_u24_sdwa v111, v111, v86 dst_sel:DWORD dst_unused:UNUSED_PAD src0_sel:WORD_1 src1_sel:DWORD
	v_mul_u32_u24_sdwa v168, v112, v86 dst_sel:DWORD dst_unused:UNUSED_PAD src0_sel:WORD_0 src1_sel:DWORD
	v_mul_u32_u24_sdwa v112, v112, v86 dst_sel:DWORD dst_unused:UNUSED_PAD src0_sel:WORD_1 src1_sel:DWORD
	;; [unrolled: 2-line block ×4, first 2 shown]
	s_waitcnt lgkmcnt(4)
	v_pk_fma_f16 v12, v50, v163, v12
	v_pk_fma_f16 v15, v50, v46, v15
	;; [unrolled: 1-line block ×16, first 2 shown]
	v_mul_u32_u24_sdwa v171, v115, v86 dst_sel:DWORD dst_unused:UNUSED_PAD src0_sel:WORD_0 src1_sel:DWORD
	v_mul_u32_u24_sdwa v115, v115, v86 dst_sel:DWORD dst_unused:UNUSED_PAD src0_sel:WORD_1 src1_sel:DWORD
	v_mul_u32_u24_sdwa v172, v116, v86 dst_sel:DWORD dst_unused:UNUSED_PAD src0_sel:WORD_0 src1_sel:DWORD
	v_mul_u32_u24_sdwa v116, v116, v86 dst_sel:DWORD dst_unused:UNUSED_PAD src0_sel:WORD_1 src1_sel:DWORD
	;; [unrolled: 2-line block ×4, first 2 shown]
	v_pk_fma_f16 v12, v52, v167, v12
	v_pk_fma_f16 v15, v52, v111, v15
	;; [unrolled: 1-line block ×16, first 2 shown]
	v_mul_u32_u24_sdwa v175, v119, v86 dst_sel:DWORD dst_unused:UNUSED_PAD src0_sel:WORD_0 src1_sel:DWORD
	v_mul_u32_u24_sdwa v119, v119, v86 dst_sel:DWORD dst_unused:UNUSED_PAD src0_sel:WORD_1 src1_sel:DWORD
	v_mul_u32_u24_sdwa v176, v120, v86 dst_sel:DWORD dst_unused:UNUSED_PAD src0_sel:WORD_0 src1_sel:DWORD
	v_mul_u32_u24_sdwa v120, v120, v86 dst_sel:DWORD dst_unused:UNUSED_PAD src0_sel:WORD_1 src1_sel:DWORD
	v_mul_u32_u24_sdwa v177, v121, v86 dst_sel:DWORD dst_unused:UNUSED_PAD src0_sel:WORD_0 src1_sel:DWORD
	v_mul_u32_u24_sdwa v121, v121, v86 dst_sel:DWORD dst_unused:UNUSED_PAD src0_sel:WORD_1 src1_sel:DWORD
	v_mul_u32_u24_sdwa v178, v122, v86 dst_sel:DWORD dst_unused:UNUSED_PAD src0_sel:WORD_0 src1_sel:DWORD
	v_mul_u32_u24_sdwa v122, v122, v86 dst_sel:DWORD dst_unused:UNUSED_PAD src0_sel:WORD_1 src1_sel:DWORD
	s_waitcnt lgkmcnt(3)
	v_pk_fma_f16 v12, v127, v171, v12
	v_pk_fma_f16 v15, v127, v115, v15
	;; [unrolled: 1-line block ×16, first 2 shown]
	s_waitcnt lgkmcnt(1)
	v_mul_u32_u24_sdwa v179, v131, v86 dst_sel:DWORD dst_unused:UNUSED_PAD src0_sel:WORD_0 src1_sel:DWORD
	v_mul_u32_u24_sdwa v131, v131, v86 dst_sel:DWORD dst_unused:UNUSED_PAD src0_sel:WORD_1 src1_sel:DWORD
	v_mul_u32_u24_sdwa v180, v132, v86 dst_sel:DWORD dst_unused:UNUSED_PAD src0_sel:WORD_0 src1_sel:DWORD
	v_mul_u32_u24_sdwa v132, v132, v86 dst_sel:DWORD dst_unused:UNUSED_PAD src0_sel:WORD_1 src1_sel:DWORD
	;; [unrolled: 2-line block ×4, first 2 shown]
	v_pk_fma_f16 v12, v129, v175, v12
	v_pk_fma_f16 v15, v129, v119, v15
	;; [unrolled: 1-line block ×32, first 2 shown]
	s_waitcnt lgkmcnt(0)
	v_mul_u32_u24_sdwa v32, v135, v86 dst_sel:DWORD dst_unused:UNUSED_PAD src0_sel:WORD_0 src1_sel:DWORD
	v_mul_u32_u24_sdwa v33, v135, v86 dst_sel:DWORD dst_unused:UNUSED_PAD src0_sel:WORD_1 src1_sel:DWORD
	v_mul_u32_u24_sdwa v34, v136, v86 dst_sel:DWORD dst_unused:UNUSED_PAD src0_sel:WORD_0 src1_sel:DWORD
	v_mul_u32_u24_sdwa v35, v136, v86 dst_sel:DWORD dst_unused:UNUSED_PAD src0_sel:WORD_1 src1_sel:DWORD
	;; [unrolled: 2-line block ×3, first 2 shown]
	ds_read_b128 v[10:13], v80 offset:192
	v_pk_fma_f16 v26, v36, v32, v26
	v_pk_fma_f16 v42, v36, v33, v15
	;; [unrolled: 1-line block ×4, first 2 shown]
	ds_read2_b64 v[14:17], v82 offset0:216 offset1:234
	v_pk_fma_f16 v28, v37, v32, v28
	v_pk_fma_f16 v29, v37, v33, v29
	;; [unrolled: 1-line block ×6, first 2 shown]
	ds_read_b128 v[18:21], v80 offset:208
	v_mul_u32_u24_sdwa v40, v138, v86 dst_sel:DWORD dst_unused:UNUSED_PAD src0_sel:WORD_0 src1_sel:DWORD
	v_mul_u32_u24_sdwa v41, v138, v86 dst_sel:DWORD dst_unused:UNUSED_PAD src0_sel:WORD_1 src1_sel:DWORD
	v_pk_fma_f16 v23, v36, v38, v23
	v_pk_fma_f16 v24, v36, v39, v24
	;; [unrolled: 1-line block ×6, first 2 shown]
	s_waitcnt lgkmcnt(2)
	v_mul_u32_u24_sdwa v35, v10, v86 dst_sel:DWORD dst_unused:UNUSED_PAD src0_sel:WORD_0 src1_sel:DWORD
	v_mul_u32_u24_sdwa v10, v10, v86 dst_sel:DWORD dst_unused:UNUSED_PAD src0_sel:WORD_1 src1_sel:DWORD
	v_mul_u32_u24_sdwa v36, v11, v86 dst_sel:DWORD dst_unused:UNUSED_PAD src0_sel:WORD_0 src1_sel:DWORD
	v_mul_u32_u24_sdwa v11, v11, v86 dst_sel:DWORD dst_unused:UNUSED_PAD src0_sel:WORD_1 src1_sel:DWORD
	;; [unrolled: 2-line block ×4, first 2 shown]
	s_waitcnt lgkmcnt(1)
	v_pk_fma_f16 v26, v14, v35, v26
	v_pk_fma_f16 v39, v14, v10, v42
	v_pk_fma_f16 v40, v14, v36, v43
	v_pk_fma_f16 v41, v14, v11, v44
	v_pk_fma_f16 v23, v14, v37, v23
	v_pk_fma_f16 v24, v14, v12, v24
	v_pk_fma_f16 v25, v14, v38, v25
	v_pk_fma_f16 v14, v14, v13, v27
	v_pk_fma_f16 v27, v15, v35, v28
	v_pk_fma_f16 v28, v15, v10, v29
	v_pk_fma_f16 v29, v15, v36, v30
	v_pk_fma_f16 v30, v15, v11, v32
	v_pk_fma_f16 v32, v15, v37, v33
	v_pk_fma_f16 v33, v15, v12, v34
	v_pk_fma_f16 v22, v15, v38, v22
	v_pk_fma_f16 v15, v15, v13, v31
	s_waitcnt lgkmcnt(0)
	v_mul_u32_u24_sdwa v31, v18, v86 dst_sel:DWORD dst_unused:UNUSED_PAD src0_sel:WORD_0 src1_sel:DWORD
	v_mul_u32_u24_sdwa v34, v18, v86 dst_sel:DWORD dst_unused:UNUSED_PAD src0_sel:WORD_1 src1_sel:DWORD
	v_mul_u32_u24_sdwa v35, v19, v86 dst_sel:DWORD dst_unused:UNUSED_PAD src0_sel:WORD_0 src1_sel:DWORD
	v_mul_u32_u24_sdwa v36, v19, v86 dst_sel:DWORD dst_unused:UNUSED_PAD src0_sel:WORD_1 src1_sel:DWORD
	;; [unrolled: 2-line block ×4, first 2 shown]
	ds_read_b128 v[10:13], v80 offset:224
	v_add_nc_u32_e32 v18, 0x400, v82
	v_pk_fma_f16 v26, v16, v31, v26
	v_pk_fma_f16 v39, v16, v34, v39
	;; [unrolled: 1-line block ×6, first 2 shown]
	ds_read2_b64 v[18:21], v18 offset0:124 offset1:142
	v_pk_fma_f16 v25, v16, v42, v25
	v_pk_fma_f16 v44, v16, v43, v14
	;; [unrolled: 1-line block ×10, first 2 shown]
	ds_read_b128 v[14:17], v80 offset:240
	s_waitcnt lgkmcnt(2)
	v_mul_u32_u24_sdwa v34, v10, v86 dst_sel:DWORD dst_unused:UNUSED_PAD src0_sel:WORD_0 src1_sel:DWORD
	v_mul_u32_u24_sdwa v10, v10, v86 dst_sel:DWORD dst_unused:UNUSED_PAD src0_sel:WORD_1 src1_sel:DWORD
	v_mul_u32_u24_sdwa v35, v11, v86 dst_sel:DWORD dst_unused:UNUSED_PAD src0_sel:WORD_0 src1_sel:DWORD
	v_mul_u32_u24_sdwa v11, v11, v86 dst_sel:DWORD dst_unused:UNUSED_PAD src0_sel:WORD_1 src1_sel:DWORD
	;; [unrolled: 2-line block ×4, first 2 shown]
	s_waitcnt lgkmcnt(1)
	v_pk_fma_f16 v26, v18, v34, v26
	v_pk_fma_f16 v38, v18, v10, v39
	;; [unrolled: 1-line block ×16, first 2 shown]
	s_waitcnt lgkmcnt(0)
	v_mul_u32_u24_sdwa v33, v14, v86 dst_sel:DWORD dst_unused:UNUSED_PAD src0_sel:WORD_0 src1_sel:DWORD
	v_mul_u32_u24_sdwa v34, v14, v86 dst_sel:DWORD dst_unused:UNUSED_PAD src0_sel:WORD_1 src1_sel:DWORD
	v_mul_u32_u24_sdwa v35, v15, v86 dst_sel:DWORD dst_unused:UNUSED_PAD src0_sel:WORD_0 src1_sel:DWORD
	v_mul_u32_u24_sdwa v36, v15, v86 dst_sel:DWORD dst_unused:UNUSED_PAD src0_sel:WORD_1 src1_sel:DWORD
	;; [unrolled: 2-line block ×4, first 2 shown]
	ds_read_b128 v[10:13], v80 offset:256
	v_add_nc_u32_e32 v44, 0x800, v82
	v_pk_fma_f16 v26, v20, v33, v26
	v_pk_fma_f16 v38, v20, v34, v38
	v_pk_fma_f16 v39, v20, v35, v39
	v_pk_fma_f16 v40, v20, v36, v40
	v_pk_fma_f16 v23, v20, v37, v23
	v_pk_fma_f16 v24, v20, v41, v24
	ds_read2_b64 v[14:17], v44 offset0:32 offset1:50
	v_pk_fma_f16 v25, v20, v42, v25
	v_pk_fma_f16 v45, v20, v43, v18
	v_pk_fma_f16 v27, v21, v33, v27
	v_pk_fma_f16 v28, v21, v34, v28
	v_pk_fma_f16 v29, v21, v35, v29
	v_pk_fma_f16 v30, v21, v36, v30
	v_pk_fma_f16 v31, v21, v37, v31
	v_pk_fma_f16 v32, v21, v41, v32
	v_pk_fma_f16 v22, v21, v42, v22
	v_pk_fma_f16 v33, v21, v43, v19
	ds_read_b128 v[18:21], v80 offset:272
	s_waitcnt lgkmcnt(2)
	v_mul_u32_u24_sdwa v34, v10, v86 dst_sel:DWORD dst_unused:UNUSED_PAD src0_sel:WORD_0 src1_sel:DWORD
	v_mul_u32_u24_sdwa v10, v10, v86 dst_sel:DWORD dst_unused:UNUSED_PAD src0_sel:WORD_1 src1_sel:DWORD
	v_mul_u32_u24_sdwa v35, v11, v86 dst_sel:DWORD dst_unused:UNUSED_PAD src0_sel:WORD_0 src1_sel:DWORD
	v_mul_u32_u24_sdwa v11, v11, v86 dst_sel:DWORD dst_unused:UNUSED_PAD src0_sel:WORD_1 src1_sel:DWORD
	v_mul_u32_u24_sdwa v36, v12, v86 dst_sel:DWORD dst_unused:UNUSED_PAD src0_sel:WORD_0 src1_sel:DWORD
	v_mul_u32_u24_sdwa v12, v12, v86 dst_sel:DWORD dst_unused:UNUSED_PAD src0_sel:WORD_1 src1_sel:DWORD
	v_mul_u32_u24_sdwa v37, v13, v86 dst_sel:DWORD dst_unused:UNUSED_PAD src0_sel:WORD_0 src1_sel:DWORD
	v_mul_u32_u24_sdwa v13, v13, v86 dst_sel:DWORD dst_unused:UNUSED_PAD src0_sel:WORD_1 src1_sel:DWORD
	s_waitcnt lgkmcnt(1)
	v_pk_fma_f16 v26, v14, v34, v26
	v_pk_fma_f16 v38, v14, v10, v38
	v_pk_fma_f16 v39, v14, v35, v39
	v_pk_fma_f16 v40, v14, v11, v40
	v_pk_fma_f16 v23, v14, v36, v23
	v_pk_fma_f16 v24, v14, v12, v24
	v_pk_fma_f16 v25, v14, v37, v25
	v_pk_fma_f16 v14, v14, v13, v45
	v_pk_fma_f16 v27, v15, v34, v27
	v_pk_fma_f16 v28, v15, v10, v28
	v_pk_fma_f16 v29, v15, v35, v29
	v_pk_fma_f16 v30, v15, v11, v30
	v_pk_fma_f16 v31, v15, v36, v31
	v_pk_fma_f16 v32, v15, v12, v32
	v_pk_fma_f16 v22, v15, v37, v22
	v_pk_fma_f16 v15, v15, v13, v33
	s_waitcnt lgkmcnt(0)
	v_mul_u32_u24_sdwa v33, v18, v86 dst_sel:DWORD dst_unused:UNUSED_PAD src0_sel:WORD_0 src1_sel:DWORD
	v_mul_u32_u24_sdwa v34, v18, v86 dst_sel:DWORD dst_unused:UNUSED_PAD src0_sel:WORD_1 src1_sel:DWORD
	v_mul_u32_u24_sdwa v35, v19, v86 dst_sel:DWORD dst_unused:UNUSED_PAD src0_sel:WORD_0 src1_sel:DWORD
	v_mul_u32_u24_sdwa v36, v19, v86 dst_sel:DWORD dst_unused:UNUSED_PAD src0_sel:WORD_1 src1_sel:DWORD
	v_mul_u32_u24_sdwa v37, v20, v86 dst_sel:DWORD dst_unused:UNUSED_PAD src0_sel:WORD_0 src1_sel:DWORD
	v_mul_u32_u24_sdwa v41, v20, v86 dst_sel:DWORD dst_unused:UNUSED_PAD src0_sel:WORD_1 src1_sel:DWORD
	v_mul_u32_u24_sdwa v42, v21, v86 dst_sel:DWORD dst_unused:UNUSED_PAD src0_sel:WORD_0 src1_sel:DWORD
	ds_read_b128 v[10:13], v80 offset:288
	v_mul_u32_u24_sdwa v43, v21, v86 dst_sel:DWORD dst_unused:UNUSED_PAD src0_sel:WORD_1 src1_sel:DWORD
	v_pk_fma_f16 v26, v16, v33, v26
	v_pk_fma_f16 v38, v16, v34, v38
	v_pk_fma_f16 v39, v16, v35, v39
	v_pk_fma_f16 v40, v16, v36, v40
	v_pk_fma_f16 v23, v16, v37, v23
	v_pk_fma_f16 v24, v16, v41, v24
	ds_read2_b64 v[18:21], v44 offset0:68 offset1:86
	v_pk_fma_f16 v25, v16, v42, v25
	v_pk_fma_f16 v45, v16, v43, v14
	v_pk_fma_f16 v27, v17, v33, v27
	v_pk_fma_f16 v28, v17, v34, v28
	v_pk_fma_f16 v29, v17, v35, v29
	v_pk_fma_f16 v30, v17, v36, v30
	v_pk_fma_f16 v31, v17, v37, v31
	v_pk_fma_f16 v32, v17, v41, v32
	v_pk_fma_f16 v22, v17, v42, v22
	v_pk_fma_f16 v33, v17, v43, v15
	ds_read_b128 v[14:17], v80 offset:304
	s_waitcnt lgkmcnt(2)
	v_mul_u32_u24_sdwa v34, v10, v86 dst_sel:DWORD dst_unused:UNUSED_PAD src0_sel:WORD_0 src1_sel:DWORD
	v_mul_u32_u24_sdwa v10, v10, v86 dst_sel:DWORD dst_unused:UNUSED_PAD src0_sel:WORD_1 src1_sel:DWORD
	v_mul_u32_u24_sdwa v35, v11, v86 dst_sel:DWORD dst_unused:UNUSED_PAD src0_sel:WORD_0 src1_sel:DWORD
	v_mul_u32_u24_sdwa v11, v11, v86 dst_sel:DWORD dst_unused:UNUSED_PAD src0_sel:WORD_1 src1_sel:DWORD
	v_mul_u32_u24_sdwa v36, v12, v86 dst_sel:DWORD dst_unused:UNUSED_PAD src0_sel:WORD_0 src1_sel:DWORD
	v_mul_u32_u24_sdwa v12, v12, v86 dst_sel:DWORD dst_unused:UNUSED_PAD src0_sel:WORD_1 src1_sel:DWORD
	v_mul_u32_u24_sdwa v37, v13, v86 dst_sel:DWORD dst_unused:UNUSED_PAD src0_sel:WORD_0 src1_sel:DWORD
	v_mul_u32_u24_sdwa v13, v13, v86 dst_sel:DWORD dst_unused:UNUSED_PAD src0_sel:WORD_1 src1_sel:DWORD
	s_waitcnt lgkmcnt(1)
	v_pk_fma_f16 v26, v18, v34, v26
	v_pk_fma_f16 v38, v18, v10, v38
	v_pk_fma_f16 v39, v18, v35, v39
	v_pk_fma_f16 v40, v18, v11, v40
	v_pk_fma_f16 v23, v18, v36, v23
	v_pk_fma_f16 v24, v18, v12, v24
	v_pk_fma_f16 v25, v18, v37, v25
	v_pk_fma_f16 v18, v18, v13, v45
	v_pk_fma_f16 v27, v19, v34, v27
	v_pk_fma_f16 v28, v19, v10, v28
	v_pk_fma_f16 v29, v19, v35, v29
	v_pk_fma_f16 v30, v19, v11, v30
	v_pk_fma_f16 v31, v19, v36, v31
	v_pk_fma_f16 v32, v19, v12, v32
	v_pk_fma_f16 v22, v19, v37, v22
	v_pk_fma_f16 v19, v19, v13, v33
	s_waitcnt lgkmcnt(0)
	v_mul_u32_u24_sdwa v33, v14, v86 dst_sel:DWORD dst_unused:UNUSED_PAD src0_sel:WORD_0 src1_sel:DWORD
	v_mul_u32_u24_sdwa v34, v14, v86 dst_sel:DWORD dst_unused:UNUSED_PAD src0_sel:WORD_1 src1_sel:DWORD
	v_mul_u32_u24_sdwa v35, v15, v86 dst_sel:DWORD dst_unused:UNUSED_PAD src0_sel:WORD_0 src1_sel:DWORD
	v_mul_u32_u24_sdwa v36, v15, v86 dst_sel:DWORD dst_unused:UNUSED_PAD src0_sel:WORD_1 src1_sel:DWORD
	v_mul_u32_u24_sdwa v37, v16, v86 dst_sel:DWORD dst_unused:UNUSED_PAD src0_sel:WORD_0 src1_sel:DWORD
	v_mul_u32_u24_sdwa v41, v16, v86 dst_sel:DWORD dst_unused:UNUSED_PAD src0_sel:WORD_1 src1_sel:DWORD
	v_mul_u32_u24_sdwa v42, v17, v86 dst_sel:DWORD dst_unused:UNUSED_PAD src0_sel:WORD_0 src1_sel:DWORD
	ds_read_b128 v[10:13], v80 offset:320
	v_mul_u32_u24_sdwa v43, v17, v86 dst_sel:DWORD dst_unused:UNUSED_PAD src0_sel:WORD_1 src1_sel:DWORD
	;; [unrolled: 54-line block ×5, first 2 shown]
	v_pk_fma_f16 v26, v16, v33, v26
	v_pk_fma_f16 v38, v16, v34, v38
	;; [unrolled: 1-line block ×6, first 2 shown]
	ds_read2_b64 v[18:21], v44 offset0:212 offset1:230
	v_pk_fma_f16 v25, v16, v42, v25
	v_pk_fma_f16 v44, v16, v43, v14
	;; [unrolled: 1-line block ×10, first 2 shown]
	ds_read_b128 v[14:17], v80 offset:432
	s_waitcnt lgkmcnt(2)
	v_mul_u32_u24_sdwa v34, v10, v86 dst_sel:DWORD dst_unused:UNUSED_PAD src0_sel:WORD_0 src1_sel:DWORD
	v_mul_u32_u24_sdwa v10, v10, v86 dst_sel:DWORD dst_unused:UNUSED_PAD src0_sel:WORD_1 src1_sel:DWORD
	v_mul_u32_u24_sdwa v35, v11, v86 dst_sel:DWORD dst_unused:UNUSED_PAD src0_sel:WORD_0 src1_sel:DWORD
	v_mul_u32_u24_sdwa v11, v11, v86 dst_sel:DWORD dst_unused:UNUSED_PAD src0_sel:WORD_1 src1_sel:DWORD
	;; [unrolled: 2-line block ×4, first 2 shown]
	s_waitcnt lgkmcnt(1)
	v_pk_fma_f16 v26, v18, v34, v26
	v_pk_fma_f16 v38, v18, v10, v38
	;; [unrolled: 1-line block ×16, first 2 shown]
	s_waitcnt lgkmcnt(0)
	v_mul_u32_u24_sdwa v33, v14, v86 dst_sel:DWORD dst_unused:UNUSED_PAD src0_sel:WORD_0 src1_sel:DWORD
	v_mul_u32_u24_sdwa v34, v14, v86 dst_sel:DWORD dst_unused:UNUSED_PAD src0_sel:WORD_1 src1_sel:DWORD
	v_mul_u32_u24_sdwa v35, v15, v86 dst_sel:DWORD dst_unused:UNUSED_PAD src0_sel:WORD_0 src1_sel:DWORD
	v_mul_u32_u24_sdwa v36, v15, v86 dst_sel:DWORD dst_unused:UNUSED_PAD src0_sel:WORD_1 src1_sel:DWORD
	;; [unrolled: 2-line block ×4, first 2 shown]
	ds_read_b128 v[10:13], v80 offset:448
	v_add_nc_u32_e32 v14, 0xc00, v82
	v_pk_fma_f16 v26, v20, v33, v26
	v_pk_fma_f16 v38, v20, v34, v38
	;; [unrolled: 1-line block ×6, first 2 shown]
	ds_read2_b64 v[14:17], v14 offset0:120 offset1:138
	v_pk_fma_f16 v25, v20, v42, v25
	v_pk_fma_f16 v44, v20, v43, v18
	;; [unrolled: 1-line block ×10, first 2 shown]
	ds_read_b128 v[18:21], v80 offset:464
	s_waitcnt lgkmcnt(2)
	v_mul_u32_u24_sdwa v34, v10, v86 dst_sel:DWORD dst_unused:UNUSED_PAD src0_sel:WORD_0 src1_sel:DWORD
	v_mul_u32_u24_sdwa v10, v10, v86 dst_sel:DWORD dst_unused:UNUSED_PAD src0_sel:WORD_1 src1_sel:DWORD
	v_mul_u32_u24_sdwa v35, v11, v86 dst_sel:DWORD dst_unused:UNUSED_PAD src0_sel:WORD_0 src1_sel:DWORD
	v_mul_u32_u24_sdwa v11, v11, v86 dst_sel:DWORD dst_unused:UNUSED_PAD src0_sel:WORD_1 src1_sel:DWORD
	;; [unrolled: 2-line block ×4, first 2 shown]
	s_waitcnt lgkmcnt(1)
	v_pk_fma_f16 v26, v14, v34, v26
	v_pk_fma_f16 v38, v14, v10, v38
	;; [unrolled: 1-line block ×16, first 2 shown]
	s_waitcnt lgkmcnt(0)
	v_mul_u32_u24_sdwa v33, v18, v86 dst_sel:DWORD dst_unused:UNUSED_PAD src0_sel:WORD_0 src1_sel:DWORD
	v_mul_u32_u24_sdwa v34, v18, v86 dst_sel:DWORD dst_unused:UNUSED_PAD src0_sel:WORD_1 src1_sel:DWORD
	v_mul_u32_u24_sdwa v35, v19, v86 dst_sel:DWORD dst_unused:UNUSED_PAD src0_sel:WORD_0 src1_sel:DWORD
	v_mul_u32_u24_sdwa v36, v19, v86 dst_sel:DWORD dst_unused:UNUSED_PAD src0_sel:WORD_1 src1_sel:DWORD
	;; [unrolled: 2-line block ×4, first 2 shown]
	ds_read_b128 v[10:13], v80 offset:480
	v_add_nc_u32_e32 v18, 0x1000, v82
	v_pk_fma_f16 v26, v16, v33, v26
	v_pk_fma_f16 v38, v16, v34, v38
	;; [unrolled: 1-line block ×6, first 2 shown]
	ds_read2_b64 v[18:21], v18 offset0:28 offset1:46
	v_pk_fma_f16 v25, v16, v42, v25
	v_pk_fma_f16 v44, v16, v43, v14
	;; [unrolled: 1-line block ×10, first 2 shown]
	ds_read_b128 v[14:17], v80 offset:496
	s_waitcnt lgkmcnt(0)
	s_barrier
	buffer_gl0_inv
	s_load_dword s1, s[22:23], 0x4
	v_mul_u32_u24_sdwa v34, v10, v86 dst_sel:DWORD dst_unused:UNUSED_PAD src0_sel:WORD_0 src1_sel:DWORD
	v_mul_u32_u24_sdwa v10, v10, v86 dst_sel:DWORD dst_unused:UNUSED_PAD src0_sel:WORD_1 src1_sel:DWORD
	v_mul_u32_u24_sdwa v35, v11, v86 dst_sel:DWORD dst_unused:UNUSED_PAD src0_sel:WORD_0 src1_sel:DWORD
	v_mul_u32_u24_sdwa v11, v11, v86 dst_sel:DWORD dst_unused:UNUSED_PAD src0_sel:WORD_1 src1_sel:DWORD
	;; [unrolled: 2-line block ×4, first 2 shown]
	v_pk_fma_f16 v26, v18, v34, v26
	v_pk_fma_f16 v38, v18, v10, v38
	;; [unrolled: 1-line block ×16, first 2 shown]
	v_mul_u32_u24_sdwa v19, v14, v86 dst_sel:DWORD dst_unused:UNUSED_PAD src0_sel:WORD_0 src1_sel:DWORD
	v_mul_u32_u24_sdwa v14, v14, v86 dst_sel:DWORD dst_unused:UNUSED_PAD src0_sel:WORD_1 src1_sel:DWORD
	v_mul_u32_u24_sdwa v33, v15, v86 dst_sel:DWORD dst_unused:UNUSED_PAD src0_sel:WORD_0 src1_sel:DWORD
	v_mul_u32_u24_sdwa v15, v15, v86 dst_sel:DWORD dst_unused:UNUSED_PAD src0_sel:WORD_1 src1_sel:DWORD
	;; [unrolled: 2-line block ×4, first 2 shown]
	s_waitcnt lgkmcnt(0)
	s_lshl_b32 s1, s1, 5
	v_pk_fma_f16 v42, v20, v19, v26
	v_pk_fma_f16 v40, v20, v14, v38
	;; [unrolled: 1-line block ×16, first 2 shown]
	s_add_i32 s37, s1, s37
	s_cmp_ge_i32 s37, s38
	s_cbranch_scc1 .LBB17_25
; %bb.24:                               ;   in Loop: Header=BB17_19 Depth=1
	v_mov_b32_e32 v18, v2
	v_mov_b32_e32 v19, v3
	;; [unrolled: 1-line block ×16, first 2 shown]
	s_branch .LBB17_19
.LBB17_25:
	v_mov_b32_e32 v10, v70
.LBB17_26:
	v_cmp_lt_i32_e32 vcc_lo, v73, v67
	s_cmp_lg_u64 s[20:21], 0
	s_cselect_b32 s1, -1, 0
	s_cmp_eq_u32 s34, 0
	v_cndmask_b32_e32 v11, v10, v73, vcc_lo
	v_cmp_lt_i32_e32 vcc_lo, v72, v67
	s_cselect_b32 s2, -1, 0
	s_and_b32 s1, s2, s1
	v_lshlrev_b32_e32 v11, 2, v11
	v_cndmask_b32_e32 v19, v10, v72, vcc_lo
	v_cmp_lt_i32_e32 vcc_lo, v71, v67
	ds_bpermute_b32 v12, v11, v94
	ds_bpermute_b32 v13, v11, v93
	;; [unrolled: 1-line block ×8, first 2 shown]
	v_lshlrev_b32_e32 v19, 2, v19
	v_cndmask_b32_e32 v27, v10, v71, vcc_lo
	v_cmp_lt_i32_e32 vcc_lo, v69, v67
	v_lshlrev_b32_e32 v27, 2, v27
	s_waitcnt lgkmcnt(7)
	v_add_f32_e32 v12, v94, v12
	s_waitcnt lgkmcnt(6)
	v_add_f32_e32 v13, v93, v13
	;; [unrolled: 2-line block ×8, first 2 shown]
	ds_bpermute_b32 v20, v19, v12
	ds_bpermute_b32 v21, v19, v13
	;; [unrolled: 1-line block ×8, first 2 shown]
	s_waitcnt lgkmcnt(7)
	v_add_f32_e32 v12, v12, v20
	s_waitcnt lgkmcnt(6)
	v_add_f32_e32 v13, v13, v21
	;; [unrolled: 2-line block ×8, first 2 shown]
	ds_bpermute_b32 v19, v27, v12
	ds_bpermute_b32 v20, v27, v13
	;; [unrolled: 1-line block ×8, first 2 shown]
	v_cndmask_b32_e32 v27, v10, v69, vcc_lo
	v_cmp_lt_i32_e32 vcc_lo, v68, v67
	v_lshlrev_b32_e32 v27, 2, v27
	v_cndmask_b32_e32 v10, v10, v68, vcc_lo
	s_and_b32 vcc_lo, exec_lo, s1
	v_lshlrev_b32_e32 v10, 2, v10
	s_waitcnt lgkmcnt(7)
	v_add_f32_e32 v12, v12, v19
	s_waitcnt lgkmcnt(6)
	v_add_f32_e32 v13, v13, v20
	;; [unrolled: 2-line block ×8, first 2 shown]
	ds_bpermute_b32 v19, v27, v12
	ds_bpermute_b32 v20, v27, v13
	;; [unrolled: 1-line block ×8, first 2 shown]
	s_waitcnt lgkmcnt(7)
	v_add_f32_e32 v12, v12, v19
	s_waitcnt lgkmcnt(6)
	v_add_f32_e32 v13, v13, v20
	;; [unrolled: 2-line block ×8, first 2 shown]
	ds_bpermute_b32 v11, v10, v12
	ds_bpermute_b32 v20, v10, v13
	;; [unrolled: 1-line block ×8, first 2 shown]
	s_waitcnt lgkmcnt(7)
	v_add_f32_e32 v10, v12, v11
	s_waitcnt lgkmcnt(6)
	v_add_f32_e32 v11, v13, v20
	;; [unrolled: 2-line block ×8, first 2 shown]
	s_cbranch_vccz .LBB17_28
; %bb.27:
	s_ashr_i32 s37, s36, 31
	v_mov_b32_e32 v18, 0
	s_lshl_b64 s[2:3], s[36:37], 2
	v_max_f32_e32 v19, v3, v3
	s_add_u32 s2, s20, s2
	s_addc_u32 s3, s21, s3
	v_max_f32_e32 v20, v4, v4
	global_load_dwordx4 v[44:47], v18, s[2:3]
	v_max_f32_e32 v18, v2, v2
	v_max_f32_e32 v21, v5, v5
	;; [unrolled: 1-line block ×6, first 2 shown]
	v_mov_b32_e32 v26, 0x10001
	s_waitcnt vmcnt(0)
	v_max_f32_e32 v25, v44, v44
	v_max_f32_e32 v27, v45, v45
	;; [unrolled: 1-line block ×12, first 2 shown]
	v_sub_f32_e32 v27, v2, v18
	v_sub_f32_e32 v49, v3, v19
	;; [unrolled: 1-line block ×8, first 2 shown]
	v_mov_b32_e32 v2, v18
	v_sub_f32_e32 v48, v44, v18
	v_mov_b32_e32 v3, v19
	v_mov_b32_e32 v4, v20
	;; [unrolled: 1-line block ×7, first 2 shown]
	v_mul_f32_e32 v18, 0x3fb8aa3b, v27
	v_sub_f32_e32 v50, v45, v19
	v_mul_f32_e32 v19, 0x3fb8aa3b, v48
	v_sub_f32_e32 v52, v46, v20
	v_mul_f32_e32 v20, 0x3fb8aa3b, v49
	v_fma_f32 v72, 0x3fb8aa3b, v27, -v18
	v_rndne_f32_e32 v73, v18
	v_fma_f32 v74, 0x3fb8aa3b, v48, -v19
	v_rndne_f32_e32 v75, v19
	v_sub_f32_e32 v55, v47, v21
	v_fmac_f32_e32 v72, 0x32a5705f, v27
	v_sub_f32_e32 v18, v18, v73
	v_mul_f32_e32 v21, 0x3fb8aa3b, v50
	v_fma_f32 v76, 0x3fb8aa3b, v49, -v20
	v_rndne_f32_e32 v77, v20
	v_fmac_f32_e32 v74, 0x32a5705f, v48
	v_sub_f32_e32 v19, v19, v75
	v_add_f32_e32 v18, v18, v72
	v_sub_f32_e32 v44, v44, v22
	v_mul_f32_e32 v22, 0x3fb8aa3b, v51
	v_fma_f32 v78, 0x3fb8aa3b, v50, -v21
	v_rndne_f32_e32 v79, v21
	v_fmac_f32_e32 v76, 0x32a5705f, v49
	v_sub_f32_e32 v20, v20, v77
	v_add_f32_e32 v19, v19, v74
	v_exp_f32_e32 v18, v18
	v_sub_f32_e32 v45, v45, v23
	v_mul_f32_e32 v23, 0x3fb8aa3b, v52
	v_fma_f32 v80, 0x3fb8aa3b, v51, -v22
	v_rndne_f32_e32 v81, v22
	v_cvt_i32_f32_e32 v73, v73
	v_fmac_f32_e32 v78, 0x32a5705f, v50
	v_sub_f32_e32 v21, v21, v79
	v_add_f32_e32 v20, v20, v76
	v_exp_f32_e32 v19, v19
	v_sub_f32_e32 v46, v46, v24
	v_mul_f32_e32 v24, 0x3fb8aa3b, v53
	v_fma_f32 v82, 0x3fb8aa3b, v52, -v23
	v_rndne_f32_e32 v83, v23
	v_cvt_i32_f32_e32 v75, v75
	v_fmac_f32_e32 v80, 0x32a5705f, v51
	v_sub_f32_e32 v22, v22, v81
	v_add_f32_e32 v21, v21, v78
	v_exp_f32_e32 v20, v20
	v_ldexp_f32 v18, v18, v73
	v_cmp_ngt_f32_e32 vcc_lo, 0xc2ce8ed0, v27
	v_sub_f32_e32 v47, v47, v25
	v_mul_f32_e32 v25, 0x3fb8aa3b, v55
	v_fma_f32 v84, 0x3fb8aa3b, v53, -v24
	v_rndne_f32_e32 v85, v24
	v_cvt_i32_f32_e32 v77, v77
	v_fmac_f32_e32 v82, 0x32a5705f, v52
	v_sub_f32_e32 v23, v23, v83
	v_add_f32_e32 v22, v22, v80
	v_exp_f32_e32 v21, v21
	v_ldexp_f32 v19, v19, v75
	v_cndmask_b32_e32 v18, 0, v18, vcc_lo
	v_cmp_ngt_f32_e32 vcc_lo, 0xc2ce8ed0, v48
	v_mul_f32_e32 v60, 0x3fb8aa3b, v56
	v_fma_f32 v86, 0x3fb8aa3b, v55, -v25
	v_rndne_f32_e32 v87, v25
	v_cvt_i32_f32_e32 v79, v79
	v_fmac_f32_e32 v84, 0x32a5705f, v53
	v_sub_f32_e32 v24, v24, v85
	v_add_f32_e32 v23, v23, v82
	v_exp_f32_e32 v22, v22
	v_ldexp_f32 v20, v20, v77
	v_cndmask_b32_e32 v19, 0, v19, vcc_lo
	v_cmp_ngt_f32_e32 vcc_lo, 0xc2ce8ed0, v49
	;; [unrolled: 11-line block ×9, first 2 shown]
	v_fma_f32 v102, 0x3fb8aa3b, v47, -v71
	v_rndne_f32_e32 v103, v71
	v_cvt_i32_f32_e32 v95, v95
	v_fmac_f32_e32 v100, 0x32a5705f, v59
	v_sub_f32_e32 v70, v70, v101
	v_add_f32_e32 v69, v69, v98
	v_exp_f32_e32 v68, v68
	v_ldexp_f32 v62, v62, v93
	v_cndmask_b32_e32 v61, 0, v61, vcc_lo
	v_cmp_ngt_f32_e32 vcc_lo, 0xc2ce8ed0, v57
	v_cvt_i32_f32_e32 v97, v97
	v_fmac_f32_e32 v102, 0x32a5705f, v47
	v_sub_f32_e32 v71, v71, v103
	v_add_f32_e32 v70, v70, v100
	v_exp_f32_e32 v69, v69
	v_ldexp_f32 v67, v67, v95
	v_cndmask_b32_e32 v62, 0, v62, vcc_lo
	v_cmp_ngt_f32_e32 vcc_lo, 0xc2ce8ed0, v45
	v_cvt_i32_f32_e32 v99, v99
	v_add_f32_e32 v71, v71, v102
	v_exp_f32_e32 v70, v70
	v_ldexp_f32 v68, v68, v97
	v_cndmask_b32_e32 v67, 0, v67, vcc_lo
	v_cmp_ngt_f32_e32 vcc_lo, 0xc2ce8ed0, v58
	v_cvt_i32_f32_e32 v101, v101
	v_exp_f32_e32 v71, v71
	v_ldexp_f32 v69, v69, v99
	v_cvt_i32_f32_e32 v103, v103
	v_cndmask_b32_e32 v68, 0, v68, vcc_lo
	v_cmp_ngt_f32_e32 vcc_lo, 0xc2ce8ed0, v46
	v_ldexp_f32 v70, v70, v101
	v_cndmask_b32_e32 v69, 0, v69, vcc_lo
	v_cmp_ngt_f32_e32 vcc_lo, 0xc2ce8ed0, v59
	v_ldexp_f32 v71, v71, v103
	v_cndmask_b32_e32 v70, 0, v70, vcc_lo
	v_cmp_ngt_f32_e32 vcc_lo, 0xc2ce8ed0, v47
	v_cndmask_b32_e32 v71, 0, v71, vcc_lo
	v_cmp_nlt_f32_e32 vcc_lo, 0x42b17218, v27
	v_cndmask_b32_e32 v27, 0x7f800000, v18, vcc_lo
	v_cmp_nlt_f32_e32 vcc_lo, 0x42b17218, v48
	;; [unrolled: 2-line block ×3, first 2 shown]
	v_fmac_f32_e32 v18, v10, v27
	v_cndmask_b32_e32 v48, 0x7f800000, v20, vcc_lo
	v_cmp_nlt_f32_e32 vcc_lo, 0x42b17218, v50
	v_cvt_f16_f32_e32 v10, v27
	v_cndmask_b32_e32 v19, 0x7f800000, v21, vcc_lo
	v_cmp_nlt_f32_e32 vcc_lo, 0x42b17218, v51
	v_mul_u32_u24_sdwa v27, v10, v26 dst_sel:DWORD dst_unused:UNUSED_PAD src0_sel:WORD_0 src1_sel:DWORD
	v_mov_b32_e32 v10, v18
	v_fmac_f32_e32 v19, v11, v48
	v_cndmask_b32_e32 v49, 0x7f800000, v22, vcc_lo
	v_cmp_nlt_f32_e32 vcc_lo, 0x42b17218, v52
	v_cvt_f16_f32_e32 v11, v48
	v_pk_mul_f16 v42, v42, v27
	v_pk_mul_f16 v43, v43, v27
	v_cndmask_b32_e32 v20, 0x7f800000, v23, vcc_lo
	v_cmp_nlt_f32_e32 vcc_lo, 0x42b17218, v53
	v_fmac_f32_e32 v20, v12, v49
	v_cndmask_b32_e32 v50, 0x7f800000, v24, vcc_lo
	v_cmp_nlt_f32_e32 vcc_lo, 0x42b17218, v55
	v_cvt_f16_f32_e32 v12, v49
	v_cndmask_b32_e32 v21, 0x7f800000, v25, vcc_lo
	v_cmp_nlt_f32_e32 vcc_lo, 0x42b17218, v56
	v_fmac_f32_e32 v21, v13, v50
	v_cndmask_b32_e32 v51, 0x7f800000, v60, vcc_lo
	v_cmp_nlt_f32_e32 vcc_lo, 0x42b17218, v44
	v_cvt_f16_f32_e32 v13, v50
	;; [unrolled: 6-line block ×4, first 2 shown]
	v_mul_u32_u24_sdwa v44, v11, v26 dst_sel:DWORD dst_unused:UNUSED_PAD src0_sel:WORD_0 src1_sel:DWORD
	v_mov_b32_e32 v11, v19
	v_cndmask_b32_e32 v24, 0x7f800000, v69, vcc_lo
	v_cmp_nlt_f32_e32 vcc_lo, 0x42b17218, v59
	v_mul_u32_u24_sdwa v48, v15, v26 dst_sel:DWORD dst_unused:UNUSED_PAD src0_sel:WORD_0 src1_sel:DWORD
	v_mov_b32_e32 v15, v23
	v_pk_mul_f16 v40, v40, v44
	v_fmac_f32_e32 v24, v16, v45
	v_cndmask_b32_e32 v46, 0x7f800000, v70, vcc_lo
	v_cmp_nlt_f32_e32 vcc_lo, 0x42b17218, v47
	v_cvt_f16_f32_e32 v16, v45
	v_mul_u32_u24_sdwa v45, v12, v26 dst_sel:DWORD dst_unused:UNUSED_PAD src0_sel:WORD_0 src1_sel:DWORD
	v_mul_u32_u24_sdwa v47, v14, v26 dst_sel:DWORD dst_unused:UNUSED_PAD src0_sel:WORD_0 src1_sel:DWORD
	v_mov_b32_e32 v12, v20
	v_cndmask_b32_e32 v25, 0x7f800000, v71, vcc_lo
	v_mul_u32_u24_sdwa v49, v16, v26 dst_sel:DWORD dst_unused:UNUSED_PAD src0_sel:WORD_0 src1_sel:DWORD
	v_mov_b32_e32 v14, v22
	v_mov_b32_e32 v16, v24
	v_pk_mul_f16 v41, v41, v44
	v_fmac_f32_e32 v25, v17, v46
	v_cvt_f16_f32_e32 v17, v46
	v_mul_u32_u24_sdwa v46, v13, v26 dst_sel:DWORD dst_unused:UNUSED_PAD src0_sel:WORD_0 src1_sel:DWORD
	v_mov_b32_e32 v13, v21
	v_pk_mul_f16 v38, v38, v45
	v_pk_mul_f16 v39, v39, v45
	v_mul_u32_u24_sdwa v17, v17, v26 dst_sel:DWORD dst_unused:UNUSED_PAD src0_sel:WORD_0 src1_sel:DWORD
	v_pk_mul_f16 v36, v36, v46
	v_pk_mul_f16 v37, v37, v46
	;; [unrolled: 1-line block ×10, first 2 shown]
	v_mov_b32_e32 v17, v25
	s_branch .LBB17_29
.LBB17_28:
	v_mov_b32_e32 v25, v17
	v_mov_b32_e32 v24, v16
	;; [unrolled: 1-line block ×8, first 2 shown]
.LBB17_29:
	v_lshlrev_b32_e32 v26, 1, v1
	s_mov_b32 s1, exec_lo
	v_add_nc_u32_e32 v1, s33, v26
	v_cmpx_gt_i32_e64 s30, v1
	s_cbranch_execz .LBB17_82
; %bb.30:
	s_load_dword s1, s[4:5], 0xd4
	v_mov_b32_e32 v1, 1.0
	s_waitcnt lgkmcnt(0)
	s_cmp_lg_u32 s1, 1
	s_cselect_b32 s4, -1, 0
	s_cmp_eq_u32 s1, 1
	s_cselect_b32 s2, -1, 0
	s_and_b32 vcc_lo, exec_lo, s4
	s_cbranch_vccnz .LBB17_32
; %bb.31:
	v_div_scale_f32 v1, null, v10, v10, 1.0
	v_rcp_f32_e32 v27, v1
	v_fma_f32 v44, -v1, v27, 1.0
	v_fmac_f32_e32 v27, v44, v27
	v_div_scale_f32 v44, vcc_lo, 1.0, v10, 1.0
	v_mul_f32_e32 v45, v44, v27
	v_fma_f32 v46, -v1, v45, v44
	v_fmac_f32_e32 v45, v46, v27
	v_fma_f32 v1, -v1, v45, v44
	v_div_fmas_f32 v1, v1, v27, v45
	v_div_fixup_f32 v1, v1, v10, 1.0
.LBB17_32:
	s_mul_i32 s3, s35, s30
	s_add_i32 s3, s3, s33
	v_add_nc_u32_e32 v10, s3, v26
	v_mul_lo_u32 v10, v10, s31
	v_add_nc_u32_e32 v26, s36, v10
	v_mad_u64_u32 v[26:27], null, s1, v26, s[34:35]
	s_and_saveexec_b32 s5, s0
	s_cbranch_execz .LBB17_34
; %bb.33:
	v_mad_u64_u32 v[44:45], null, 0x48, v26, v[54:55]
	v_mov_b32_e32 v45, 0
	v_cvt_f32_f16_sdwa v27, v43 dst_sel:DWORD dst_unused:UNUSED_PAD src0_sel:WORD_1
	v_cvt_f32_f16_e32 v43, v43
	v_cvt_f32_f16_sdwa v48, v42 dst_sel:DWORD dst_unused:UNUSED_PAD src0_sel:WORD_1
	v_cvt_f32_f16_e32 v42, v42
	v_lshlrev_b64 v[46:47], 2, v[44:45]
	v_mul_f32_e32 v45, v1, v27
	v_mul_f32_e32 v44, v1, v43
	;; [unrolled: 1-line block ×4, first 2 shown]
	v_add_co_u32 v46, vcc_lo, s24, v46
	v_add_co_ci_u32_e64 v47, null, s25, v47, vcc_lo
	global_store_dwordx4 v[46:47], v[42:45], off
.LBB17_34:
	s_or_b32 exec_lo, exec_lo, s5
	v_cmp_eq_u32_e32 vcc_lo, 0, v0
	s_and_b32 s5, vcc_lo, s4
	s_and_saveexec_b32 s4, s5
	s_cbranch_execz .LBB17_36
; %bb.35:
	v_ashrrev_i32_e32 v27, 31, v26
	v_lshlrev_b64 v[0:1], 3, v[26:27]
	v_mov_b32_e32 v26, v2
	v_mov_b32_e32 v27, v18
	v_add_co_u32 v0, vcc_lo, s26, v0
	v_add_co_ci_u32_e64 v1, null, s27, v1, vcc_lo
	global_store_dwordx2 v[0:1], v[26:27], off
.LBB17_36:
	s_or_b32 exec_lo, exec_lo, s4
	v_cndmask_b32_e64 v2, 0, 1, s2
	v_mov_b32_e32 v18, 1.0
	s_andn2_b32 vcc_lo, exec_lo, s2
	s_cbranch_vccnz .LBB17_38
; %bb.37:
	v_div_scale_f32 v0, null, v11, v11, 1.0
	v_rcp_f32_e32 v1, v0
	v_fma_f32 v18, -v0, v1, 1.0
	v_fmac_f32_e32 v1, v18, v1
	v_div_scale_f32 v18, vcc_lo, 1.0, v11, 1.0
	v_mul_f32_e32 v26, v18, v1
	v_fma_f32 v27, -v0, v26, v18
	v_fmac_f32_e32 v26, v27, v1
	v_fma_f32 v0, -v0, v26, v18
	v_div_fmas_f32 v0, v0, v1, v26
	v_div_fixup_f32 v18, v0, v11, 1.0
.LBB17_38:
	s_add_i32 s6, s36, 1
	v_add_nc_u32_e32 v0, s6, v10
	v_mad_u64_u32 v[0:1], null, s1, v0, s[34:35]
	s_and_saveexec_b32 s2, s0
	s_cbranch_execz .LBB17_40
; %bb.39:
	v_mad_u64_u32 v[26:27], null, 0x48, v0, v[54:55]
	v_mov_b32_e32 v27, 0
	v_cvt_f32_f16_sdwa v1, v41 dst_sel:DWORD dst_unused:UNUSED_PAD src0_sel:WORD_1
	v_cvt_f32_f16_e32 v11, v41
	v_cvt_f32_f16_sdwa v41, v40 dst_sel:DWORD dst_unused:UNUSED_PAD src0_sel:WORD_1
	v_cvt_f32_f16_e32 v40, v40
	v_mul_f32_e32 v43, v18, v1
	v_lshlrev_b64 v[26:27], 2, v[26:27]
	v_mul_f32_e32 v42, v18, v11
	v_mul_f32_e32 v41, v18, v41
	;; [unrolled: 1-line block ×3, first 2 shown]
	v_add_co_u32 v26, vcc_lo, s24, v26
	v_add_co_ci_u32_e64 v27, null, s25, v27, vcc_lo
	global_store_dwordx4 v[26:27], v[40:43], off
.LBB17_40:
	s_or_b32 exec_lo, exec_lo, s2
	s_and_saveexec_b32 s2, s5
	s_cbranch_execz .LBB17_42
; %bb.41:
	v_ashrrev_i32_e32 v1, 31, v0
	v_mov_b32_e32 v18, v3
	v_lshlrev_b64 v[0:1], 3, v[0:1]
	v_add_co_u32 v0, vcc_lo, s26, v0
	v_add_co_ci_u32_e64 v1, null, s27, v1, vcc_lo
	global_store_dwordx2 v[0:1], v[18:19], off
.LBB17_42:
	s_or_b32 exec_lo, exec_lo, s2
	v_cmp_ne_u32_e32 vcc_lo, 1, v2
	v_mov_b32_e32 v3, 1.0
	s_cbranch_vccnz .LBB17_44
; %bb.43:
	v_div_scale_f32 v0, null, v12, v12, 1.0
	v_rcp_f32_e32 v1, v0
	v_fma_f32 v3, -v0, v1, 1.0
	v_fmac_f32_e32 v1, v3, v1
	v_div_scale_f32 v3, vcc_lo, 1.0, v12, 1.0
	v_mul_f32_e32 v11, v3, v1
	v_fma_f32 v18, -v0, v11, v3
	v_fmac_f32_e32 v11, v18, v1
	v_fma_f32 v0, -v0, v11, v3
	v_div_fmas_f32 v0, v0, v1, v11
	v_div_fixup_f32 v3, v0, v12, 1.0
.LBB17_44:
	s_add_i32 s4, s36, 2
	v_add_nc_u32_e32 v0, s4, v10
	v_mad_u64_u32 v[0:1], null, s1, v0, s[34:35]
	s_and_saveexec_b32 s2, s0
	s_cbranch_execz .LBB17_46
; %bb.45:
	v_mad_u64_u32 v[11:12], null, 0x48, v0, v[54:55]
	v_mov_b32_e32 v12, 0
	v_cvt_f32_f16_sdwa v1, v39 dst_sel:DWORD dst_unused:UNUSED_PAD src0_sel:WORD_1
	v_cvt_f32_f16_e32 v18, v39
	v_cvt_f32_f16_sdwa v19, v38 dst_sel:DWORD dst_unused:UNUSED_PAD src0_sel:WORD_1
	v_cvt_f32_f16_e32 v26, v38
	v_mul_f32_e32 v41, v3, v1
	v_lshlrev_b64 v[11:12], 2, v[11:12]
	v_mul_f32_e32 v40, v3, v18
	v_mul_f32_e32 v39, v3, v19
	;; [unrolled: 1-line block ×3, first 2 shown]
	v_add_co_u32 v11, vcc_lo, s24, v11
	v_add_co_ci_u32_e64 v12, null, s25, v12, vcc_lo
	global_store_dwordx4 v[11:12], v[38:41], off
.LBB17_46:
	s_or_b32 exec_lo, exec_lo, s2
	s_and_saveexec_b32 s2, s5
	s_cbranch_execz .LBB17_48
; %bb.47:
	v_ashrrev_i32_e32 v1, 31, v0
	v_mov_b32_e32 v19, v4
	v_lshlrev_b64 v[0:1], 3, v[0:1]
	v_add_co_u32 v0, vcc_lo, s26, v0
	v_add_co_ci_u32_e64 v1, null, s27, v1, vcc_lo
	global_store_dwordx2 v[0:1], v[19:20], off
.LBB17_48:
	s_or_b32 exec_lo, exec_lo, s2
	v_cmp_ne_u32_e32 vcc_lo, 1, v2
	v_mov_b32_e32 v3, 1.0
	s_cbranch_vccnz .LBB17_50
; %bb.49:
	v_div_scale_f32 v0, null, v13, v13, 1.0
	v_rcp_f32_e32 v1, v0
	v_fma_f32 v3, -v0, v1, 1.0
	v_fmac_f32_e32 v1, v3, v1
	v_div_scale_f32 v3, vcc_lo, 1.0, v13, 1.0
	v_mul_f32_e32 v4, v3, v1
	v_fma_f32 v11, -v0, v4, v3
	v_fmac_f32_e32 v4, v11, v1
	v_fma_f32 v0, -v0, v4, v3
	v_div_fmas_f32 v0, v0, v1, v4
	v_div_fixup_f32 v3, v0, v13, 1.0
.LBB17_50:
	s_add_i32 s2, s36, 3
	v_add_nc_u32_e32 v0, s2, v10
	v_mad_u64_u32 v[0:1], null, s1, v0, s[34:35]
	s_and_saveexec_b32 s7, s0
	s_cbranch_execz .LBB17_52
; %bb.51:
	v_mad_u64_u32 v[10:11], null, 0x48, v0, v[54:55]
	v_mov_b32_e32 v11, 0
	v_cvt_f32_f16_sdwa v1, v37 dst_sel:DWORD dst_unused:UNUSED_PAD src0_sel:WORD_1
	v_cvt_f32_f16_e32 v4, v37
	v_cvt_f32_f16_sdwa v20, v36 dst_sel:DWORD dst_unused:UNUSED_PAD src0_sel:WORD_1
	v_mul_f32_e32 v13, v3, v1
	v_lshlrev_b64 v[18:19], 2, v[10:11]
	v_cvt_f32_f16_e32 v10, v36
	v_mul_f32_e32 v12, v3, v4
	v_mul_f32_e32 v11, v3, v20
	;; [unrolled: 1-line block ×3, first 2 shown]
	v_add_co_u32 v18, vcc_lo, s24, v18
	v_add_co_ci_u32_e64 v19, null, s25, v19, vcc_lo
	global_store_dwordx4 v[18:19], v[10:13], off
.LBB17_52:
	s_or_b32 exec_lo, exec_lo, s7
	s_and_saveexec_b32 s7, s5
	s_cbranch_execz .LBB17_54
; %bb.53:
	v_ashrrev_i32_e32 v1, 31, v0
	v_mov_b32_e32 v20, v5
	v_lshlrev_b64 v[0:1], 3, v[0:1]
	v_add_co_u32 v0, vcc_lo, s26, v0
	v_add_co_ci_u32_e64 v1, null, s27, v1, vcc_lo
	global_store_dwordx2 v[0:1], v[20:21], off
.LBB17_54:
	s_or_b32 exec_lo, exec_lo, s7
	v_add_nc_u32_e32 v0, s33, v66
	v_cmp_gt_i32_e32 vcc_lo, s30, v0
	s_and_b32 exec_lo, exec_lo, vcc_lo
	s_cbranch_execz .LBB17_82
; %bb.55:
	v_cmp_ne_u32_e32 vcc_lo, 1, v2
	v_mov_b32_e32 v3, 1.0
	s_cbranch_vccnz .LBB17_57
; %bb.56:
	v_div_scale_f32 v0, null, v14, v14, 1.0
	v_rcp_f32_e32 v1, v0
	v_fma_f32 v3, -v0, v1, 1.0
	v_fmac_f32_e32 v1, v3, v1
	v_div_scale_f32 v3, vcc_lo, 1.0, v14, 1.0
	v_mul_f32_e32 v4, v3, v1
	v_fma_f32 v5, -v0, v4, v3
	v_fmac_f32_e32 v4, v5, v1
	v_fma_f32 v0, -v0, v4, v3
	v_div_fmas_f32 v0, v0, v1, v4
	v_div_fixup_f32 v3, v0, v14, 1.0
.LBB17_57:
	v_add_nc_u32_e32 v0, s3, v66
	v_mad_u64_u32 v[0:1], null, v0, s31, s[36:37]
	v_mad_u64_u32 v[0:1], null, s1, v0, s[34:35]
	s_and_saveexec_b32 s7, s0
	s_cbranch_execz .LBB17_59
; %bb.58:
	v_mad_u64_u32 v[4:5], null, 0x48, v0, v[54:55]
	v_mov_b32_e32 v5, 0
	v_cvt_f32_f16_sdwa v1, v35 dst_sel:DWORD dst_unused:UNUSED_PAD src0_sel:WORD_1
	v_cvt_f32_f16_e32 v10, v35
	v_cvt_f32_f16_sdwa v11, v34 dst_sel:DWORD dst_unused:UNUSED_PAD src0_sel:WORD_1
	v_cvt_f32_f16_e32 v14, v34
	v_mul_f32_e32 v13, v3, v1
	v_lshlrev_b64 v[4:5], 2, v[4:5]
	v_mul_f32_e32 v12, v3, v10
	v_mul_f32_e32 v11, v3, v11
	v_mul_f32_e32 v10, v3, v14
	v_add_co_u32 v4, vcc_lo, s24, v4
	v_add_co_ci_u32_e64 v5, null, s25, v5, vcc_lo
	global_store_dwordx4 v[4:5], v[10:13], off
.LBB17_59:
	s_or_b32 exec_lo, exec_lo, s7
	s_and_saveexec_b32 s7, s5
	s_cbranch_execz .LBB17_61
; %bb.60:
	v_ashrrev_i32_e32 v1, 31, v0
	v_mov_b32_e32 v21, v6
	v_lshlrev_b64 v[0:1], 3, v[0:1]
	v_add_co_u32 v0, vcc_lo, s26, v0
	v_add_co_ci_u32_e64 v1, null, s27, v1, vcc_lo
	global_store_dwordx2 v[0:1], v[21:22], off
.LBB17_61:
	s_or_b32 exec_lo, exec_lo, s7
	v_lshrrev_b32_e32 v0, 2, v65
	v_add_nc_u32_e32 v1, s33, v0
	v_cmp_gt_i32_e32 vcc_lo, s30, v1
	s_and_b32 exec_lo, exec_lo, vcc_lo
	s_cbranch_execz .LBB17_82
; %bb.62:
	v_cmp_ne_u32_e32 vcc_lo, 1, v2
	v_mov_b32_e32 v3, 1.0
	s_cbranch_vccnz .LBB17_64
; %bb.63:
	v_div_scale_f32 v1, null, v15, v15, 1.0
	v_rcp_f32_e32 v3, v1
	v_fma_f32 v4, -v1, v3, 1.0
	v_fmac_f32_e32 v3, v4, v3
	v_div_scale_f32 v4, vcc_lo, 1.0, v15, 1.0
	v_mul_f32_e32 v5, v4, v3
	v_fma_f32 v6, -v1, v5, v4
	v_fmac_f32_e32 v5, v6, v3
	v_fma_f32 v1, -v1, v5, v4
	v_div_fmas_f32 v1, v1, v3, v5
	v_div_fixup_f32 v3, v1, v15, 1.0
.LBB17_64:
	v_add_nc_u32_e32 v0, s3, v0
	v_mad_u64_u32 v[0:1], null, v0, s31, s[6:7]
	v_mad_u64_u32 v[0:1], null, s1, v0, s[34:35]
	s_and_saveexec_b32 s6, s0
	s_cbranch_execz .LBB17_66
; %bb.65:
	v_mad_u64_u32 v[4:5], null, 0x48, v0, v[54:55]
	v_mov_b32_e32 v5, 0
	v_cvt_f32_f16_sdwa v1, v33 dst_sel:DWORD dst_unused:UNUSED_PAD src0_sel:WORD_1
	v_cvt_f32_f16_e32 v12, v33
	v_cvt_f32_f16_sdwa v13, v32 dst_sel:DWORD dst_unused:UNUSED_PAD src0_sel:WORD_1
	v_cvt_f32_f16_e32 v14, v32
	v_mul_f32_e32 v6, v3, v1
	v_lshlrev_b64 v[10:11], 2, v[4:5]
	v_mul_f32_e32 v5, v3, v12
	v_mul_f32_e32 v4, v3, v13
	v_mul_f32_e32 v3, v3, v14
	v_add_co_u32 v10, vcc_lo, s24, v10
	v_add_co_ci_u32_e64 v11, null, s25, v11, vcc_lo
	global_store_dwordx4 v[10:11], v[3:6], off
.LBB17_66:
	s_or_b32 exec_lo, exec_lo, s6
	s_and_saveexec_b32 s6, s5
	s_cbranch_execz .LBB17_68
; %bb.67:
	v_ashrrev_i32_e32 v1, 31, v0
	v_mov_b32_e32 v22, v7
	v_lshlrev_b64 v[0:1], 3, v[0:1]
	v_add_co_u32 v0, vcc_lo, s26, v0
	v_add_co_ci_u32_e64 v1, null, s27, v1, vcc_lo
	global_store_dwordx2 v[0:1], v[22:23], off
.LBB17_68:
	s_or_b32 exec_lo, exec_lo, s6
	v_lshrrev_b32_e32 v0, 2, v64
	;; [unrolled: 55-line block ×3, first 2 shown]
	v_add_nc_u32_e32 v1, s33, v0
	v_cmp_gt_i32_e32 vcc_lo, s30, v1
	s_and_b32 exec_lo, exec_lo, vcc_lo
	s_cbranch_execz .LBB17_82
; %bb.76:
	v_cmp_ne_u32_e32 vcc_lo, 1, v2
	v_mov_b32_e32 v2, 1.0
	s_cbranch_vccnz .LBB17_78
; %bb.77:
	v_div_scale_f32 v1, null, v17, v17, 1.0
	v_rcp_f32_e32 v2, v1
	v_fma_f32 v3, -v1, v2, 1.0
	v_fmac_f32_e32 v2, v3, v2
	v_div_scale_f32 v3, vcc_lo, 1.0, v17, 1.0
	v_mul_f32_e32 v4, v3, v2
	v_fma_f32 v5, -v1, v4, v3
	v_fmac_f32_e32 v4, v5, v2
	v_fma_f32 v1, -v1, v4, v3
	v_div_fmas_f32 v1, v1, v2, v4
	v_div_fixup_f32 v2, v1, v17, 1.0
.LBB17_78:
	v_add_nc_u32_e32 v0, s3, v0
	v_mad_u64_u32 v[0:1], null, v0, s31, s[2:3]
	v_mad_u64_u32 v[0:1], null, s1, v0, s[34:35]
	s_and_saveexec_b32 s1, s0
	s_cbranch_execz .LBB17_80
; %bb.79:
	v_mad_u64_u32 v[3:4], null, 0x48, v0, v[54:55]
	v_mov_b32_e32 v4, 0
	v_cvt_f32_f16_sdwa v1, v28 dst_sel:DWORD dst_unused:UNUSED_PAD src0_sel:WORD_1
	v_cvt_f32_f16_e32 v8, v28
	v_cvt_f32_f16_sdwa v10, v29 dst_sel:DWORD dst_unused:UNUSED_PAD src0_sel:WORD_1
	v_cvt_f32_f16_e32 v11, v29
	v_mul_f32_e32 v5, v2, v1
	v_lshlrev_b64 v[6:7], 2, v[3:4]
	v_mul_f32_e32 v4, v2, v8
	v_mul_f32_e32 v3, v2, v10
	;; [unrolled: 1-line block ×3, first 2 shown]
	v_add_co_u32 v6, vcc_lo, s24, v6
	v_add_co_ci_u32_e64 v7, null, s25, v7, vcc_lo
	global_store_dwordx4 v[6:7], v[2:5], off
.LBB17_80:
	s_or_b32 exec_lo, exec_lo, s1
	s_and_b32 exec_lo, exec_lo, s5
	s_cbranch_execz .LBB17_82
; %bb.81:
	v_ashrrev_i32_e32 v1, 31, v0
	v_mov_b32_e32 v24, v9
	v_lshlrev_b64 v[0:1], 3, v[0:1]
	v_add_co_u32 v0, vcc_lo, s26, v0
	v_add_co_ci_u32_e64 v1, null, s27, v1, vcc_lo
	global_store_dwordx2 v[0:1], v[24:25], off
.LBB17_82:
	s_endpgm
	.section	.rodata,"a",@progbits
	.p2align	6, 0x0
	.amdhsa_kernel _ZL15flash_attn_tileILi72ELi72ELi16ELi4ELb0EEvPKcS1_S1_S1_S1_PKiPfP15HIP_vector_typeIfLj2EEffffjfiS5_IjLj3EEiiiiiiiiiiiliiliiiiil
		.amdhsa_group_segment_fixed_size 18656
		.amdhsa_private_segment_fixed_size 0
		.amdhsa_kernarg_size 464
		.amdhsa_user_sgpr_count 6
		.amdhsa_user_sgpr_private_segment_buffer 1
		.amdhsa_user_sgpr_dispatch_ptr 0
		.amdhsa_user_sgpr_queue_ptr 0
		.amdhsa_user_sgpr_kernarg_segment_ptr 1
		.amdhsa_user_sgpr_dispatch_id 0
		.amdhsa_user_sgpr_flat_scratch_init 0
		.amdhsa_user_sgpr_private_segment_size 0
		.amdhsa_wavefront_size32 1
		.amdhsa_uses_dynamic_stack 0
		.amdhsa_system_sgpr_private_segment_wavefront_offset 0
		.amdhsa_system_sgpr_workgroup_id_x 1
		.amdhsa_system_sgpr_workgroup_id_y 1
		.amdhsa_system_sgpr_workgroup_id_z 1
		.amdhsa_system_sgpr_workgroup_info 0
		.amdhsa_system_vgpr_workitem_id 1
		.amdhsa_next_free_vgpr 183
		.amdhsa_next_free_sgpr 49
		.amdhsa_reserve_vcc 1
		.amdhsa_reserve_flat_scratch 0
		.amdhsa_float_round_mode_32 0
		.amdhsa_float_round_mode_16_64 0
		.amdhsa_float_denorm_mode_32 3
		.amdhsa_float_denorm_mode_16_64 3
		.amdhsa_dx10_clamp 1
		.amdhsa_ieee_mode 1
		.amdhsa_fp16_overflow 0
		.amdhsa_workgroup_processor_mode 1
		.amdhsa_memory_ordered 1
		.amdhsa_forward_progress 1
		.amdhsa_shared_vgpr_count 0
		.amdhsa_exception_fp_ieee_invalid_op 0
		.amdhsa_exception_fp_denorm_src 0
		.amdhsa_exception_fp_ieee_div_zero 0
		.amdhsa_exception_fp_ieee_overflow 0
		.amdhsa_exception_fp_ieee_underflow 0
		.amdhsa_exception_fp_ieee_inexact 0
		.amdhsa_exception_int_div_zero 0
	.end_amdhsa_kernel
	.section	.text._ZL15flash_attn_tileILi72ELi72ELi16ELi4ELb0EEvPKcS1_S1_S1_S1_PKiPfP15HIP_vector_typeIfLj2EEffffjfiS5_IjLj3EEiiiiiiiiiiiliiliiiiil,"axG",@progbits,_ZL15flash_attn_tileILi72ELi72ELi16ELi4ELb0EEvPKcS1_S1_S1_S1_PKiPfP15HIP_vector_typeIfLj2EEffffjfiS5_IjLj3EEiiiiiiiiiiiliiliiiiil,comdat
.Lfunc_end17:
	.size	_ZL15flash_attn_tileILi72ELi72ELi16ELi4ELb0EEvPKcS1_S1_S1_S1_PKiPfP15HIP_vector_typeIfLj2EEffffjfiS5_IjLj3EEiiiiiiiiiiiliiliiiiil, .Lfunc_end17-_ZL15flash_attn_tileILi72ELi72ELi16ELi4ELb0EEvPKcS1_S1_S1_S1_PKiPfP15HIP_vector_typeIfLj2EEffffjfiS5_IjLj3EEiiiiiiiiiiiliiliiiiil
                                        ; -- End function
	.set _ZL15flash_attn_tileILi72ELi72ELi16ELi4ELb0EEvPKcS1_S1_S1_S1_PKiPfP15HIP_vector_typeIfLj2EEffffjfiS5_IjLj3EEiiiiiiiiiiiliiliiiiil.num_vgpr, 183
	.set _ZL15flash_attn_tileILi72ELi72ELi16ELi4ELb0EEvPKcS1_S1_S1_S1_PKiPfP15HIP_vector_typeIfLj2EEffffjfiS5_IjLj3EEiiiiiiiiiiiliiliiiiil.num_agpr, 0
	.set _ZL15flash_attn_tileILi72ELi72ELi16ELi4ELb0EEvPKcS1_S1_S1_S1_PKiPfP15HIP_vector_typeIfLj2EEffffjfiS5_IjLj3EEiiiiiiiiiiiliiliiiiil.numbered_sgpr, 49
	.set _ZL15flash_attn_tileILi72ELi72ELi16ELi4ELb0EEvPKcS1_S1_S1_S1_PKiPfP15HIP_vector_typeIfLj2EEffffjfiS5_IjLj3EEiiiiiiiiiiiliiliiiiil.num_named_barrier, 0
	.set _ZL15flash_attn_tileILi72ELi72ELi16ELi4ELb0EEvPKcS1_S1_S1_S1_PKiPfP15HIP_vector_typeIfLj2EEffffjfiS5_IjLj3EEiiiiiiiiiiiliiliiiiil.private_seg_size, 0
	.set _ZL15flash_attn_tileILi72ELi72ELi16ELi4ELb0EEvPKcS1_S1_S1_S1_PKiPfP15HIP_vector_typeIfLj2EEffffjfiS5_IjLj3EEiiiiiiiiiiiliiliiiiil.uses_vcc, 1
	.set _ZL15flash_attn_tileILi72ELi72ELi16ELi4ELb0EEvPKcS1_S1_S1_S1_PKiPfP15HIP_vector_typeIfLj2EEffffjfiS5_IjLj3EEiiiiiiiiiiiliiliiiiil.uses_flat_scratch, 0
	.set _ZL15flash_attn_tileILi72ELi72ELi16ELi4ELb0EEvPKcS1_S1_S1_S1_PKiPfP15HIP_vector_typeIfLj2EEffffjfiS5_IjLj3EEiiiiiiiiiiiliiliiiiil.has_dyn_sized_stack, 0
	.set _ZL15flash_attn_tileILi72ELi72ELi16ELi4ELb0EEvPKcS1_S1_S1_S1_PKiPfP15HIP_vector_typeIfLj2EEffffjfiS5_IjLj3EEiiiiiiiiiiiliiliiiiil.has_recursion, 0
	.set _ZL15flash_attn_tileILi72ELi72ELi16ELi4ELb0EEvPKcS1_S1_S1_S1_PKiPfP15HIP_vector_typeIfLj2EEffffjfiS5_IjLj3EEiiiiiiiiiiiliiliiiiil.has_indirect_call, 0
	.section	.AMDGPU.csdata,"",@progbits
; Kernel info:
; codeLenInByte = 24976
; TotalNumSgprs: 51
; NumVgprs: 183
; ScratchSize: 0
; MemoryBound: 0
; FloatMode: 240
; IeeeMode: 1
; LDSByteSize: 18656 bytes/workgroup (compile time only)
; SGPRBlocks: 0
; VGPRBlocks: 22
; NumSGPRsForWavesPerEU: 51
; NumVGPRsForWavesPerEU: 183
; Occupancy: 5
; WaveLimiterHint : 1
; COMPUTE_PGM_RSRC2:SCRATCH_EN: 0
; COMPUTE_PGM_RSRC2:USER_SGPR: 6
; COMPUTE_PGM_RSRC2:TRAP_HANDLER: 0
; COMPUTE_PGM_RSRC2:TGID_X_EN: 1
; COMPUTE_PGM_RSRC2:TGID_Y_EN: 1
; COMPUTE_PGM_RSRC2:TGID_Z_EN: 1
; COMPUTE_PGM_RSRC2:TIDIG_COMP_CNT: 1
	.section	.text._ZL25flash_attn_mask_to_KV_maxILi16EEvPK7__half2Piiii,"axG",@progbits,_ZL25flash_attn_mask_to_KV_maxILi16EEvPK7__half2Piiii,comdat
	.globl	_ZL25flash_attn_mask_to_KV_maxILi16EEvPK7__half2Piiii ; -- Begin function _ZL25flash_attn_mask_to_KV_maxILi16EEvPK7__half2Piiii
	.p2align	8
	.type	_ZL25flash_attn_mask_to_KV_maxILi16EEvPK7__half2Piiii,@function
_ZL25flash_attn_mask_to_KV_maxILi16EEvPK7__half2Piiii: ; @_ZL25flash_attn_mask_to_KV_maxILi16EEvPK7__half2Piiii
; %bb.0:
	s_load_dwordx4 s[8:11], s[4:5], 0x0
	s_mov_b32 s0, exec_lo
	v_cmpx_gt_u32_e32 32, v0
; %bb.1:
	v_lshlrev_b32_e32 v1, 2, v0
	v_mov_b32_e32 v2, 1
	ds_write_b32 v1, v2
; %bb.2:
	s_or_b32 exec_lo, exec_lo, s0
	s_clause 0x1
	s_load_dwordx4 s[12:15], s[4:5], 0x10
	s_load_dword s1, s[4:5], 0x20
	v_and_b32_e32 v1, 31, v0
	v_lshrrev_b32_e32 v5, 3, v0
	v_mov_b32_e32 v2, 0
	v_mov_b32_e32 v6, 0x204
	s_waitcnt lgkmcnt(0)
	v_lshlrev_b32_e32 v7, 2, v1
	s_barrier
	buffer_gl0_inv
	s_mul_i32 s0, s6, s13
	s_mul_i32 s2, s14, s7
	s_lshl_b32 s0, s0, 4
	s_add_i32 s2, s2, s0
	v_cmp_eq_u32_e64 s0, 0, v1
	s_ashr_i32 s3, s2, 31
	s_lshl_b64 s[4:5], s[2:3], 2
	s_add_u32 s3, s8, s4
	s_addc_u32 s4, s9, s5
	s_lshl_b32 s5, s12, 8
	s_branch .LBB18_4
.LBB18_3:                               ;   in Loop: Header=BB18_4 Depth=1
	s_or_b32 exec_lo, exec_lo, s8
	s_waitcnt lgkmcnt(0)
	s_barrier
	buffer_gl0_inv
	ds_read_b32 v1, v7
	s_waitcnt lgkmcnt(0)
	s_barrier
	buffer_gl0_inv
	v_cmp_ne_u32_e32 vcc_lo, 0, v1
	s_cmp_lg_u32 vcc_lo, exec_lo
	s_cselect_b32 s8, -1, 0
	s_and_b32 vcc_lo, exec_lo, s8
	s_cbranch_vccnz .LBB18_68
.LBB18_4:                               ; =>This Inner Loop Header: Depth=1
	s_mov_b32 s2, s5
	s_addk_i32 s5, 0xff00
	s_cmp_lt_i32 s5, 0
	s_cbranch_scc1 .LBB18_67
; %bb.5:                                ;   in Loop: Header=BB18_4 Depth=1
	s_lshr_b32 s8, s5, 1
	v_add_nc_u32_e32 v1, s8, v0
	v_lshlrev_b64 v[3:4], 2, v[1:2]
	v_add_co_u32 v3, vcc_lo, s3, v3
	v_add_co_ci_u32_e64 v4, null, s4, v4, vcc_lo
	global_load_dword v3, v[3:4], off
	s_waitcnt vmcnt(0)
	v_cmp_class_f16_e64 s8, v3, 0x204
	v_cmp_class_f16_sdwa s9, v3, v6 src0_sel:WORD_1 src1_sel:DWORD
	s_and_b32 s12, s8, s9
	s_mov_b32 s9, 0
	s_and_saveexec_b32 s8, s12
	s_cbranch_execz .LBB18_65
; %bb.6:                                ;   in Loop: Header=BB18_4 Depth=1
	v_add_nc_u32_e32 v3, s13, v1
	s_mov_b32 s12, 0
	v_ashrrev_i32_e32 v4, 31, v3
	v_lshlrev_b64 v[8:9], 2, v[3:4]
	v_add_co_u32 v8, vcc_lo, s3, v8
	v_add_co_ci_u32_e64 v9, null, s4, v9, vcc_lo
	global_load_dword v1, v[8:9], off
	s_waitcnt vmcnt(0)
	v_cmp_class_f16_e64 s14, v1, 0x204
	s_and_saveexec_b32 s9, s14
	s_cbranch_execz .LBB18_64
; %bb.7:                                ;   in Loop: Header=BB18_4 Depth=1
	v_cmp_class_f16_sdwa s15, v1, v6 src0_sel:WORD_1 src1_sel:DWORD
	s_mov_b32 s14, 0
	s_and_saveexec_b32 s12, s15
	s_cbranch_execz .LBB18_63
; %bb.8:                                ;   in Loop: Header=BB18_4 Depth=1
	v_add_nc_u32_e32 v3, s13, v3
	s_mov_b32 s15, 0
	v_ashrrev_i32_e32 v4, 31, v3
	v_lshlrev_b64 v[8:9], 2, v[3:4]
	v_add_co_u32 v8, vcc_lo, s3, v8
	v_add_co_ci_u32_e64 v9, null, s4, v9, vcc_lo
	global_load_dword v1, v[8:9], off
	s_waitcnt vmcnt(0)
	v_cmp_class_f16_e64 s16, v1, 0x204
	s_and_saveexec_b32 s14, s16
	s_cbranch_execz .LBB18_62
; %bb.9:                                ;   in Loop: Header=BB18_4 Depth=1
	v_cmp_class_f16_sdwa s17, v1, v6 src0_sel:WORD_1 src1_sel:DWORD
	s_mov_b32 s16, 0
	s_and_saveexec_b32 s15, s17
	s_cbranch_execz .LBB18_61
; %bb.10:                               ;   in Loop: Header=BB18_4 Depth=1
	v_add_nc_u32_e32 v3, s13, v3
	s_mov_b32 s17, 0
	v_ashrrev_i32_e32 v4, 31, v3
	v_lshlrev_b64 v[8:9], 2, v[3:4]
	v_add_co_u32 v8, vcc_lo, s3, v8
	v_add_co_ci_u32_e64 v9, null, s4, v9, vcc_lo
	global_load_dword v1, v[8:9], off
	s_waitcnt vmcnt(0)
	v_cmp_class_f16_e64 s18, v1, 0x204
	s_and_saveexec_b32 s16, s18
	s_cbranch_execz .LBB18_60
; %bb.11:                               ;   in Loop: Header=BB18_4 Depth=1
	v_cmp_class_f16_sdwa s19, v1, v6 src0_sel:WORD_1 src1_sel:DWORD
	s_mov_b32 s18, 0
	s_and_saveexec_b32 s17, s19
	s_cbranch_execz .LBB18_59
; %bb.12:                               ;   in Loop: Header=BB18_4 Depth=1
	v_add_nc_u32_e32 v3, s13, v3
	s_mov_b32 s19, 0
	v_ashrrev_i32_e32 v4, 31, v3
	v_lshlrev_b64 v[8:9], 2, v[3:4]
	v_add_co_u32 v8, vcc_lo, s3, v8
	v_add_co_ci_u32_e64 v9, null, s4, v9, vcc_lo
	global_load_dword v1, v[8:9], off
	s_waitcnt vmcnt(0)
	v_cmp_class_f16_e64 s20, v1, 0x204
	s_and_saveexec_b32 s18, s20
	s_cbranch_execz .LBB18_58
; %bb.13:                               ;   in Loop: Header=BB18_4 Depth=1
	;; [unrolled: 17-line block ×12, first 2 shown]
	v_cmp_class_f16_sdwa s42, v1, v6 src0_sel:WORD_1 src1_sel:DWORD
	s_mov_b32 s41, 0
	s_and_saveexec_b32 s40, s42
	s_cbranch_execz .LBB18_37
; %bb.34:                               ;   in Loop: Header=BB18_4 Depth=1
	v_add_nc_u32_e32 v3, s13, v3
	v_ashrrev_i32_e32 v4, 31, v3
	v_lshlrev_b64 v[3:4], 2, v[3:4]
	v_add_co_u32 v3, vcc_lo, s3, v3
	v_add_co_ci_u32_e64 v4, null, s4, v4, vcc_lo
	global_load_dword v1, v[3:4], off
	s_waitcnt vmcnt(0)
	v_cmp_class_f16_e64 s43, v1, 0x204
	s_and_saveexec_b32 s42, s43
; %bb.35:                               ;   in Loop: Header=BB18_4 Depth=1
	v_cmp_class_f16_sdwa s41, v1, v6 src0_sel:WORD_1 src1_sel:DWORD
	s_and_b32 s41, s41, exec_lo
; %bb.36:                               ;   in Loop: Header=BB18_4 Depth=1
	s_or_b32 exec_lo, exec_lo, s42
	s_and_b32 s41, s41, exec_lo
.LBB18_37:                              ;   in Loop: Header=BB18_4 Depth=1
	s_or_b32 exec_lo, exec_lo, s40
	s_and_b32 s40, s41, exec_lo
.LBB18_38:                              ;   in Loop: Header=BB18_4 Depth=1
	s_or_b32 exec_lo, exec_lo, s39
	s_and_b32 s39, s40, exec_lo
.LBB18_39:                              ;   in Loop: Header=BB18_4 Depth=1
	s_or_b32 exec_lo, exec_lo, s38
	s_and_b32 s38, s39, exec_lo
.LBB18_40:                              ;   in Loop: Header=BB18_4 Depth=1
	s_or_b32 exec_lo, exec_lo, s37
	s_and_b32 s37, s38, exec_lo
.LBB18_41:                              ;   in Loop: Header=BB18_4 Depth=1
	s_or_b32 exec_lo, exec_lo, s36
	s_and_b32 s36, s37, exec_lo
.LBB18_42:                              ;   in Loop: Header=BB18_4 Depth=1
	s_or_b32 exec_lo, exec_lo, s35
	s_and_b32 s35, s36, exec_lo
.LBB18_43:                              ;   in Loop: Header=BB18_4 Depth=1
	s_or_b32 exec_lo, exec_lo, s34
	s_and_b32 s34, s35, exec_lo
.LBB18_44:                              ;   in Loop: Header=BB18_4 Depth=1
	s_or_b32 exec_lo, exec_lo, s33
	s_and_b32 s33, s34, exec_lo
.LBB18_45:                              ;   in Loop: Header=BB18_4 Depth=1
	s_or_b32 exec_lo, exec_lo, s31
	s_and_b32 s31, s33, exec_lo
.LBB18_46:                              ;   in Loop: Header=BB18_4 Depth=1
	s_or_b32 exec_lo, exec_lo, s30
	s_and_b32 s30, s31, exec_lo
.LBB18_47:                              ;   in Loop: Header=BB18_4 Depth=1
	s_or_b32 exec_lo, exec_lo, s29
	s_and_b32 s29, s30, exec_lo
.LBB18_48:                              ;   in Loop: Header=BB18_4 Depth=1
	s_or_b32 exec_lo, exec_lo, s28
	s_and_b32 s28, s29, exec_lo
.LBB18_49:                              ;   in Loop: Header=BB18_4 Depth=1
	s_or_b32 exec_lo, exec_lo, s27
	s_and_b32 s27, s28, exec_lo
.LBB18_50:                              ;   in Loop: Header=BB18_4 Depth=1
	s_or_b32 exec_lo, exec_lo, s26
	s_and_b32 s26, s27, exec_lo
.LBB18_51:                              ;   in Loop: Header=BB18_4 Depth=1
	s_or_b32 exec_lo, exec_lo, s25
	s_and_b32 s25, s26, exec_lo
.LBB18_52:                              ;   in Loop: Header=BB18_4 Depth=1
	s_or_b32 exec_lo, exec_lo, s24
	s_and_b32 s24, s25, exec_lo
.LBB18_53:                              ;   in Loop: Header=BB18_4 Depth=1
	s_or_b32 exec_lo, exec_lo, s23
	s_and_b32 s23, s24, exec_lo
.LBB18_54:                              ;   in Loop: Header=BB18_4 Depth=1
	s_or_b32 exec_lo, exec_lo, s22
	s_and_b32 s22, s23, exec_lo
.LBB18_55:                              ;   in Loop: Header=BB18_4 Depth=1
	s_or_b32 exec_lo, exec_lo, s21
	s_and_b32 s21, s22, exec_lo
.LBB18_56:                              ;   in Loop: Header=BB18_4 Depth=1
	s_or_b32 exec_lo, exec_lo, s20
	s_and_b32 s20, s21, exec_lo
.LBB18_57:                              ;   in Loop: Header=BB18_4 Depth=1
	s_or_b32 exec_lo, exec_lo, s19
	s_and_b32 s19, s20, exec_lo
.LBB18_58:                              ;   in Loop: Header=BB18_4 Depth=1
	s_or_b32 exec_lo, exec_lo, s18
	s_and_b32 s18, s19, exec_lo
.LBB18_59:                              ;   in Loop: Header=BB18_4 Depth=1
	s_or_b32 exec_lo, exec_lo, s17
	s_and_b32 s17, s18, exec_lo
.LBB18_60:                              ;   in Loop: Header=BB18_4 Depth=1
	s_or_b32 exec_lo, exec_lo, s16
	s_and_b32 s16, s17, exec_lo
.LBB18_61:                              ;   in Loop: Header=BB18_4 Depth=1
	s_or_b32 exec_lo, exec_lo, s15
	s_and_b32 s15, s16, exec_lo
.LBB18_62:                              ;   in Loop: Header=BB18_4 Depth=1
	s_or_b32 exec_lo, exec_lo, s14
	s_and_b32 s14, s15, exec_lo
.LBB18_63:                              ;   in Loop: Header=BB18_4 Depth=1
	s_or_b32 exec_lo, exec_lo, s12
	s_and_b32 s12, s14, exec_lo
.LBB18_64:                              ;   in Loop: Header=BB18_4 Depth=1
	s_or_b32 exec_lo, exec_lo, s9
	s_and_b32 s9, s12, exec_lo
.LBB18_65:                              ;   in Loop: Header=BB18_4 Depth=1
	s_or_b32 exec_lo, exec_lo, s8
	v_cndmask_b32_e64 v1, 0, 1, s9
	s_mov_b32 s12, exec_lo
	v_cmp_ne_u32_e32 vcc_lo, 0, v1
	s_and_saveexec_b32 s8, s0
	s_cbranch_execz .LBB18_3
; %bb.66:                               ;   in Loop: Header=BB18_4 Depth=1
	s_cmp_eq_u32 vcc_lo, s12
	s_cselect_b32 s9, -1, 0
	v_cndmask_b32_e64 v1, 0, 1, s9
	ds_write_b32 v5, v1
	s_branch .LBB18_3
.LBB18_67:                              ;   in Loop: Header=BB18_4 Depth=1
	s_cbranch_execz .LBB18_4
.LBB18_68:
	s_mov_b32 s0, exec_lo
	v_cmpx_eq_u32_e32 0, v0
	s_cbranch_execz .LBB18_70
; %bb.69:
	s_mul_i32 s0, s1, s7
	v_mov_b32_e32 v0, 0
	s_add_i32 s0, s0, s6
	v_mov_b32_e32 v1, s2
	s_ashr_i32 s1, s0, 31
	s_lshl_b64 s[0:1], s[0:1], 2
	s_add_u32 s0, s10, s0
	s_addc_u32 s1, s11, s1
	global_store_dword v0, v1, s[0:1]
.LBB18_70:
	s_endpgm
	.section	.rodata,"a",@progbits
	.p2align	6, 0x0
	.amdhsa_kernel _ZL25flash_attn_mask_to_KV_maxILi16EEvPK7__half2Piiii
		.amdhsa_group_segment_fixed_size 128
		.amdhsa_private_segment_fixed_size 0
		.amdhsa_kernarg_size 288
		.amdhsa_user_sgpr_count 6
		.amdhsa_user_sgpr_private_segment_buffer 1
		.amdhsa_user_sgpr_dispatch_ptr 0
		.amdhsa_user_sgpr_queue_ptr 0
		.amdhsa_user_sgpr_kernarg_segment_ptr 1
		.amdhsa_user_sgpr_dispatch_id 0
		.amdhsa_user_sgpr_flat_scratch_init 0
		.amdhsa_user_sgpr_private_segment_size 0
		.amdhsa_wavefront_size32 1
		.amdhsa_uses_dynamic_stack 0
		.amdhsa_system_sgpr_private_segment_wavefront_offset 0
		.amdhsa_system_sgpr_workgroup_id_x 1
		.amdhsa_system_sgpr_workgroup_id_y 1
		.amdhsa_system_sgpr_workgroup_id_z 0
		.amdhsa_system_sgpr_workgroup_info 0
		.amdhsa_system_vgpr_workitem_id 0
		.amdhsa_next_free_vgpr 10
		.amdhsa_next_free_sgpr 44
		.amdhsa_reserve_vcc 1
		.amdhsa_reserve_flat_scratch 0
		.amdhsa_float_round_mode_32 0
		.amdhsa_float_round_mode_16_64 0
		.amdhsa_float_denorm_mode_32 3
		.amdhsa_float_denorm_mode_16_64 3
		.amdhsa_dx10_clamp 1
		.amdhsa_ieee_mode 1
		.amdhsa_fp16_overflow 0
		.amdhsa_workgroup_processor_mode 1
		.amdhsa_memory_ordered 1
		.amdhsa_forward_progress 1
		.amdhsa_shared_vgpr_count 0
		.amdhsa_exception_fp_ieee_invalid_op 0
		.amdhsa_exception_fp_denorm_src 0
		.amdhsa_exception_fp_ieee_div_zero 0
		.amdhsa_exception_fp_ieee_overflow 0
		.amdhsa_exception_fp_ieee_underflow 0
		.amdhsa_exception_fp_ieee_inexact 0
		.amdhsa_exception_int_div_zero 0
	.end_amdhsa_kernel
	.section	.text._ZL25flash_attn_mask_to_KV_maxILi16EEvPK7__half2Piiii,"axG",@progbits,_ZL25flash_attn_mask_to_KV_maxILi16EEvPK7__half2Piiii,comdat
.Lfunc_end18:
	.size	_ZL25flash_attn_mask_to_KV_maxILi16EEvPK7__half2Piiii, .Lfunc_end18-_ZL25flash_attn_mask_to_KV_maxILi16EEvPK7__half2Piiii
                                        ; -- End function
	.set _ZL25flash_attn_mask_to_KV_maxILi16EEvPK7__half2Piiii.num_vgpr, 10
	.set _ZL25flash_attn_mask_to_KV_maxILi16EEvPK7__half2Piiii.num_agpr, 0
	.set _ZL25flash_attn_mask_to_KV_maxILi16EEvPK7__half2Piiii.numbered_sgpr, 44
	.set _ZL25flash_attn_mask_to_KV_maxILi16EEvPK7__half2Piiii.num_named_barrier, 0
	.set _ZL25flash_attn_mask_to_KV_maxILi16EEvPK7__half2Piiii.private_seg_size, 0
	.set _ZL25flash_attn_mask_to_KV_maxILi16EEvPK7__half2Piiii.uses_vcc, 1
	.set _ZL25flash_attn_mask_to_KV_maxILi16EEvPK7__half2Piiii.uses_flat_scratch, 0
	.set _ZL25flash_attn_mask_to_KV_maxILi16EEvPK7__half2Piiii.has_dyn_sized_stack, 0
	.set _ZL25flash_attn_mask_to_KV_maxILi16EEvPK7__half2Piiii.has_recursion, 0
	.set _ZL25flash_attn_mask_to_KV_maxILi16EEvPK7__half2Piiii.has_indirect_call, 0
	.section	.AMDGPU.csdata,"",@progbits
; Kernel info:
; codeLenInByte = 1956
; TotalNumSgprs: 46
; NumVgprs: 10
; ScratchSize: 0
; MemoryBound: 0
; FloatMode: 240
; IeeeMode: 1
; LDSByteSize: 128 bytes/workgroup (compile time only)
; SGPRBlocks: 0
; VGPRBlocks: 1
; NumSGPRsForWavesPerEU: 46
; NumVGPRsForWavesPerEU: 10
; Occupancy: 16
; WaveLimiterHint : 0
; COMPUTE_PGM_RSRC2:SCRATCH_EN: 0
; COMPUTE_PGM_RSRC2:USER_SGPR: 6
; COMPUTE_PGM_RSRC2:TRAP_HANDLER: 0
; COMPUTE_PGM_RSRC2:TGID_X_EN: 1
; COMPUTE_PGM_RSRC2:TGID_Y_EN: 1
; COMPUTE_PGM_RSRC2:TGID_Z_EN: 0
; COMPUTE_PGM_RSRC2:TIDIG_COMP_CNT: 0
	.section	.text._ZL33flash_attn_stream_k_fixup_uniformILi72ELi16ELi4EEvPfPK15HIP_vector_typeIfLj2EEiiiiiiS1_IjLj3EES5_S5_,"axG",@progbits,_ZL33flash_attn_stream_k_fixup_uniformILi72ELi16ELi4EEvPfPK15HIP_vector_typeIfLj2EEiiiiiiS1_IjLj3EES5_S5_,comdat
	.globl	_ZL33flash_attn_stream_k_fixup_uniformILi72ELi16ELi4EEvPfPK15HIP_vector_typeIfLj2EEiiiiiiS1_IjLj3EES5_S5_ ; -- Begin function _ZL33flash_attn_stream_k_fixup_uniformILi72ELi16ELi4EEvPfPK15HIP_vector_typeIfLj2EEiiiiiiS1_IjLj3EES5_S5_
	.p2align	8
	.type	_ZL33flash_attn_stream_k_fixup_uniformILi72ELi16ELi4EEvPfPK15HIP_vector_typeIfLj2EEiiiiiiS1_IjLj3EES5_S5_,@function
_ZL33flash_attn_stream_k_fixup_uniformILi72ELi16ELi4EEvPfPK15HIP_vector_typeIfLj2EEiiiiiiS1_IjLj3EES5_S5_: ; @_ZL33flash_attn_stream_k_fixup_uniformILi72ELi16ELi4EEvPfPK15HIP_vector_typeIfLj2EEiiiiiiS1_IjLj3EES5_S5_
; %bb.0:
	s_clause 0x2
	s_load_dwordx8 s[12:19], s[4:5], 0x1c
	s_load_dwordx4 s[20:23], s[4:5], 0x3c
	s_load_dwordx2 s[10:11], s[4:5], 0x10
	s_waitcnt lgkmcnt(0)
	s_mul_hi_u32 s0, s15, s6
	s_add_i32 s0, s6, s0
	s_lshr_b32 s0, s0, s16
	s_mul_i32 s1, s0, s17
	s_sub_i32 s1, s6, s1
	s_mul_hi_u32 s2, s1, s18
	s_add_i32 s2, s1, s2
	s_lshr_b32 s9, s2, s19
	s_mul_i32 s2, s9, s20
	s_sub_i32 s1, s1, s2
	s_mul_hi_u32 s2, s1, s21
	s_add_i32 s2, s1, s2
	s_lshr_b32 s2, s2, s22
	s_mul_i32 s3, s2, s23
	s_lshl_b32 s16, s2, 2
	s_sub_i32 s15, s1, s3
	s_lshl_b32 s1, s15, 4
	s_add_i32 s1, s1, s7
	s_cmp_lt_i32 s1, s10
	s_cselect_b32 s1, -1, 0
	s_add_i32 s16, s16, s8
	s_cmp_lt_i32 s16, s13
	s_cselect_b32 s2, -1, 0
	s_and_b32 s1, s1, s2
	s_andn2_b32 vcc_lo, exec_lo, s1
	s_cbranch_vccnz .LBB19_6
; %bb.1:
	s_mul_i32 s10, s0, s10
	s_load_dwordx4 s[0:3], s[4:5], 0x0
	s_add_i32 s4, s10, s7
	s_mul_i32 s9, s9, s13
	s_mul_i32 s4, s4, s11
	s_add_i32 s5, s16, s9
	s_mul_i32 s9, s11, s15
	s_add_i32 s4, s5, s4
	s_mulk_i32 s9, 0x480
	s_mulk_i32 s4, 0x48
	s_lshl_b32 s10, s7, 2
	v_add3_u32 v1, s4, s9, v0
	s_mul_i32 s4, s14, s6
	s_add_i32 s11, s4, s14
	v_ashrrev_i32_e32 v2, 31, v1
	v_lshlrev_b64 v[1:2], 2, v[1:2]
	s_waitcnt lgkmcnt(0)
	v_add_co_u32 v1, vcc_lo, s0, v1
	v_add_co_ci_u32_e64 v2, null, s1, v2, vcc_lo
	s_add_i32 s0, s10, s8
	s_lshl_b32 s1, s11, 6
	global_load_dword v5, v[1:2], off
	s_add_i32 s0, s0, s1
	s_sub_i32 s0, s0, 64
	s_ashr_i32 s1, s0, 31
	s_lshl_b64 s[0:1], s[0:1], 3
	s_add_u32 s0, s2, s0
	s_addc_u32 s1, s3, s1
	s_add_i32 s5, s11, -2
	s_load_dword s13, s[0:1], 0x4
	s_cmp_lt_i32 s5, s4
	s_cbranch_scc1 .LBB19_4
; %bb.2:
	s_load_dword s15, s[0:1], 0x0
	s_lshl_b32 s16, s12, 8
	s_mulk_i32 s7, 0x120
	s_ashr_i32 s17, s16, 31
	s_waitcnt lgkmcnt(0)
	v_mov_b32_e32 v6, s13
	s_lshl_b64 s[0:1], s[16:17], 2
	s_add_u32 s5, s2, s0
	s_addc_u32 s9, s3, s1
	s_add_i32 s6, s6, 1
	s_mul_i32 s0, s14, s6
	s_mul_i32 s6, s8, 0x48
	s_lshl_b32 s1, s0, 6
	s_mulk_i32 s0, 0x1200
	s_add_i32 s6, s6, s7
	s_add_i32 s1, s8, s1
	s_lshl_b32 s7, s12, 6
	s_add_i32 s6, s6, s0
	s_add_i32 s0, s1, s7
	v_add3_u32 v3, s6, v0, 0xffffdc00
	v_mov_b32_e32 v0, s15
	s_add_i32 s0, s0, s10
	s_add_i32 s6, s11, -1
	s_addk_i32 s0, 0xff80
.LBB19_3:                               ; =>This Inner Loop Header: Depth=1
	v_ashrrev_i32_e32 v4, 31, v3
	s_ashr_i32 s1, s0, 31
	s_lshl_b64 s[10:11], s[0:1], 3
	s_add_u32 s10, s2, s10
	v_lshlrev_b64 v[7:8], 2, v[3:4]
	s_addc_u32 s11, s3, s11
	v_add_nc_u32_e32 v3, 0xffffee00, v3
	s_add_i32 s6, s6, -1
	s_sub_i32 s0, s0, 64
	s_cmp_le_i32 s6, s4
	v_add_co_u32 v7, vcc_lo, s5, v7
	v_add_co_ci_u32_e64 v8, null, s9, v8, vcc_lo
	s_load_dwordx2 s[10:11], s[10:11], 0x0
	global_load_dword v4, v[7:8], off
	v_max_f32_e32 v7, v0, v0
	s_waitcnt lgkmcnt(0)
	v_max_f32_e64 v8, s10, s10
	v_max_f32_e32 v7, v7, v8
	v_sub_f32_e32 v8, s10, v7
	v_sub_f32_e32 v0, v0, v7
	v_mul_f32_e32 v9, 0x3fb8aa3b, v8
	v_mul_f32_e32 v12, 0x3fb8aa3b, v0
	v_cmp_ngt_f32_e32 vcc_lo, 0xc2ce8ed0, v8
	v_fma_f32 v10, 0x3fb8aa3b, v8, -v9
	v_rndne_f32_e32 v11, v9
	v_fma_f32 v13, 0x3fb8aa3b, v0, -v12
	v_rndne_f32_e32 v14, v12
	v_fmac_f32_e32 v10, 0x32a5705f, v8
	v_sub_f32_e32 v9, v9, v11
	v_fmac_f32_e32 v13, 0x32a5705f, v0
	v_cvt_i32_f32_e32 v11, v11
	v_add_f32_e32 v9, v9, v10
	v_sub_f32_e32 v10, v12, v14
	v_exp_f32_e32 v9, v9
	v_add_f32_e32 v10, v10, v13
	v_exp_f32_e32 v10, v10
	v_ldexp_f32 v9, v9, v11
	v_cvt_i32_f32_e32 v11, v14
	v_cndmask_b32_e32 v9, 0, v9, vcc_lo
	v_cmp_nlt_f32_e32 vcc_lo, 0x42b17218, v8
	v_ldexp_f32 v10, v10, v11
	v_mov_b32_e32 v11, v6
	v_cndmask_b32_e32 v9, 0x7f800000, v9, vcc_lo
	v_cmp_ngt_f32_e32 vcc_lo, 0xc2ce8ed0, v0
	v_cndmask_b32_e32 v10, 0, v10, vcc_lo
	v_cmp_le_f32_e32 vcc_lo, 0xc1a00000, v8
	v_cndmask_b32_e32 v8, 0, v9, vcc_lo
	v_cmp_nlt_f32_e32 vcc_lo, 0x42b17218, v0
	s_waitcnt vmcnt(1)
	v_mov_b32_e32 v9, v5
	v_cndmask_b32_e32 v5, 0x7f800000, v10, vcc_lo
	v_mul_f32_e32 v10, s11, v8
	v_cmp_le_f32_e32 vcc_lo, 0xc1a00000, v0
	v_mov_b32_e32 v0, v7
	v_mov_b32_e32 v6, v10
	v_cndmask_b32_e32 v12, 0, v5, vcc_lo
	v_fmac_f32_e32 v6, v11, v12
	s_waitcnt vmcnt(0)
	v_mul_f32_e32 v5, v4, v8
	v_fmac_f32_e32 v5, v9, v12
	s_cbranch_scc0 .LBB19_3
	s_branch .LBB19_5
.LBB19_4:
	s_waitcnt lgkmcnt(0)
	v_mov_b32_e32 v6, s13
.LBB19_5:
	s_waitcnt vmcnt(0)
	v_div_scale_f32 v0, null, v6, v6, v5
	v_rcp_f32_e32 v3, v0
	v_fma_f32 v4, -v0, v3, 1.0
	v_fmac_f32_e32 v3, v4, v3
	v_div_scale_f32 v4, vcc_lo, v5, v6, v5
	v_mul_f32_e32 v7, v4, v3
	v_fma_f32 v8, -v0, v7, v4
	v_fmac_f32_e32 v7, v8, v3
	v_fma_f32 v0, -v0, v7, v4
	v_div_fmas_f32 v0, v0, v3, v7
	v_div_fixup_f32 v0, v0, v6, v5
	global_store_dword v[1:2], v0, off
.LBB19_6:
	s_endpgm
	.section	.rodata,"a",@progbits
	.p2align	6, 0x0
	.amdhsa_kernel _ZL33flash_attn_stream_k_fixup_uniformILi72ELi16ELi4EEvPfPK15HIP_vector_typeIfLj2EEiiiiiiS1_IjLj3EES5_S5_
		.amdhsa_group_segment_fixed_size 0
		.amdhsa_private_segment_fixed_size 0
		.amdhsa_kernarg_size 76
		.amdhsa_user_sgpr_count 6
		.amdhsa_user_sgpr_private_segment_buffer 1
		.amdhsa_user_sgpr_dispatch_ptr 0
		.amdhsa_user_sgpr_queue_ptr 0
		.amdhsa_user_sgpr_kernarg_segment_ptr 1
		.amdhsa_user_sgpr_dispatch_id 0
		.amdhsa_user_sgpr_flat_scratch_init 0
		.amdhsa_user_sgpr_private_segment_size 0
		.amdhsa_wavefront_size32 1
		.amdhsa_uses_dynamic_stack 0
		.amdhsa_system_sgpr_private_segment_wavefront_offset 0
		.amdhsa_system_sgpr_workgroup_id_x 1
		.amdhsa_system_sgpr_workgroup_id_y 1
		.amdhsa_system_sgpr_workgroup_id_z 1
		.amdhsa_system_sgpr_workgroup_info 0
		.amdhsa_system_vgpr_workitem_id 0
		.amdhsa_next_free_vgpr 15
		.amdhsa_next_free_sgpr 24
		.amdhsa_reserve_vcc 1
		.amdhsa_reserve_flat_scratch 0
		.amdhsa_float_round_mode_32 0
		.amdhsa_float_round_mode_16_64 0
		.amdhsa_float_denorm_mode_32 3
		.amdhsa_float_denorm_mode_16_64 3
		.amdhsa_dx10_clamp 1
		.amdhsa_ieee_mode 1
		.amdhsa_fp16_overflow 0
		.amdhsa_workgroup_processor_mode 1
		.amdhsa_memory_ordered 1
		.amdhsa_forward_progress 1
		.amdhsa_shared_vgpr_count 0
		.amdhsa_exception_fp_ieee_invalid_op 0
		.amdhsa_exception_fp_denorm_src 0
		.amdhsa_exception_fp_ieee_div_zero 0
		.amdhsa_exception_fp_ieee_overflow 0
		.amdhsa_exception_fp_ieee_underflow 0
		.amdhsa_exception_fp_ieee_inexact 0
		.amdhsa_exception_int_div_zero 0
	.end_amdhsa_kernel
	.section	.text._ZL33flash_attn_stream_k_fixup_uniformILi72ELi16ELi4EEvPfPK15HIP_vector_typeIfLj2EEiiiiiiS1_IjLj3EES5_S5_,"axG",@progbits,_ZL33flash_attn_stream_k_fixup_uniformILi72ELi16ELi4EEvPfPK15HIP_vector_typeIfLj2EEiiiiiiS1_IjLj3EES5_S5_,comdat
.Lfunc_end19:
	.size	_ZL33flash_attn_stream_k_fixup_uniformILi72ELi16ELi4EEvPfPK15HIP_vector_typeIfLj2EEiiiiiiS1_IjLj3EES5_S5_, .Lfunc_end19-_ZL33flash_attn_stream_k_fixup_uniformILi72ELi16ELi4EEvPfPK15HIP_vector_typeIfLj2EEiiiiiiS1_IjLj3EES5_S5_
                                        ; -- End function
	.set _ZL33flash_attn_stream_k_fixup_uniformILi72ELi16ELi4EEvPfPK15HIP_vector_typeIfLj2EEiiiiiiS1_IjLj3EES5_S5_.num_vgpr, 15
	.set _ZL33flash_attn_stream_k_fixup_uniformILi72ELi16ELi4EEvPfPK15HIP_vector_typeIfLj2EEiiiiiiS1_IjLj3EES5_S5_.num_agpr, 0
	.set _ZL33flash_attn_stream_k_fixup_uniformILi72ELi16ELi4EEvPfPK15HIP_vector_typeIfLj2EEiiiiiiS1_IjLj3EES5_S5_.numbered_sgpr, 24
	.set _ZL33flash_attn_stream_k_fixup_uniformILi72ELi16ELi4EEvPfPK15HIP_vector_typeIfLj2EEiiiiiiS1_IjLj3EES5_S5_.num_named_barrier, 0
	.set _ZL33flash_attn_stream_k_fixup_uniformILi72ELi16ELi4EEvPfPK15HIP_vector_typeIfLj2EEiiiiiiS1_IjLj3EES5_S5_.private_seg_size, 0
	.set _ZL33flash_attn_stream_k_fixup_uniformILi72ELi16ELi4EEvPfPK15HIP_vector_typeIfLj2EEiiiiiiS1_IjLj3EES5_S5_.uses_vcc, 1
	.set _ZL33flash_attn_stream_k_fixup_uniformILi72ELi16ELi4EEvPfPK15HIP_vector_typeIfLj2EEiiiiiiS1_IjLj3EES5_S5_.uses_flat_scratch, 0
	.set _ZL33flash_attn_stream_k_fixup_uniformILi72ELi16ELi4EEvPfPK15HIP_vector_typeIfLj2EEiiiiiiS1_IjLj3EES5_S5_.has_dyn_sized_stack, 0
	.set _ZL33flash_attn_stream_k_fixup_uniformILi72ELi16ELi4EEvPfPK15HIP_vector_typeIfLj2EEiiiiiiS1_IjLj3EES5_S5_.has_recursion, 0
	.set _ZL33flash_attn_stream_k_fixup_uniformILi72ELi16ELi4EEvPfPK15HIP_vector_typeIfLj2EEiiiiiiS1_IjLj3EES5_S5_.has_indirect_call, 0
	.section	.AMDGPU.csdata,"",@progbits
; Kernel info:
; codeLenInByte = 848
; TotalNumSgprs: 26
; NumVgprs: 15
; ScratchSize: 0
; MemoryBound: 0
; FloatMode: 240
; IeeeMode: 1
; LDSByteSize: 0 bytes/workgroup (compile time only)
; SGPRBlocks: 0
; VGPRBlocks: 1
; NumSGPRsForWavesPerEU: 26
; NumVGPRsForWavesPerEU: 15
; Occupancy: 16
; WaveLimiterHint : 0
; COMPUTE_PGM_RSRC2:SCRATCH_EN: 0
; COMPUTE_PGM_RSRC2:USER_SGPR: 6
; COMPUTE_PGM_RSRC2:TRAP_HANDLER: 0
; COMPUTE_PGM_RSRC2:TGID_X_EN: 1
; COMPUTE_PGM_RSRC2:TGID_Y_EN: 1
; COMPUTE_PGM_RSRC2:TGID_Z_EN: 1
; COMPUTE_PGM_RSRC2:TIDIG_COMP_CNT: 0
	.section	.text._ZL33flash_attn_stream_k_fixup_generalILi72ELi16ELi4EEvPfPK15HIP_vector_typeIfLj2EEiiiiS1_IjLj3EES5_S5_S5_,"axG",@progbits,_ZL33flash_attn_stream_k_fixup_generalILi72ELi16ELi4EEvPfPK15HIP_vector_typeIfLj2EEiiiiS1_IjLj3EES5_S5_S5_,comdat
	.globl	_ZL33flash_attn_stream_k_fixup_generalILi72ELi16ELi4EEvPfPK15HIP_vector_typeIfLj2EEiiiiS1_IjLj3EES5_S5_S5_ ; -- Begin function _ZL33flash_attn_stream_k_fixup_generalILi72ELi16ELi4EEvPfPK15HIP_vector_typeIfLj2EEiiiiS1_IjLj3EES5_S5_S5_
	.p2align	8
	.type	_ZL33flash_attn_stream_k_fixup_generalILi72ELi16ELi4EEvPfPK15HIP_vector_typeIfLj2EEiiiiS1_IjLj3EES5_S5_S5_,@function
_ZL33flash_attn_stream_k_fixup_generalILi72ELi16ELi4EEvPfPK15HIP_vector_typeIfLj2EEiiiiS1_IjLj3EES5_S5_S5_: ; @_ZL33flash_attn_stream_k_fixup_generalILi72ELi16ELi4EEvPfPK15HIP_vector_typeIfLj2EEiiiiS1_IjLj3EES5_S5_S5_
; %bb.0:
	s_clause 0x1
	s_load_dwordx4 s[0:3], s[4:5], 0x10
	s_load_dword s9, s[4:5], 0x50
	s_mov_b32 s16, 0
	s_waitcnt lgkmcnt(0)
	s_mul_hi_i32 s17, s3, s6
	s_mul_i32 s18, s3, s6
	s_cmp_lg_u64 s[16:17], 0
	s_cbranch_scc0 .LBB20_21
; %bb.1:
	s_add_u32 s10, s9, 0
	s_addc_u32 s11, 0, 0
	s_xor_b64 s[10:11], s[10:11], 0
	v_cvt_f32_u32_e32 v1, s10
	v_cvt_f32_u32_e32 v2, s11
	s_sub_u32 s14, 0, s10
	s_subb_u32 s15, 0, s11
	v_fmamk_f32 v1, v2, 0x4f800000, v1
	v_rcp_f32_e32 v1, v1
	v_mul_f32_e32 v1, 0x5f7ffffc, v1
	v_mul_f32_e32 v2, 0x2f800000, v1
	v_trunc_f32_e32 v2, v2
	v_fmamk_f32 v1, v2, 0xcf800000, v1
	v_cvt_u32_f32_e32 v2, v2
	v_cvt_u32_f32_e32 v1, v1
	v_readfirstlane_b32 s12, v2
	v_readfirstlane_b32 s13, v1
	s_mul_i32 s19, s14, s12
	s_mul_hi_u32 s21, s14, s13
	s_mul_i32 s20, s15, s13
	s_add_i32 s19, s21, s19
	s_mul_i32 s22, s14, s13
	s_add_i32 s19, s19, s20
	s_mul_hi_u32 s21, s13, s22
	s_mul_i32 s24, s13, s19
	s_mul_hi_u32 s23, s12, s22
	s_mul_i32 s20, s12, s22
	s_mul_hi_u32 s22, s13, s19
	s_add_u32 s21, s21, s24
	s_addc_u32 s22, 0, s22
	s_mul_hi_u32 s25, s12, s19
	s_add_u32 s20, s21, s20
	s_mul_i32 s19, s12, s19
	s_addc_u32 s20, s22, s23
	s_addc_u32 s21, s25, 0
	s_add_u32 s19, s20, s19
	s_addc_u32 s20, 0, s21
	s_add_u32 s13, s13, s19
	s_cselect_b32 s19, -1, 0
	s_mul_hi_u32 s21, s14, s13
	s_cmp_lg_u32 s19, 0
	s_mul_i32 s19, s14, s13
	s_addc_u32 s12, s12, s20
	s_mul_i32 s15, s15, s13
	s_mul_i32 s14, s14, s12
	s_mul_hi_u32 s20, s13, s19
	s_add_i32 s14, s21, s14
	s_mul_hi_u32 s21, s12, s19
	s_add_i32 s14, s14, s15
	s_mul_i32 s15, s12, s19
	s_mul_i32 s23, s13, s14
	s_mul_hi_u32 s22, s13, s14
	s_add_u32 s20, s20, s23
	s_addc_u32 s22, 0, s22
	s_mul_hi_u32 s19, s12, s14
	s_add_u32 s15, s20, s15
	s_mul_i32 s14, s12, s14
	s_addc_u32 s15, s22, s21
	s_addc_u32 s19, s19, 0
	s_add_u32 s14, s15, s14
	s_addc_u32 s15, 0, s19
	s_add_u32 s19, s13, s14
	s_cselect_b32 s13, -1, 0
	s_cmp_lg_u32 s13, 0
	s_addc_u32 s20, s12, s15
	s_ashr_i32 s12, s17, 31
	s_add_u32 s14, s18, s12
	s_mov_b32 s13, s12
	s_addc_u32 s15, s17, s12
	s_xor_b64 s[14:15], s[14:15], s[12:13]
	s_mul_i32 s21, s14, s20
	s_mul_hi_u32 s22, s14, s19
	s_mul_hi_u32 s17, s14, s20
	s_mul_hi_u32 s24, s15, s19
	s_mul_i32 s19, s15, s19
	s_add_u32 s21, s22, s21
	s_addc_u32 s17, 0, s17
	s_mul_hi_u32 s23, s15, s20
	s_add_u32 s19, s21, s19
	s_mul_i32 s20, s15, s20
	s_addc_u32 s17, s17, s24
	s_addc_u32 s19, s23, 0
	s_add_u32 s17, s17, s20
	s_addc_u32 s19, 0, s19
	s_mul_hi_u32 s20, s10, s17
	s_mul_i32 s21, s10, s19
	s_mul_i32 s22, s11, s17
	s_add_i32 s20, s20, s21
	s_mul_i32 s21, s10, s17
	s_add_i32 s20, s20, s22
	s_sub_i32 s22, s15, s20
	s_sub_u32 s14, s14, s21
	s_cselect_b32 s21, -1, 0
	s_cmp_lg_u32 s21, 0
	s_subb_u32 s22, s22, s11
	s_sub_u32 s23, s14, s10
	s_cselect_b32 s24, -1, 0
	s_cmp_lg_u32 s24, 0
	s_subb_u32 s22, s22, 0
	s_cmp_ge_u32 s22, s11
	s_cselect_b32 s24, -1, 0
	s_cmp_ge_u32 s23, s10
	s_cselect_b32 s23, -1, 0
	s_cmp_eq_u32 s22, s11
	s_cselect_b32 s22, s23, s24
	s_add_u32 s23, s17, 1
	s_addc_u32 s24, s19, 0
	s_add_u32 s25, s17, 2
	s_addc_u32 s26, s19, 0
	s_cmp_lg_u32 s22, 0
	s_cselect_b32 s22, s25, s23
	s_cselect_b32 s23, s26, s24
	s_cmp_lg_u32 s21, 0
	s_subb_u32 s15, s15, s20
	s_cmp_ge_u32 s15, s11
	s_cselect_b32 s20, -1, 0
	s_cmp_ge_u32 s14, s10
	s_cselect_b32 s10, -1, 0
	s_cmp_eq_u32 s15, s11
	s_cselect_b32 s10, s10, s20
	s_cmp_lg_u32 s10, 0
	s_cselect_b32 s11, s23, s19
	s_cselect_b32 s10, s22, s17
	s_xor_b64 s[12:13], s[12:13], 0
	s_xor_b64 s[10:11], s[10:11], s[12:13]
	s_sub_u32 s10, s10, s12
	s_load_dwordx4 s[12:15], s[4:5], 0x44
	s_andn2_b32 vcc_lo, exec_lo, s16
	s_cbranch_vccnz .LBB20_3
.LBB20_2:
	v_cvt_f32_u32_e32 v1, s9
	s_sub_i32 s11, 0, s9
	v_rcp_iflag_f32_e32 v1, v1
	v_mul_f32_e32 v1, 0x4f7ffffe, v1
	v_cvt_u32_f32_e32 v1, v1
	v_readfirstlane_b32 s10, v1
	s_mul_i32 s11, s11, s10
	s_mul_hi_u32 s11, s10, s11
	s_add_i32 s10, s10, s11
	s_mul_hi_u32 s10, s18, s10
	s_mul_i32 s11, s10, s9
	s_waitcnt lgkmcnt(0)
	s_add_i32 s15, s10, 1
	s_sub_i32 s11, s18, s11
	s_sub_i32 s16, s11, s9
	s_cmp_ge_u32 s11, s9
	s_cselect_b32 s10, s15, s10
	s_cselect_b32 s11, s16, s11
	s_add_i32 s15, s10, 1
	s_cmp_ge_u32 s11, s9
	s_cselect_b32 s10, s15, s10
.LBB20_3:
	s_add_i32 s11, s6, 1
	s_mov_b32 s16, 0
	s_mul_hi_i32 s17, s3, s11
	s_mul_i32 s11, s3, s11
	s_cmp_lg_u64 s[16:17], 0
	s_cbranch_scc0 .LBB20_22
; %bb.4:
	s_add_u32 s18, s9, 0
	s_addc_u32 s19, 0, 0
	s_xor_b64 s[18:19], s[18:19], 0
	v_cvt_f32_u32_e32 v1, s18
	v_cvt_f32_u32_e32 v2, s19
	s_sub_u32 s21, 0, s18
	s_subb_u32 s22, 0, s19
	v_fmamk_f32 v1, v2, 0x4f800000, v1
	v_rcp_f32_e32 v1, v1
	v_mul_f32_e32 v1, 0x5f7ffffc, v1
	v_mul_f32_e32 v2, 0x2f800000, v1
	v_trunc_f32_e32 v2, v2
	v_fmamk_f32 v1, v2, 0xcf800000, v1
	v_cvt_u32_f32_e32 v2, v2
	v_cvt_u32_f32_e32 v1, v1
	s_waitcnt lgkmcnt(0)
	v_readfirstlane_b32 s15, v2
	v_readfirstlane_b32 s20, v1
	s_mul_i32 s23, s21, s15
	s_mul_hi_u32 s25, s21, s20
	s_mul_i32 s24, s22, s20
	s_add_i32 s23, s25, s23
	s_mul_i32 s26, s21, s20
	s_add_i32 s23, s23, s24
	s_mul_hi_u32 s25, s20, s26
	s_mul_i32 s28, s20, s23
	s_mul_hi_u32 s27, s15, s26
	s_mul_i32 s24, s15, s26
	s_mul_hi_u32 s26, s20, s23
	s_add_u32 s25, s25, s28
	s_addc_u32 s26, 0, s26
	s_mul_hi_u32 s29, s15, s23
	s_add_u32 s24, s25, s24
	s_mul_i32 s23, s15, s23
	s_addc_u32 s24, s26, s27
	s_addc_u32 s25, s29, 0
	s_add_u32 s23, s24, s23
	s_addc_u32 s24, 0, s25
	s_add_u32 s20, s20, s23
	s_cselect_b32 s23, -1, 0
	s_mul_hi_u32 s25, s21, s20
	s_cmp_lg_u32 s23, 0
	s_mul_i32 s23, s21, s20
	s_addc_u32 s15, s15, s24
	s_mul_i32 s22, s22, s20
	s_mul_i32 s21, s21, s15
	s_mul_hi_u32 s24, s20, s23
	s_add_i32 s21, s25, s21
	s_mul_hi_u32 s25, s15, s23
	s_add_i32 s21, s21, s22
	s_mul_i32 s22, s15, s23
	s_mul_i32 s27, s20, s21
	s_mul_hi_u32 s26, s20, s21
	s_add_u32 s24, s24, s27
	s_addc_u32 s26, 0, s26
	s_mul_hi_u32 s23, s15, s21
	s_add_u32 s22, s24, s22
	s_mul_i32 s21, s15, s21
	s_addc_u32 s22, s26, s25
	s_addc_u32 s23, s23, 0
	s_add_u32 s21, s22, s21
	s_addc_u32 s22, 0, s23
	s_add_u32 s24, s20, s21
	s_cselect_b32 s20, -1, 0
	s_cmp_lg_u32 s20, 0
	s_addc_u32 s15, s15, s22
	s_ashr_i32 s20, s17, 31
	s_add_u32 s22, s11, s20
	s_mov_b32 s21, s20
	s_addc_u32 s23, s17, s20
	s_xor_b64 s[22:23], s[22:23], s[20:21]
	s_mul_i32 s25, s22, s15
	s_mul_hi_u32 s26, s22, s24
	s_mul_hi_u32 s17, s22, s15
	;; [unrolled: 1-line block ×3, first 2 shown]
	s_mul_i32 s24, s23, s24
	s_add_u32 s25, s26, s25
	s_addc_u32 s17, 0, s17
	s_mul_hi_u32 s27, s23, s15
	s_add_u32 s24, s25, s24
	s_mul_i32 s15, s23, s15
	s_addc_u32 s17, s17, s28
	s_addc_u32 s24, s27, 0
	s_add_u32 s15, s17, s15
	s_addc_u32 s17, 0, s24
	s_mul_hi_u32 s24, s18, s15
	s_mul_i32 s25, s18, s17
	s_mul_i32 s26, s19, s15
	s_add_i32 s24, s24, s25
	s_mul_i32 s25, s18, s15
	s_add_i32 s24, s24, s26
	s_sub_i32 s26, s23, s24
	s_sub_u32 s22, s22, s25
	s_cselect_b32 s25, -1, 0
	s_cmp_lg_u32 s25, 0
	s_subb_u32 s26, s26, s19
	s_sub_u32 s27, s22, s18
	s_cselect_b32 s28, -1, 0
	s_cmp_lg_u32 s28, 0
	s_subb_u32 s26, s26, 0
	s_cmp_ge_u32 s26, s19
	s_cselect_b32 s28, -1, 0
	s_cmp_ge_u32 s27, s18
	s_cselect_b32 s27, -1, 0
	s_cmp_eq_u32 s26, s19
	s_cselect_b32 s26, s27, s28
	s_add_u32 s27, s15, 1
	s_addc_u32 s28, s17, 0
	s_add_u32 s29, s15, 2
	s_addc_u32 s30, s17, 0
	s_cmp_lg_u32 s26, 0
	s_cselect_b32 s26, s29, s27
	s_cselect_b32 s27, s30, s28
	s_cmp_lg_u32 s25, 0
	s_subb_u32 s23, s23, s24
	s_cmp_ge_u32 s23, s19
	s_cselect_b32 s24, -1, 0
	s_cmp_ge_u32 s22, s18
	s_cselect_b32 s18, -1, 0
	s_cmp_eq_u32 s23, s19
	s_cselect_b32 s18, s18, s24
	s_cmp_lg_u32 s18, 0
	s_cselect_b32 s19, s27, s17
	s_cselect_b32 s18, s26, s15
	s_xor_b64 s[20:21], s[20:21], 0
	s_xor_b64 s[18:19], s[18:19], s[20:21]
	s_sub_u32 s18, s18, s20
	s_andn2_b32 vcc_lo, exec_lo, s16
	s_cbranch_vccnz .LBB20_6
.LBB20_5:
	v_cvt_f32_u32_e32 v1, s9
	s_sub_i32 s16, 0, s9
	v_rcp_iflag_f32_e32 v1, v1
	v_mul_f32_e32 v1, 0x4f7ffffe, v1
	v_cvt_u32_f32_e32 v1, v1
	s_waitcnt lgkmcnt(0)
	v_readfirstlane_b32 s15, v1
	s_mul_i32 s16, s16, s15
	s_mul_hi_u32 s16, s15, s16
	s_add_i32 s15, s15, s16
	s_mul_hi_u32 s15, s11, s15
	s_mul_i32 s16, s15, s9
	s_sub_i32 s11, s11, s16
	s_add_i32 s16, s15, 1
	s_sub_i32 s17, s11, s9
	s_cmp_ge_u32 s11, s9
	s_cselect_b32 s15, s16, s15
	s_cselect_b32 s11, s17, s11
	s_add_i32 s16, s15, 1
	s_cmp_ge_u32 s11, s9
	s_cselect_b32 s18, s16, s15
.LBB20_6:
	s_cmp_eq_u32 s10, s18
	s_waitcnt lgkmcnt(0)
	s_mul_hi_u32 s11, s10, s12
	s_cselect_b32 s15, -1, 0
	s_add_i32 s11, s11, s10
	s_lshr_b32 s11, s11, s13
	s_mul_i32 s16, s11, s14
	s_cmp_eq_u32 s16, s10
	s_mul_hi_u32 s16, s18, s12
	s_cselect_b32 s17, -1, 0
	s_add_i32 s16, s16, s18
	s_lshr_b32 s16, s16, s13
	s_cmp_eq_u32 s11, s16
	s_mul_i32 s16, s16, s14
	s_cselect_b32 s19, -1, 0
	s_cmp_lg_u32 s16, s18
	s_cselect_b32 s16, -1, 0
	s_or_b32 s15, s15, s17
	s_and_b32 s16, s19, s16
	s_or_b32 s15, s15, s16
	s_and_b32 vcc_lo, exec_lo, s15
	s_cbranch_vccnz .LBB20_24
; %bb.7:
	s_clause 0x1
	s_load_dwordx8 s[20:27], s[4:5], 0x20
	s_load_dword s16, s[4:5], 0x40
	s_waitcnt lgkmcnt(0)
	s_mul_hi_u32 s15, s10, s20
	s_add_i32 s15, s15, s10
	s_lshr_b32 s15, s15, s21
	s_mul_i32 s17, s15, s22
	s_sub_i32 s17, s10, s17
	s_mul_hi_u32 s18, s17, s23
	s_add_i32 s18, s17, s18
	s_lshr_b32 s21, s18, s24
	s_mul_i32 s18, s21, s25
	s_sub_i32 s17, s17, s18
	s_mul_hi_u32 s18, s17, s26
	s_add_i32 s18, s17, s18
	s_lshr_b32 s18, s18, s27
	s_mul_i32 s16, s18, s16
	s_lshl_b32 s22, s18, 2
	s_sub_i32 s16, s17, s16
	s_mul_hi_u32 s17, s16, s12
	s_add_i32 s16, s16, s17
	s_lshr_b32 s20, s16, s13
	s_lshl_b32 s16, s20, 4
	s_add_i32 s16, s16, s7
	s_cmp_lt_i32 s16, s0
	s_cselect_b32 s16, -1, 0
	s_add_i32 s22, s22, s8
	s_cmp_lt_i32 s22, s2
	s_cselect_b32 s17, -1, 0
	s_and_b32 s16, s16, s17
	s_andn2_b32 vcc_lo, exec_lo, s16
	s_cbranch_vccnz .LBB20_24
; %bb.8:
	s_load_dwordx4 s[16:19], s[4:5], 0x0
	s_mov_b32 s4, 0
	s_lshl_b32 s24, s9, 8
	s_mov_b32 s25, s4
	s_lshl_b32 s5, s7, 2
	s_lshl_b64 s[24:25], s[24:25], 2
	s_mul_i32 s21, s21, s2
	s_mul_i32 s0, s15, s0
	s_add_i32 s2, s5, s8
	v_cvt_f32_u32_e32 v3, s9
	v_rcp_iflag_f32_e32 v3, v3
	s_waitcnt lgkmcnt(0)
	s_add_u32 s8, s18, s24
	s_addc_u32 s15, s19, s25
	s_add_i32 s0, s0, s7
	s_add_i32 s5, s22, s21
	s_mul_i32 s0, s0, s1
	s_mul_i32 s1, s1, s20
	s_add_i32 s0, s5, s0
	s_mulk_i32 s1, 0x480
	s_mulk_i32 s0, 0x48
	v_mul_f32_e32 v7, 0x4f7ffffe, v3
	v_add3_u32 v1, s1, s0, v0
	s_lshl_b32 s0, s6, 6
	s_add_i32 s0, s2, s0
	v_ashrrev_i32_e32 v2, 31, v1
	s_ashr_i32 s1, s0, 31
	s_lshl_b64 s[0:1], s[0:1], 3
	v_lshlrev_b64 v[1:2], 2, v[1:2]
	s_add_u32 s0, s18, s0
	s_addc_u32 s1, s19, s1
	s_load_dwordx2 s[0:1], s[0:1], 0x0
	v_add_co_u32 v1, vcc_lo, s16, v1
	v_add_co_ci_u32_e64 v2, null, s17, v2, vcc_lo
	s_add_i32 s17, s6, -1
	v_mad_u64_u32 v[3:4], null, 0x48, s2, v[0:1]
	global_load_dword v5, v[1:2], off
	v_cvt_u32_f32_e32 v0, v7
	s_sub_i32 s16, 0, s9
	s_waitcnt lgkmcnt(0)
	v_mov_b32_e32 v4, s1
	v_mov_b32_e32 v6, s0
.LBB20_9:                               ; =>This Inner Loop Header: Depth=1
	s_mul_hi_i32 s5, s17, s3
	s_mul_i32 s6, s17, s3
	s_cmp_lg_u64 s[4:5], 0
	s_mov_b32 s7, -1
                                        ; implicit-def: $sgpr0_sgpr1
	s_cbranch_scc0 .LBB20_11
; %bb.10:                               ;   in Loop: Header=BB20_9 Depth=1
	s_add_u32 s0, s9, 0
	s_addc_u32 s1, 0, 0
	s_xor_b64 s[0:1], s[0:1], 0
	v_cvt_f32_u32_e32 v7, s0
	v_cvt_f32_u32_e32 v8, s1
	s_sub_u32 s21, 0, s0
	s_subb_u32 s22, 0, s1
	v_fmac_f32_e32 v7, 0x4f800000, v8
	v_rcp_f32_e32 v7, v7
	v_mul_f32_e32 v7, 0x5f7ffffc, v7
	v_mul_f32_e32 v8, 0x2f800000, v7
	v_trunc_f32_e32 v8, v8
	v_fmac_f32_e32 v7, 0xcf800000, v8
	v_cvt_u32_f32_e32 v8, v8
	v_cvt_u32_f32_e32 v7, v7
	v_readfirstlane_b32 s7, v8
	v_readfirstlane_b32 s20, v7
	s_mul_i32 s23, s21, s7
	s_mul_hi_u32 s25, s21, s20
	s_mul_i32 s24, s22, s20
	s_add_i32 s23, s25, s23
	s_mul_i32 s26, s21, s20
	s_add_i32 s23, s23, s24
	s_mul_hi_u32 s25, s20, s26
	s_mul_i32 s28, s20, s23
	s_mul_hi_u32 s27, s7, s26
	s_mul_i32 s24, s7, s26
	s_mul_hi_u32 s26, s20, s23
	s_add_u32 s25, s25, s28
	s_addc_u32 s26, 0, s26
	s_mul_hi_u32 s29, s7, s23
	s_add_u32 s24, s25, s24
	s_mul_i32 s23, s7, s23
	s_addc_u32 s24, s26, s27
	s_addc_u32 s25, s29, 0
	s_add_u32 s23, s24, s23
	s_addc_u32 s24, 0, s25
	s_add_u32 s20, s20, s23
	s_cselect_b32 s23, -1, 0
	s_mul_hi_u32 s25, s21, s20
	s_cmp_lg_u32 s23, 0
	s_mul_i32 s23, s21, s20
	s_addc_u32 s7, s7, s24
	s_mul_i32 s22, s22, s20
	s_mul_i32 s21, s21, s7
	s_mul_hi_u32 s24, s20, s23
	s_add_i32 s21, s25, s21
	s_mul_hi_u32 s25, s7, s23
	s_add_i32 s21, s21, s22
	s_mul_i32 s22, s7, s23
	s_mul_i32 s27, s20, s21
	s_mul_hi_u32 s26, s20, s21
	s_add_u32 s24, s24, s27
	s_addc_u32 s26, 0, s26
	s_mul_hi_u32 s23, s7, s21
	s_add_u32 s22, s24, s22
	s_mul_i32 s21, s7, s21
	s_addc_u32 s22, s26, s25
	s_addc_u32 s23, s23, 0
	s_add_u32 s21, s22, s21
	s_addc_u32 s22, 0, s23
	s_add_u32 s24, s20, s21
	s_cselect_b32 s20, -1, 0
	s_cmp_lg_u32 s20, 0
	s_addc_u32 s7, s7, s22
	s_ashr_i32 s20, s5, 31
	s_add_u32 s22, s6, s20
	s_mov_b32 s21, s20
	s_addc_u32 s23, s5, s20
	s_xor_b64 s[22:23], s[22:23], s[20:21]
	s_mul_i32 s25, s22, s7
	s_mul_hi_u32 s26, s22, s24
	s_mul_hi_u32 s5, s22, s7
	;; [unrolled: 1-line block ×3, first 2 shown]
	s_mul_i32 s24, s23, s24
	s_add_u32 s25, s26, s25
	s_addc_u32 s5, 0, s5
	s_mul_hi_u32 s27, s23, s7
	s_add_u32 s24, s25, s24
	s_mul_i32 s7, s23, s7
	s_addc_u32 s5, s5, s28
	s_addc_u32 s24, s27, 0
	s_add_u32 s5, s5, s7
	s_addc_u32 s7, 0, s24
	s_mul_hi_u32 s24, s0, s5
	s_mul_i32 s25, s0, s7
	s_mul_i32 s26, s1, s5
	s_add_i32 s24, s24, s25
	s_mul_i32 s25, s0, s5
	s_add_i32 s24, s24, s26
	s_sub_i32 s26, s23, s24
	s_sub_u32 s22, s22, s25
	s_cselect_b32 s25, -1, 0
	s_cmp_lg_u32 s25, 0
	s_subb_u32 s26, s26, s1
	s_sub_u32 s27, s22, s0
	s_cselect_b32 s28, -1, 0
	s_cmp_lg_u32 s28, 0
	s_subb_u32 s26, s26, 0
	s_cmp_ge_u32 s26, s1
	s_cselect_b32 s28, -1, 0
	s_cmp_ge_u32 s27, s0
	s_cselect_b32 s27, -1, 0
	s_cmp_eq_u32 s26, s1
	s_cselect_b32 s26, s27, s28
	s_add_u32 s27, s5, 1
	s_addc_u32 s28, s7, 0
	s_add_u32 s29, s5, 2
	s_addc_u32 s30, s7, 0
	s_cmp_lg_u32 s26, 0
	s_cselect_b32 s26, s29, s27
	s_cselect_b32 s27, s30, s28
	s_cmp_lg_u32 s25, 0
	s_subb_u32 s23, s23, s24
	s_cmp_ge_u32 s23, s1
	s_cselect_b32 s24, -1, 0
	s_cmp_ge_u32 s22, s0
	s_cselect_b32 s0, -1, 0
	s_cmp_eq_u32 s23, s1
	s_cselect_b32 s0, s0, s24
	s_cmp_lg_u32 s0, 0
	s_cselect_b32 s1, s27, s7
	s_cselect_b32 s0, s26, s5
	s_xor_b64 s[20:21], s[20:21], 0
	s_mov_b32 s7, 0
	s_xor_b64 s[0:1], s[0:1], s[20:21]
	s_sub_u32 s0, s0, s20
.LBB20_11:                              ;   in Loop: Header=BB20_9 Depth=1
	s_andn2_b32 vcc_lo, exec_lo, s7
	s_cbranch_vccnz .LBB20_13
; %bb.12:                               ;   in Loop: Header=BB20_9 Depth=1
	v_readfirstlane_b32 s0, v0
	s_mul_i32 s1, s16, s0
	s_mul_hi_u32 s1, s0, s1
	s_add_i32 s0, s0, s1
	s_mul_hi_u32 s0, s6, s0
	s_mul_i32 s1, s0, s9
	s_add_i32 s5, s0, 1
	s_sub_i32 s1, s6, s1
	s_sub_i32 s6, s1, s9
	s_cmp_ge_u32 s1, s9
	s_cselect_b32 s0, s5, s0
	s_cselect_b32 s1, s6, s1
	s_add_i32 s5, s0, 1
	s_cmp_ge_u32 s1, s9
	s_cselect_b32 s0, s5, s0
.LBB20_13:                              ;   in Loop: Header=BB20_9 Depth=1
	s_cmp_lg_u32 s10, s0
	s_mov_b32 s6, -1
                                        ; implicit-def: $sgpr5
                                        ; implicit-def: $vgpr8
                                        ; implicit-def: $vgpr7
                                        ; implicit-def: $vgpr9
                                        ; implicit-def: $sgpr1
                                        ; implicit-def: $sgpr20
	s_cbranch_scc0 .LBB20_18
; %bb.14:                               ;   in Loop: Header=BB20_9 Depth=1
	s_add_i32 s1, s17, s9
	s_mov_b32 s7, s4
	s_lshl_b32 s1, s1, 6
	s_mov_b32 s20, s10
	s_add_i32 s6, s1, s2
	s_mul_hi_u32 s1, s0, s12
	s_lshl_b64 s[6:7], s[6:7], 3
	s_add_u32 s6, s18, s6
	s_addc_u32 s7, s19, s7
	s_add_i32 s1, s1, s0
	s_lshr_b32 s1, s1, s13
	s_mul_i32 s5, s1, s14
	s_cmp_eq_u32 s5, s0
	s_cselect_b32 s5, -1, 0
	s_cmp_lt_u32 s1, s11
	s_cselect_b32 s1, -1, 0
	s_or_b32 s1, s1, s5
	s_mov_b32 s5, -1
	s_and_b32 vcc_lo, exec_lo, s1
	s_mov_b32 s1, s17
	s_cbranch_vccnz .LBB20_16
; %bb.15:                               ;   in Loop: Header=BB20_9 Depth=1
	s_add_i32 s1, s17, -1
	s_mov_b32 s5, 0
	s_mov_b32 s20, s0
.LBB20_16:                              ;   in Loop: Header=BB20_9 Depth=1
	v_mad_u64_u32 v[7:8], null, 0x1200, s17, v[3:4]
	s_load_dwordx2 s[6:7], s[6:7], 0x0
	v_ashrrev_i32_e32 v8, 31, v7
	v_lshlrev_b64 v[7:8], 2, v[7:8]
	v_add_co_u32 v7, vcc_lo, s8, v7
	v_add_co_ci_u32_e64 v8, null, s15, v8, vcc_lo
	s_waitcnt lgkmcnt(0)
	v_max_f32_e64 v9, s6, s6
	global_load_dword v8, v[7:8], off
	v_max_f32_e32 v7, v6, v6
	v_max_f32_e32 v7, v7, v9
	v_sub_f32_e32 v9, s6, v7
	v_sub_f32_e32 v10, v6, v7
	v_mul_f32_e32 v11, 0x3fb8aa3b, v9
	v_mul_f32_e32 v12, 0x3fb8aa3b, v10
	v_cmp_ngt_f32_e32 vcc_lo, 0xc2ce8ed0, v9
	v_fma_f32 v13, 0x3fb8aa3b, v9, -v11
	v_rndne_f32_e32 v14, v11
	v_fma_f32 v15, 0x3fb8aa3b, v10, -v12
	v_rndne_f32_e32 v16, v12
	v_fmac_f32_e32 v13, 0x32a5705f, v9
	v_sub_f32_e32 v11, v11, v14
	v_fmac_f32_e32 v15, 0x32a5705f, v10
	v_sub_f32_e32 v12, v12, v16
	v_add_f32_e32 v11, v11, v13
	v_cvt_i32_f32_e32 v13, v14
	v_add_f32_e32 v12, v12, v15
	v_cvt_i32_f32_e32 v14, v16
	v_exp_f32_e32 v11, v11
	v_exp_f32_e32 v12, v12
	v_ldexp_f32 v11, v11, v13
	v_ldexp_f32 v12, v12, v14
	v_cndmask_b32_e32 v11, 0, v11, vcc_lo
	v_cmp_ngt_f32_e32 vcc_lo, 0xc2ce8ed0, v10
	v_cndmask_b32_e32 v12, 0, v12, vcc_lo
	v_cmp_nlt_f32_e32 vcc_lo, 0x42b17218, v9
	v_cndmask_b32_e32 v11, 0x7f800000, v11, vcc_lo
	v_cmp_nlt_f32_e32 vcc_lo, 0x42b17218, v10
	v_cndmask_b32_e32 v12, 0x7f800000, v12, vcc_lo
	v_cmp_le_f32_e32 vcc_lo, 0xc1a00000, v9
	v_cndmask_b32_e32 v9, 0, v11, vcc_lo
	v_cmp_le_f32_e32 vcc_lo, 0xc1a00000, v10
	v_cndmask_b32_e32 v10, 0, v12, vcc_lo
	s_waitcnt vmcnt(0)
	v_mul_f32_e32 v8, v8, v9
	v_mul_f32_e32 v9, s7, v9
	v_fmac_f32_e32 v8, v5, v10
	v_fmac_f32_e32 v9, v4, v10
	s_cbranch_execz .LBB20_19
.LBB20_17:                              ;   in Loop: Header=BB20_9 Depth=1
	s_andn2_b32 vcc_lo, exec_lo, s5
	s_cbranch_vccnz .LBB20_20
	s_branch .LBB20_23
.LBB20_18:                              ;   in Loop: Header=BB20_9 Depth=1
	s_andn2_b32 vcc_lo, exec_lo, s6
	s_cbranch_vccnz .LBB20_17
.LBB20_19:                              ;   in Loop: Header=BB20_9 Depth=1
	v_mov_b32_e32 v9, v4
	v_mov_b32_e32 v7, v6
	s_waitcnt vmcnt(0)
	v_mov_b32_e32 v8, v5
	s_add_i32 s1, s17, -1
	s_mov_b32 s20, s10
	s_cbranch_execz .LBB20_23
.LBB20_20:                              ;   in Loop: Header=BB20_9 Depth=1
	v_mov_b32_e32 v4, v9
	v_mov_b32_e32 v6, v7
	s_waitcnt vmcnt(0)
	v_mov_b32_e32 v5, v8
	s_mov_b32 s10, s20
	s_mov_b32 s17, s1
	s_branch .LBB20_9
.LBB20_21:
                                        ; implicit-def: $sgpr10_sgpr11
	s_load_dwordx4 s[12:15], s[4:5], 0x44
	s_branch .LBB20_2
.LBB20_22:
                                        ; implicit-def: $sgpr18_sgpr19
	s_branch .LBB20_5
.LBB20_23:
	v_div_scale_f32 v0, null, v9, v9, v8
	v_rcp_f32_e32 v3, v0
	v_fma_f32 v4, -v0, v3, 1.0
	v_fmac_f32_e32 v3, v4, v3
	v_div_scale_f32 v4, vcc_lo, v8, v9, v8
	s_waitcnt vmcnt(0)
	v_mul_f32_e32 v5, v4, v3
	v_fma_f32 v6, -v0, v5, v4
	v_fmac_f32_e32 v5, v6, v3
	v_fma_f32 v0, -v0, v5, v4
	v_div_fmas_f32 v0, v0, v3, v5
	v_div_fixup_f32 v0, v0, v9, v8
	global_store_dword v[1:2], v0, off
.LBB20_24:
	s_endpgm
	.section	.rodata,"a",@progbits
	.p2align	6, 0x0
	.amdhsa_kernel _ZL33flash_attn_stream_k_fixup_generalILi72ELi16ELi4EEvPfPK15HIP_vector_typeIfLj2EEiiiiS1_IjLj3EES5_S5_S5_
		.amdhsa_group_segment_fixed_size 0
		.amdhsa_private_segment_fixed_size 0
		.amdhsa_kernarg_size 336
		.amdhsa_user_sgpr_count 6
		.amdhsa_user_sgpr_private_segment_buffer 1
		.amdhsa_user_sgpr_dispatch_ptr 0
		.amdhsa_user_sgpr_queue_ptr 0
		.amdhsa_user_sgpr_kernarg_segment_ptr 1
		.amdhsa_user_sgpr_dispatch_id 0
		.amdhsa_user_sgpr_flat_scratch_init 0
		.amdhsa_user_sgpr_private_segment_size 0
		.amdhsa_wavefront_size32 1
		.amdhsa_uses_dynamic_stack 0
		.amdhsa_system_sgpr_private_segment_wavefront_offset 0
		.amdhsa_system_sgpr_workgroup_id_x 1
		.amdhsa_system_sgpr_workgroup_id_y 1
		.amdhsa_system_sgpr_workgroup_id_z 1
		.amdhsa_system_sgpr_workgroup_info 0
		.amdhsa_system_vgpr_workitem_id 0
		.amdhsa_next_free_vgpr 17
		.amdhsa_next_free_sgpr 31
		.amdhsa_reserve_vcc 1
		.amdhsa_reserve_flat_scratch 0
		.amdhsa_float_round_mode_32 0
		.amdhsa_float_round_mode_16_64 0
		.amdhsa_float_denorm_mode_32 3
		.amdhsa_float_denorm_mode_16_64 3
		.amdhsa_dx10_clamp 1
		.amdhsa_ieee_mode 1
		.amdhsa_fp16_overflow 0
		.amdhsa_workgroup_processor_mode 1
		.amdhsa_memory_ordered 1
		.amdhsa_forward_progress 1
		.amdhsa_shared_vgpr_count 0
		.amdhsa_exception_fp_ieee_invalid_op 0
		.amdhsa_exception_fp_denorm_src 0
		.amdhsa_exception_fp_ieee_div_zero 0
		.amdhsa_exception_fp_ieee_overflow 0
		.amdhsa_exception_fp_ieee_underflow 0
		.amdhsa_exception_fp_ieee_inexact 0
		.amdhsa_exception_int_div_zero 0
	.end_amdhsa_kernel
	.section	.text._ZL33flash_attn_stream_k_fixup_generalILi72ELi16ELi4EEvPfPK15HIP_vector_typeIfLj2EEiiiiS1_IjLj3EES5_S5_S5_,"axG",@progbits,_ZL33flash_attn_stream_k_fixup_generalILi72ELi16ELi4EEvPfPK15HIP_vector_typeIfLj2EEiiiiS1_IjLj3EES5_S5_S5_,comdat
.Lfunc_end20:
	.size	_ZL33flash_attn_stream_k_fixup_generalILi72ELi16ELi4EEvPfPK15HIP_vector_typeIfLj2EEiiiiS1_IjLj3EES5_S5_S5_, .Lfunc_end20-_ZL33flash_attn_stream_k_fixup_generalILi72ELi16ELi4EEvPfPK15HIP_vector_typeIfLj2EEiiiiS1_IjLj3EES5_S5_S5_
                                        ; -- End function
	.set _ZL33flash_attn_stream_k_fixup_generalILi72ELi16ELi4EEvPfPK15HIP_vector_typeIfLj2EEiiiiS1_IjLj3EES5_S5_S5_.num_vgpr, 17
	.set _ZL33flash_attn_stream_k_fixup_generalILi72ELi16ELi4EEvPfPK15HIP_vector_typeIfLj2EEiiiiS1_IjLj3EES5_S5_S5_.num_agpr, 0
	.set _ZL33flash_attn_stream_k_fixup_generalILi72ELi16ELi4EEvPfPK15HIP_vector_typeIfLj2EEiiiiS1_IjLj3EES5_S5_S5_.numbered_sgpr, 31
	.set _ZL33flash_attn_stream_k_fixup_generalILi72ELi16ELi4EEvPfPK15HIP_vector_typeIfLj2EEiiiiS1_IjLj3EES5_S5_S5_.num_named_barrier, 0
	.set _ZL33flash_attn_stream_k_fixup_generalILi72ELi16ELi4EEvPfPK15HIP_vector_typeIfLj2EEiiiiS1_IjLj3EES5_S5_S5_.private_seg_size, 0
	.set _ZL33flash_attn_stream_k_fixup_generalILi72ELi16ELi4EEvPfPK15HIP_vector_typeIfLj2EEiiiiS1_IjLj3EES5_S5_S5_.uses_vcc, 1
	.set _ZL33flash_attn_stream_k_fixup_generalILi72ELi16ELi4EEvPfPK15HIP_vector_typeIfLj2EEiiiiS1_IjLj3EES5_S5_S5_.uses_flat_scratch, 0
	.set _ZL33flash_attn_stream_k_fixup_generalILi72ELi16ELi4EEvPfPK15HIP_vector_typeIfLj2EEiiiiS1_IjLj3EES5_S5_S5_.has_dyn_sized_stack, 0
	.set _ZL33flash_attn_stream_k_fixup_generalILi72ELi16ELi4EEvPfPK15HIP_vector_typeIfLj2EEiiiiS1_IjLj3EES5_S5_S5_.has_recursion, 0
	.set _ZL33flash_attn_stream_k_fixup_generalILi72ELi16ELi4EEvPfPK15HIP_vector_typeIfLj2EEiiiiS1_IjLj3EES5_S5_S5_.has_indirect_call, 0
	.section	.AMDGPU.csdata,"",@progbits
; Kernel info:
; codeLenInByte = 2948
; TotalNumSgprs: 33
; NumVgprs: 17
; ScratchSize: 0
; MemoryBound: 0
; FloatMode: 240
; IeeeMode: 1
; LDSByteSize: 0 bytes/workgroup (compile time only)
; SGPRBlocks: 0
; VGPRBlocks: 2
; NumSGPRsForWavesPerEU: 33
; NumVGPRsForWavesPerEU: 17
; Occupancy: 16
; WaveLimiterHint : 0
; COMPUTE_PGM_RSRC2:SCRATCH_EN: 0
; COMPUTE_PGM_RSRC2:USER_SGPR: 6
; COMPUTE_PGM_RSRC2:TRAP_HANDLER: 0
; COMPUTE_PGM_RSRC2:TGID_X_EN: 1
; COMPUTE_PGM_RSRC2:TGID_Y_EN: 1
; COMPUTE_PGM_RSRC2:TGID_Z_EN: 1
; COMPUTE_PGM_RSRC2:TIDIG_COMP_CNT: 0
	.section	.text._ZL15flash_attn_tileILi72ELi72ELi8ELi4ELb0EEvPKcS1_S1_S1_S1_PKiPfP15HIP_vector_typeIfLj2EEffffjfiS5_IjLj3EEiiiiiiiiiiiliiliiiiil,"axG",@progbits,_ZL15flash_attn_tileILi72ELi72ELi8ELi4ELb0EEvPKcS1_S1_S1_S1_PKiPfP15HIP_vector_typeIfLj2EEffffjfiS5_IjLj3EEiiiiiiiiiiiliiliiiiil,comdat
	.globl	_ZL15flash_attn_tileILi72ELi72ELi8ELi4ELb0EEvPKcS1_S1_S1_S1_PKiPfP15HIP_vector_typeIfLj2EEffffjfiS5_IjLj3EEiiiiiiiiiiiliiliiiiil ; -- Begin function _ZL15flash_attn_tileILi72ELi72ELi8ELi4ELb0EEvPKcS1_S1_S1_S1_PKiPfP15HIP_vector_typeIfLj2EEffffjfiS5_IjLj3EEiiiiiiiiiiiliiliiiiil
	.p2align	8
	.type	_ZL15flash_attn_tileILi72ELi72ELi8ELi4ELb0EEvPKcS1_S1_S1_S1_PKiPfP15HIP_vector_typeIfLj2EEffffjfiS5_IjLj3EEiiiiiiiiiiiliiliiiiil,@function
_ZL15flash_attn_tileILi72ELi72ELi8ELi4ELb0EEvPKcS1_S1_S1_S1_PKiPfP15HIP_vector_typeIfLj2EEffffjfiS5_IjLj3EEiiiiiiiiiiiliiliiiiil: ; @_ZL15flash_attn_tileILi72ELi72ELi8ELi4ELb0EEvPKcS1_S1_S1_S1_PKiPfP15HIP_vector_typeIfLj2EEffffjfiS5_IjLj3EEiiiiiiiiiiiliiliiiiil
; %bb.0:
	s_clause 0x1
	s_load_dwordx4 s[24:27], s[4:5], 0x5c
	s_load_dwordx2 s[34:35], s[4:5], 0x80
	s_mov_b64 s[36:37], 0
	s_waitcnt lgkmcnt(0)
	s_ashr_i32 s0, s27, 31
	s_lshr_b32 s0, s0, 30
	s_add_i32 s0, s27, s0
	s_ashr_i32 s0, s0, 2
	v_cvt_f32_u32_e32 v2, s0
	s_sub_i32 s2, 0, s0
	v_rcp_iflag_f32_e32 v2, v2
	v_mul_f32_e32 v2, 0x4f7ffffe, v2
	v_cvt_u32_f32_e32 v2, v2
	v_readfirstlane_b32 s1, v2
	s_mul_i32 s2, s2, s1
	s_mul_hi_u32 s2, s1, s2
	s_add_i32 s1, s1, s2
	s_mul_hi_u32 s1, s8, s1
	s_mul_i32 s2, s1, s0
	s_add_i32 s3, s1, 1
	s_sub_i32 s2, s8, s2
	s_sub_i32 s9, s2, s0
	s_cmp_ge_u32 s2, s0
	s_cselect_b32 s1, s3, s1
	s_cselect_b32 s2, s9, s2
	s_add_i32 s3, s1, 1
	s_cmp_ge_u32 s2, s0
	s_cselect_b32 s33, s3, s1
	s_abs_i32 s0, s35
	s_abs_i32 s3, s27
	v_cvt_f32_u32_e32 v2, s0
	s_sub_i32 s2, 0, s0
	s_lshl_b32 s28, s8, 2
	s_mul_i32 s29, s33, s27
	v_rcp_iflag_f32_e32 v2, v2
	v_mul_f32_e32 v2, 0x4f7ffffe, v2
	v_cvt_u32_f32_e32 v2, v2
	v_readfirstlane_b32 s1, v2
	s_mul_i32 s2, s2, s1
	s_mul_hi_u32 s2, s1, s2
	s_add_i32 s1, s1, s2
	s_xor_b32 s2, s27, s35
	s_mul_hi_u32 s1, s3, s1
	s_ashr_i32 s2, s2, 31
	s_mul_i32 s8, s1, s0
	s_sub_i32 s3, s3, s8
	s_add_i32 s8, s1, 1
	s_sub_i32 s9, s3, s0
	s_cmp_ge_u32 s3, s0
	s_cselect_b32 s1, s8, s1
	s_cselect_b32 s3, s9, s3
	s_add_i32 s8, s1, 1
	s_cmp_ge_u32 s3, s0
	s_cselect_b32 s0, s8, s1
	s_xor_b32 s0, s0, s2
	s_sub_i32 s3, s0, s2
	s_clause 0x1
	s_load_dwordx16 s[8:23], s[4:5], 0x0
	s_load_dwordx2 s[0:1], s[4:5], 0xb8
	s_abs_i32 s2, s3
	v_cvt_f32_u32_e32 v2, s2
	v_rcp_iflag_f32_e32 v2, v2
	v_mul_f32_e32 v2, 0x4f7ffffe, v2
	s_waitcnt lgkmcnt(0)
	s_cmp_eq_u64 s[14:15], 0
	v_cvt_u32_f32_e32 v2, v2
	v_readfirstlane_b32 s35, v2
	s_cbranch_scc1 .LBB21_2
; %bb.1:
	s_abs_i32 s0, s0
	s_abs_i32 s36, s33
	v_cvt_f32_u32_e32 v2, s0
	s_sub_i32 s31, 0, s0
	v_rcp_iflag_f32_e32 v2, v2
	v_mul_f32_e32 v2, 0x4f7ffffe, v2
	v_cvt_u32_f32_e32 v2, v2
	v_readfirstlane_b32 s30, v2
	s_mul_i32 s31, s31, s30
	s_mul_hi_u32 s31, s30, s31
	s_add_i32 s30, s30, s31
	s_mul_hi_u32 s37, s36, s30
	s_load_dwordx2 s[30:31], s[4:5], 0xc8
	s_mul_i32 s37, s37, s0
	s_sub_i32 s36, s36, s37
	s_ashr_i32 s37, s33, 31
	s_sub_i32 s38, s36, s0
	s_cmp_ge_u32 s36, s0
	s_cselect_b32 s36, s38, s36
	s_sub_i32 s38, s36, s0
	s_cmp_ge_u32 s36, s0
	s_cselect_b32 s0, s38, s36
	s_xor_b32 s0, s0, s37
	s_sub_i32 s0, s0, s37
	s_ashr_i32 s36, s0, 31
	s_waitcnt lgkmcnt(0)
	s_mul_hi_u32 s37, s30, s0
	s_mul_i32 s36, s30, s36
	s_mul_i32 s31, s31, s0
	s_add_i32 s36, s37, s36
	s_mul_i32 s0, s30, s0
	s_add_i32 s30, s36, s31
	s_add_u32 s36, s14, s0
	s_addc_u32 s37, s15, s30
.LBB21_2:
	v_lshl_add_u32 v14, s6, 3, v1
	v_cmp_gt_u32_e64 s0, 18, v0
	v_lshlrev_b32_e32 v13, 2, v0
	v_lshlrev_b32_e32 v12, 3, v0
	s_sub_i32 s14, s28, s29
	v_mul_hi_u32 v2, s24, v14
	v_add_nc_u32_e32 v2, v14, v2
	v_lshrrev_b32_e32 v2, s25, v2
	v_mul_lo_u32 v2, v2, s26
	v_sub_nc_u32_e32 v2, v14, v2
	s_and_saveexec_b32 s15, s0
	s_cbranch_execz .LBB21_4
; %bb.3:
	s_load_dwordx4 s[28:31], s[4:5], 0x70
	s_waitcnt lgkmcnt(0)
	s_mul_i32 s25, s33, s30
	s_mul_i32 s30, s14, s29
	s_ashr_i32 s31, s25, 31
	s_add_u32 s8, s8, s25
	s_addc_u32 s9, s9, s31
	s_ashr_i32 s25, s30, 31
	s_add_u32 s30, s8, s30
	s_mov_b32 s24, s28
	s_addc_u32 s31, s9, s25
	s_ashr_i32 s25, s28, 31
	s_lshr_b64 s[8:9], s[24:25], 2
	s_ashr_i32 s9, s29, 31
	v_mad_u64_u32 v[3:4], null, s8, v2, 0
	s_lshr_b32 s8, s25, 2
	v_mad_u64_u32 v[4:5], null, s8, v2, v[4:5]
	v_lshlrev_b32_e32 v5, 2, v13
	s_mov_b32 s8, s29
	s_lshr_b64 s[24:25], s[8:9], 2
	s_and_b32 s8, s29, -4
	s_lshl_b64 s[28:29], s[24:25], 3
	v_lshlrev_b64 v[3:4], 2, v[3:4]
	v_add_co_u32 v3, vcc_lo, s30, v3
	v_add_co_ci_u32_e64 v4, null, s31, v4, vcc_lo
	v_add_co_u32 v7, vcc_lo, v3, v5
	v_add_co_ci_u32_e64 v8, null, 0, v4, vcc_lo
	v_add_co_u32 v9, vcc_lo, v7, s8
	v_mad_u64_u32 v[19:20], null, s24, 12, v[7:8]
	v_add_co_ci_u32_e64 v10, null, s9, v8, vcc_lo
	v_add_co_u32 v15, vcc_lo, v7, s28
	v_add_co_ci_u32_e64 v16, null, s29, v8, vcc_lo
	v_mov_b32_e32 v11, v20
	global_load_dwordx4 v[3:6], v[7:8], off
	s_load_dword s8, s[4:5], 0x40
	s_clause 0x1
	global_load_dwordx4 v[15:18], v[15:16], off
	global_load_dwordx4 v[7:10], v[9:10], off
	v_mad_u64_u32 v[20:21], null, s9, 12, v[11:12]
	v_mad_u32_u24 v11, 0x240, v1, v12
	v_add_nc_u32_e32 v11, 0x1000, v11
	global_load_dwordx4 v[19:22], v[19:20], off
	s_waitcnt vmcnt(3) lgkmcnt(0)
	v_fma_mixlo_f16 v4, s8, v4, 0
	v_fma_mixlo_f16 v3, s8, v3, 0
	;; [unrolled: 1-line block ×4, first 2 shown]
	s_waitcnt vmcnt(1)
	v_fma_mixlo_f16 v7, s8, v7, 0
	v_fma_mixlo_f16 v8, s8, v8, 0
	;; [unrolled: 1-line block ×4, first 2 shown]
	v_lshlrev_b32_e32 v4, 16, v4
	v_and_b32_e32 v3, 0xffff, v3
	v_lshlrev_b32_e32 v6, 16, v6
	v_and_b32_e32 v5, 0xffff, v5
	v_fma_mixlo_f16 v15, s8, v15, 0
	v_fma_mixlo_f16 v16, s8, v16, 0
	v_lshlrev_b32_e32 v8, 16, v8
	v_and_b32_e32 v7, 0xffff, v7
	v_lshlrev_b32_e32 v10, 16, v10
	v_and_b32_e32 v9, 0xffff, v9
	v_or_b32_e32 v3, v4, v3
	v_lshlrev_b32_e32 v16, 16, v16
	v_and_b32_e32 v15, 0xffff, v15
	v_or3_b32 v4, v6, v5, 0
	v_or_b32_e32 v5, v8, v7
	v_or3_b32 v6, v10, v9, 0
	s_waitcnt vmcnt(0)
	v_fma_mixlo_f16 v8, s8, v20, 0
	v_fma_mixlo_f16 v9, s8, v19, 0
	;; [unrolled: 1-line block ×4, first 2 shown]
	v_or_b32_e32 v7, v16, v15
	v_fma_mixlo_f16 v10, s8, v21, 0
	v_fma_mixlo_f16 v15, s8, v22, 0
	v_lshlrev_b32_e32 v8, 16, v8
	v_and_b32_e32 v9, 0xffff, v9
	v_lshlrev_b32_e32 v16, 16, v18
	v_and_b32_e32 v17, 0xffff, v17
	;; [unrolled: 2-line block ×3, first 2 shown]
	v_or_b32_e32 v9, v8, v9
	v_or3_b32 v3, 0, 0, v3
	v_or3_b32 v5, 0, 0, v5
	;; [unrolled: 1-line block ×6, first 2 shown]
	ds_write2_b64 v11, v[3:4], v[5:6] offset0:156 offset1:174
	ds_write2_b64 v11, v[7:8], v[9:10] offset0:192 offset1:210
.LBB21_4:
	s_or_b32 exec_lo, exec_lo, s15
	s_cmp_eq_u64 s[18:19], 0
	s_waitcnt lgkmcnt(0)
	s_barrier
	buffer_gl0_inv
	s_cbranch_scc1 .LBB21_6
; %bb.5:
	s_load_dword s8, s[4:5], 0xd0
	s_mov_b32 s9, 0
	s_waitcnt lgkmcnt(0)
	s_mul_i32 s8, s8, s33
	s_add_i32 s8, s8, s6
	s_lshl_b64 s[8:9], s[8:9], 2
	s_add_u32 s8, s18, s8
	s_addc_u32 s9, s19, s9
	s_load_dword s34, s[8:9], 0x0
.LBB21_6:
	v_mbcnt_lo_u32_b32 v19, -1, 0
	s_lshl_b32 s15, s7, 5
	s_waitcnt lgkmcnt(0)
	s_cmp_lt_i32 s15, s34
	s_cbranch_scc1 .LBB21_9
; %bb.7:
	v_mbcnt_lo_u32_b32 v5, -1, 0
	v_mov_b32_e32 v20, 32
	v_xor_b32_e32 v27, 16, v5
	v_xor_b32_e32 v26, 8, v5
	;; [unrolled: 1-line block ×5, first 2 shown]
	s_cbranch_execz .LBB21_10
; %bb.8:
	v_mov_b32_e32 v37, 0
	v_mov_b32_e32 v46, 0
	;; [unrolled: 1-line block ×16, first 2 shown]
	s_branch .LBB21_18
.LBB21_9:
                                        ; implicit-def: $vgpr5
                                        ; implicit-def: $vgpr20
                                        ; implicit-def: $vgpr27
                                        ; implicit-def: $vgpr26
                                        ; implicit-def: $vgpr25
                                        ; implicit-def: $vgpr24
                                        ; implicit-def: $vgpr23
.LBB21_10:
	s_clause 0x1
	s_load_dwordx4 s[28:31], s[4:5], 0x98
	s_load_dwordx2 s[8:9], s[4:5], 0x8c
	s_sub_i32 s6, 0, s2
	s_abs_i32 s38, s14
	s_mul_i32 s6, s6, s35
	s_ashr_i32 s39, s14, 31
	s_mul_hi_u32 s6, s35, s6
	s_ashr_i32 s3, s3, 31
	s_add_i32 s35, s35, s6
	s_load_dwordx2 s[18:19], s[4:5], 0xa8
	s_mul_hi_u32 s6, s38, s35
	s_ashr_i32 s35, s33, 31
	s_ashr_i32 s1, s1, 1
	s_mul_i32 s40, s6, s2
	v_lshrrev_b32_e32 v3, 3, v0
	v_lshl_add_u32 v16, v1, 5, v0
	v_and_b32_e32 v18, 28, v13
	v_mad_u64_u32 v[5:6], null, v2, s1, v[0:1]
	v_lshl_add_u32 v9, v1, 2, v3
	s_waitcnt lgkmcnt(0)
	s_ashr_i32 s24, s30, 2
	s_ashr_i32 s25, s8, 2
	s_mul_hi_u32 s8, s28, s33
	s_mul_i32 s30, s28, s35
	s_mul_i32 s29, s29, s33
	s_add_i32 s8, s8, s30
	s_mul_i32 s28, s28, s33
	s_add_i32 s8, s8, s29
	s_add_u32 s10, s10, s28
	s_addc_u32 s8, s11, s8
	s_sub_i32 s11, s38, s40
	s_xor_b32 s3, s39, s3
	s_add_i32 s28, s6, 1
	s_sub_i32 s29, s11, s2
	s_cmp_ge_u32 s11, s2
	v_mul_lo_u32 v3, s25, v9
	s_cselect_b32 s6, s28, s6
	s_cselect_b32 s11, s29, s11
	s_add_i32 s28, s6, 1
	s_cmp_ge_u32 s11, s2
	s_mul_i32 s11, s19, s33
	s_cselect_b32 s2, s28, s6
	s_mul_hi_u32 s6, s18, s33
	s_xor_b32 s2, s2, s3
	v_mul_lo_u32 v7, s25, v16
	s_sub_i32 s2, s2, s3
	s_mul_i32 s3, s18, s35
	s_mul_i32 s9, s2, s9
	v_mul_lo_u32 v10, s24, v16
	s_ashr_i32 s19, s9, 31
	s_add_u32 s28, s10, s9
	v_mul_lo_u32 v15, s24, v9
	s_addc_u32 s29, s8, s19
	s_add_i32 s3, s6, s3
	s_mul_i32 s6, s18, s33
	s_add_i32 s3, s3, s11
	s_mul_i32 s2, s2, s31
	s_add_u32 s6, s12, s6
	s_addc_u32 s3, s13, s3
	s_ashr_i32 s8, s2, 31
	s_add_u32 s13, s6, s2
	s_movk_i32 s2, 0x80
	s_movk_i32 s1, 0x90
	v_lshlrev_b32_e32 v20, 2, v18
	v_cmp_gt_u32_e32 vcc_lo, 32, v16
	v_ashrrev_i32_e32 v4, 31, v3
	v_ashrrev_i32_e32 v8, 31, v7
	v_mad_u32_u24 v32, 0xa0, v16, s2
	v_ashrrev_i32_e32 v11, 31, v10
	v_mad_u32_u24 v35, v16, s1, 0x80
	v_ashrrev_i32_e32 v16, 31, v15
	v_lshl_add_u32 v34, v1, 8, 0x26e0
	s_movk_i32 s2, 0x240
	v_mad_u32_u24 v30, 0xa0, v9, v20
	v_mad_u32_u24 v36, 0x90, v9, v20
	v_lshlrev_b64 v[6:7], 2, v[7:8]
	v_lshlrev_b64 v[8:9], 2, v[3:4]
	v_lshlrev_b64 v[10:11], 2, v[10:11]
	v_lshlrev_b64 v[15:16], 2, v[15:16]
	v_mov_b32_e32 v17, 0
	v_mul_u32_u24_e32 v31, 0xa0, v0
	v_mad_u32_u24 v33, v1, s2, 0x14e0
	v_mov_b32_e32 v50, 0xfeffffff
	v_lshlrev_b32_e32 v38, 2, v18
	v_mov_b32_e32 v20, 32
	v_xor_b32_e32 v27, 16, v19
	v_xor_b32_e32 v26, 8, v19
	;; [unrolled: 1-line block ×5, first 2 shown]
	v_add_nc_u32_e32 v39, v34, v12
	v_mov_b32_e32 v41, 0x10001
	v_mov_b32_e32 v18, 0
	;; [unrolled: 1-line block ×15, first 2 shown]
	s_addc_u32 s30, s3, s8
	s_add_u32 s18, s4, 0xd0
	s_addc_u32 s19, s5, 0
.LBB21_11:                              ; =>This Inner Loop Header: Depth=1
	s_mul_hi_i32 s3, s15, s25
	s_mul_i32 s2, s15, s25
	s_lshl_b64 s[2:3], s[2:3], 2
	s_add_u32 s2, s28, s2
	s_addc_u32 s3, s29, s3
	s_and_saveexec_b32 s6, vcc_lo
	s_cbranch_execz .LBB21_13
; %bb.12:                               ;   in Loop: Header=BB21_11 Depth=1
	v_add_co_u32 v1, s1, s2, v6
	v_add_co_ci_u32_e64 v2, null, s3, v7, s1
	global_load_dwordx4 v[1:4], v[1:2], off offset:128
	s_waitcnt vmcnt(0)
	ds_write_b128 v32, v[1:4]
.LBB21_13:                              ;   in Loop: Header=BB21_11 Depth=1
	s_or_b32 exec_lo, exec_lo, s6
	v_add_co_u32 v1, s1, s2, v8
	v_add_co_ci_u32_e64 v2, null, s3, v9, s1
	v_max_f32_e32 v53, v54, v54
	v_add_co_u32 v1, s1, v1, v38
	v_add_co_ci_u32_e64 v2, null, 0, v2, s1
	s_mul_hi_i32 s39, s15, s24
	s_mul_i32 s38, s15, s24
	s_lshl_b64 s[38:39], s[38:39], 2
	global_load_dwordx4 v[1:4], v[1:2], off
	s_add_u32 s31, s13, s38
	s_addc_u32 s35, s30, s39
	s_waitcnt vmcnt(0)
	ds_write_b128 v30, v[1:4]
	s_waitcnt lgkmcnt(0)
	s_barrier
	buffer_gl0_inv
	ds_read_b128 v[46:49], v31
	ds_read_b128 v[55:58], v33
	ds_read_b128 v[59:62], v33 offset:144
	ds_read_b128 v[63:66], v33 offset:288
	;; [unrolled: 1-line block ×3, first 2 shown]
	v_mov_b32_e32 v2, 0
	v_mov_b32_e32 v1, 0
	;; [unrolled: 1-line block ×4, first 2 shown]
	s_waitcnt lgkmcnt(3)
	;;#ASMSTART
	v_dot2_f32_f16 v2, v46, v55, v2
	;;#ASMEND
	;;#ASMSTART
	v_dot2_f32_f16 v2, v47, v56, v2
	;;#ASMEND
	;;#ASMSTART
	v_dot2_f32_f16 v2, v48, v57, v2
	;;#ASMEND
	;;#ASMSTART
	v_dot2_f32_f16 v2, v49, v58, v2
	;;#ASMEND
	s_waitcnt lgkmcnt(2)
	;;#ASMSTART
	v_dot2_f32_f16 v1, v46, v59, v1
	;;#ASMEND
	;;#ASMSTART
	v_dot2_f32_f16 v1, v47, v60, v1
	;;#ASMEND
	;;#ASMSTART
	v_dot2_f32_f16 v1, v48, v61, v1
	;;#ASMEND
	;;#ASMSTART
	v_dot2_f32_f16 v1, v49, v62, v1
	;;#ASMEND
	s_waitcnt lgkmcnt(1)
	;;#ASMSTART
	v_dot2_f32_f16 v3, v46, v63, v3
	;;#ASMEND
	;;#ASMSTART
	v_dot2_f32_f16 v3, v47, v64, v3
	;;#ASMEND
	;;#ASMSTART
	v_dot2_f32_f16 v3, v48, v65, v3
	;;#ASMEND
	;;#ASMSTART
	v_dot2_f32_f16 v3, v49, v66, v3
	;;#ASMEND
	s_waitcnt lgkmcnt(0)
	;;#ASMSTART
	v_dot2_f32_f16 v4, v46, v67, v4
	;;#ASMEND
	;;#ASMSTART
	v_dot2_f32_f16 v4, v47, v68, v4
	;;#ASMEND
	;;#ASMSTART
	v_dot2_f32_f16 v4, v48, v69, v4
	;;#ASMEND
	;;#ASMSTART
	v_dot2_f32_f16 v4, v49, v70, v4
	;;#ASMEND
	ds_read_b128 v[46:49], v31 offset:16
	ds_read_b128 v[55:58], v33 offset:16
	ds_read_b128 v[59:62], v33 offset:160
	ds_read_b128 v[63:66], v33 offset:304
	ds_read_b128 v[67:70], v33 offset:448
	s_waitcnt lgkmcnt(3)
	;;#ASMSTART
	v_dot2_f32_f16 v2, v46, v55, v2
	;;#ASMEND
	;;#ASMSTART
	v_dot2_f32_f16 v2, v47, v56, v2
	;;#ASMEND
	;;#ASMSTART
	v_dot2_f32_f16 v2, v48, v57, v2
	;;#ASMEND
	;;#ASMSTART
	v_dot2_f32_f16 v2, v49, v58, v2
	;;#ASMEND
	s_waitcnt lgkmcnt(2)
	;;#ASMSTART
	v_dot2_f32_f16 v1, v46, v59, v1
	;;#ASMEND
	;;#ASMSTART
	v_dot2_f32_f16 v1, v47, v60, v1
	;;#ASMEND
	;;#ASMSTART
	v_dot2_f32_f16 v1, v48, v61, v1
	;;#ASMEND
	;;#ASMSTART
	v_dot2_f32_f16 v1, v49, v62, v1
	;;#ASMEND
	s_waitcnt lgkmcnt(1)
	;;#ASMSTART
	v_dot2_f32_f16 v3, v46, v63, v3
	;;#ASMEND
	;;#ASMSTART
	v_dot2_f32_f16 v3, v47, v64, v3
	;;#ASMEND
	;;#ASMSTART
	v_dot2_f32_f16 v3, v48, v65, v3
	;;#ASMEND
	;;#ASMSTART
	v_dot2_f32_f16 v3, v49, v66, v3
	;;#ASMEND
	s_waitcnt lgkmcnt(0)
	;;#ASMSTART
	v_dot2_f32_f16 v4, v46, v67, v4
	;;#ASMEND
	;;#ASMSTART
	v_dot2_f32_f16 v4, v47, v68, v4
	;;#ASMEND
	;;#ASMSTART
	v_dot2_f32_f16 v4, v48, v69, v4
	;;#ASMEND
	;;#ASMSTART
	v_dot2_f32_f16 v4, v49, v70, v4
	;;#ASMEND
	ds_read_b128 v[46:49], v31 offset:32
	ds_read_b128 v[55:58], v33 offset:32
	ds_read_b128 v[59:62], v33 offset:176
	ds_read_b128 v[63:66], v33 offset:320
	ds_read_b128 v[67:70], v33 offset:464
	;; [unrolled: 57-line block ×7, first 2 shown]
	s_waitcnt lgkmcnt(3)
	;;#ASMSTART
	v_dot2_f32_f16 v2, v46, v55, v2
	;;#ASMEND
	;;#ASMSTART
	v_dot2_f32_f16 v2, v47, v56, v2
	;;#ASMEND
	;;#ASMSTART
	v_dot2_f32_f16 v2, v48, v57, v2
	;;#ASMEND
	;;#ASMSTART
	v_dot2_f32_f16 v2, v49, v58, v2
	;;#ASMEND
	s_waitcnt lgkmcnt(2)
	;;#ASMSTART
	v_dot2_f32_f16 v1, v46, v59, v1
	;;#ASMEND
	;;#ASMSTART
	v_dot2_f32_f16 v1, v47, v60, v1
	;;#ASMEND
	;;#ASMSTART
	v_dot2_f32_f16 v1, v48, v61, v1
	;;#ASMEND
	;;#ASMSTART
	v_dot2_f32_f16 v1, v49, v62, v1
	;;#ASMEND
	;; [unrolled: 13-line block ×4, first 2 shown]
	ds_read_b128 v[46:49], v31 offset:128
	ds_read_b128 v[55:58], v33 offset:128
	v_add_nc_u32_e32 v67, s15, v5
	ds_read_b128 v[59:62], v33 offset:272
	ds_read_b128 v[63:66], v33 offset:416
	v_ashrrev_i32_e32 v68, 31, v67
	v_lshlrev_b64 v[71:72], 1, v[67:68]
	ds_read_b128 v[67:70], v33 offset:560
	s_waitcnt lgkmcnt(3)
	;;#ASMSTART
	v_dot2_f32_f16 v2, v46, v55, v2
	;;#ASMEND
	;;#ASMSTART
	v_dot2_f32_f16 v2, v47, v56, v2
	;;#ASMEND
	;;#ASMSTART
	v_dot2_f32_f16 v2, v48, v57, v2
	;;#ASMEND
	;;#ASMSTART
	v_dot2_f32_f16 v2, v49, v58, v2
	;;#ASMEND
	s_waitcnt lgkmcnt(2)
	;;#ASMSTART
	v_dot2_f32_f16 v1, v46, v59, v1
	;;#ASMEND
	;;#ASMSTART
	v_dot2_f32_f16 v1, v47, v60, v1
	;;#ASMEND
	v_add_co_u32 v71, s1, s36, v71
	;;#ASMSTART
	v_dot2_f32_f16 v1, v48, v61, v1
	;;#ASMEND
	;;#ASMSTART
	v_dot2_f32_f16 v1, v49, v62, v1
	;;#ASMEND
	s_waitcnt lgkmcnt(1)
	;;#ASMSTART
	v_dot2_f32_f16 v3, v46, v63, v3
	;;#ASMEND
	v_add_co_ci_u32_e64 v72, null, s37, v72, s1
	;;#ASMSTART
	v_dot2_f32_f16 v3, v47, v64, v3
	;;#ASMEND
	;;#ASMSTART
	v_dot2_f32_f16 v3, v48, v65, v3
	;;#ASMEND
	;; [unrolled: 3-line block ×3, first 2 shown]
	s_waitcnt lgkmcnt(0)
	;;#ASMSTART
	v_dot2_f32_f16 v4, v46, v67, v4
	;;#ASMEND
	;;#ASMSTART
	v_dot2_f32_f16 v4, v47, v68, v4
	;;#ASMEND
	;; [unrolled: 3-line block ×4, first 2 shown]
	global_load_ushort v46, v[71:72], off
	v_cmp_gt_i32_e64 s1, 32, v27
	v_max_f32_e32 v48, v50, v50
	v_max_f32_e32 v49, v51, v51
	s_waitcnt vmcnt(0)
	s_barrier
	v_cndmask_b32_e64 v47, v19, v27, s1
	v_cmp_gt_i32_e64 s1, 32, v26
	buffer_gl0_inv
	v_cvt_f32_f16_e32 v46, v46
	v_add_f32_e32 v55, v2, v46
	v_add_f32_e32 v56, v1, v46
	;; [unrolled: 1-line block ×4, first 2 shown]
	v_max_f32_e32 v2, v52, v52
	v_add_f32_e32 v1, 0x40051340, v55
	v_lshlrev_b32_e32 v3, 2, v47
	v_add_f32_e32 v4, 0x40051340, v56
	v_add_f32_e32 v47, 0x40051340, v57
	;; [unrolled: 1-line block ×3, first 2 shown]
	v_max_f32_e32 v1, v48, v1
	v_max_f32_e32 v4, v49, v4
	;; [unrolled: 1-line block ×4, first 2 shown]
	ds_bpermute_b32 v48, v3, v1
	v_cndmask_b32_e64 v58, v19, v26, s1
	ds_bpermute_b32 v49, v3, v4
	ds_bpermute_b32 v53, v3, v47
	;; [unrolled: 1-line block ×3, first 2 shown]
	v_cmp_gt_i32_e64 s1, 32, v25
	v_lshlrev_b32_e32 v58, 2, v58
	s_waitcnt lgkmcnt(3)
	v_max_f32_e32 v48, v48, v48
	s_waitcnt lgkmcnt(2)
	v_max_f32_e32 v49, v49, v49
	s_waitcnt lgkmcnt(1)
	v_max_f32_e32 v53, v53, v53
	s_waitcnt lgkmcnt(0)
	v_max_f32_e32 v3, v3, v3
	v_max_f32_e32 v1, v1, v48
	v_max_f32_e32 v4, v4, v49
	v_max_f32_e32 v47, v47, v53
	v_max_f32_e32 v2, v2, v3
	ds_bpermute_b32 v3, v58, v1
	ds_bpermute_b32 v48, v58, v4
	ds_bpermute_b32 v49, v58, v47
	ds_bpermute_b32 v53, v58, v2
	v_cndmask_b32_e64 v58, v19, v25, s1
	v_cmp_gt_i32_e64 s1, 32, v24
	v_lshlrev_b32_e32 v58, 2, v58
	s_waitcnt lgkmcnt(3)
	v_max_f32_e32 v3, v3, v3
	s_waitcnt lgkmcnt(2)
	v_max_f32_e32 v48, v48, v48
	s_waitcnt lgkmcnt(1)
	v_max_f32_e32 v49, v49, v49
	s_waitcnt lgkmcnt(0)
	v_max_f32_e32 v53, v53, v53
	v_max_f32_e32 v1, v1, v3
	v_max_f32_e32 v3, v4, v48
	v_max_f32_e32 v4, v47, v49
	v_max_f32_e32 v2, v2, v53
	ds_bpermute_b32 v47, v58, v1
	ds_bpermute_b32 v48, v58, v3
	ds_bpermute_b32 v49, v58, v4
	ds_bpermute_b32 v53, v58, v2
	v_cndmask_b32_e64 v58, v19, v24, s1
	;; [unrolled: 19-line block ×3, first 2 shown]
	v_lshlrev_b32_e32 v58, 2, v58
	s_waitcnt lgkmcnt(3)
	v_max_f32_e32 v47, v47, v47
	s_waitcnt lgkmcnt(2)
	v_max_f32_e32 v48, v48, v48
	;; [unrolled: 2-line block ×4, first 2 shown]
	v_max_f32_e32 v1, v1, v47
	v_max_f32_e32 v3, v3, v48
	;; [unrolled: 1-line block ×4, first 2 shown]
	ds_bpermute_b32 v2, v58, v1
	ds_bpermute_b32 v48, v58, v3
	;; [unrolled: 1-line block ×4, first 2 shown]
	s_waitcnt lgkmcnt(3)
	v_max_f32_e32 v2, v2, v2
	s_waitcnt lgkmcnt(2)
	v_max_f32_e32 v48, v48, v48
	;; [unrolled: 2-line block ×4, first 2 shown]
	v_max_f32_e32 v1, v1, v2
	v_max_f32_e32 v2, v3, v48
	v_max_f32_e32 v3, v4, v49
	v_max_f32_e32 v4, v47, v53
	v_sub_f32_e32 v47, v55, v1
	v_sub_f32_e32 v53, v50, v1
	;; [unrolled: 1-line block ×5, first 2 shown]
	v_mul_f32_e32 v48, 0x3fb8aa3b, v47
	v_sub_f32_e32 v46, v46, v4
	v_mul_f32_e32 v55, 0x3fb8aa3b, v49
	v_cmp_ngt_f32_e64 s8, 0xc2ce8ed0, v47
	v_mul_f32_e32 v56, 0x3fb8aa3b, v54
	v_fma_f32 v58, 0x3fb8aa3b, v47, -v48
	v_rndne_f32_e32 v59, v48
	v_fma_f32 v60, 0x3fb8aa3b, v49, -v55
	v_rndne_f32_e32 v61, v55
	v_mul_f32_e32 v57, 0x3fb8aa3b, v46
	v_fmac_f32_e32 v58, 0x32a5705f, v47
	v_sub_f32_e32 v48, v48, v59
	v_fma_f32 v62, 0x3fb8aa3b, v54, -v56
	v_rndne_f32_e32 v63, v56
	v_fmac_f32_e32 v60, 0x32a5705f, v49
	v_sub_f32_e32 v55, v55, v61
	v_add_f32_e32 v48, v48, v58
	v_fma_f32 v64, 0x3fb8aa3b, v46, -v57
	v_rndne_f32_e32 v65, v57
	v_fmac_f32_e32 v62, 0x32a5705f, v54
	v_sub_f32_e32 v56, v56, v63
	v_add_f32_e32 v55, v55, v60
	v_exp_f32_e32 v48, v48
	v_fmac_f32_e32 v64, 0x32a5705f, v46
	v_sub_f32_e32 v57, v57, v65
	v_add_f32_e32 v56, v56, v62
	v_exp_f32_e32 v55, v55
	v_cvt_i32_f32_e32 v58, v59
	v_cvt_i32_f32_e32 v59, v61
	v_add_f32_e32 v57, v57, v64
	v_exp_f32_e32 v56, v56
	v_cvt_i32_f32_e32 v60, v63
	v_ldexp_f32 v48, v48, v58
	v_cvt_i32_f32_e32 v61, v65
	v_exp_f32_e32 v57, v57
	v_sub_f32_e32 v51, v51, v2
	v_ldexp_f32 v55, v55, v59
	v_cndmask_b32_e64 v48, 0, v48, s8
	v_cmp_ngt_f32_e64 s8, 0xc2ce8ed0, v49
	v_sub_f32_e32 v52, v52, v4
	v_ldexp_f32 v56, v56, v60
	v_cmp_ngt_f32_e64 s3, 0xc2ce8ed0, v53
	v_cmp_nlt_f32_e64 s6, 0x42b17218, v53
	v_cndmask_b32_e64 v55, 0, v55, s8
	v_cmp_ngt_f32_e64 s8, 0xc2ce8ed0, v54
	v_ldexp_f32 v57, v57, v61
	v_cmp_ngt_f32_e64 s1, 0xc2ce8ed0, v51
	v_cmp_nlt_f32_e64 s2, 0x42b17218, v51
	v_cmp_nlt_f32_e64 s9, 0x42b17218, v50
	v_cndmask_b32_e64 v56, 0, v56, s8
	v_cmp_ngt_f32_e64 s8, 0xc2ce8ed0, v46
	v_cmp_ngt_f32_e64 s10, 0xc2ce8ed0, v52
	v_cmp_nlt_f32_e64 s11, 0x42b17218, v52
	v_cndmask_b32_e64 v57, 0, v57, s8
	v_cmp_nlt_f32_e64 s8, 0x42b17218, v47
	v_cndmask_b32_e64 v48, 0x7f800000, v48, s8
	v_cmp_nlt_f32_e64 s8, 0x42b17218, v54
	v_cvt_f16_f32_e32 v54, v48
	v_cndmask_b32_e64 v47, 0x7f800000, v56, s8
	v_cmp_nlt_f32_e64 s8, 0x42b17218, v46
	v_cndmask_b32_e64 v46, 0x7f800000, v57, s8
	v_cmp_nlt_f32_e64 s8, 0x42b17218, v49
	v_cvt_f16_f32_e32 v56, v46
	v_cndmask_b32_e64 v49, 0x7f800000, v55, s8
	v_cvt_f16_f32_e32 v55, v47
	v_cmp_ngt_f32_e64 s8, 0xc2ce8ed0, v50
	v_cvt_f16_f32_e32 v57, v49
	v_pack_b32_f16 v55, v55, v56
	v_pack_b32_f16 v54, v54, v57
	ds_write_b64 v39, v[54:55]
	s_and_saveexec_b32 s38, vcc_lo
	s_cbranch_execz .LBB21_15
; %bb.14:                               ;   in Loop: Header=BB21_11 Depth=1
	v_add_co_u32 v54, s12, s31, v10
	v_add_co_ci_u32_e64 v55, null, s35, v11, s12
	global_load_dwordx4 v[54:57], v[54:55], off offset:128
	s_waitcnt vmcnt(0)
	ds_write_b128 v35, v[54:57]
.LBB21_15:                              ;   in Loop: Header=BB21_11 Depth=1
	s_or_b32 exec_lo, exec_lo, s38
	v_add_co_u32 v54, s12, s31, v15
	v_add_co_ci_u32_e64 v55, null, s35, v16, s12
	v_add_co_u32 v54, s12, v54, v38
	v_add_co_ci_u32_e64 v55, null, 0, v55, s12
	global_load_dwordx4 v[54:57], v[54:55], off
	s_waitcnt vmcnt(0)
	ds_write_b128 v36, v[54:57]
	s_waitcnt lgkmcnt(0)
	s_barrier
	buffer_gl0_inv
	ds_read_b128 v[54:57], v34
	ds_read_b128 v[58:61], v34 offset:16
	ds_read_b128 v[62:65], v34 offset:32
	;; [unrolled: 1-line block ×11, first 2 shown]
	s_waitcnt lgkmcnt(11)
	v_mul_u32_u24_sdwa v139, v57, v41 dst_sel:DWORD dst_unused:UNUSED_PAD src0_sel:WORD_0 src1_sel:DWORD
	s_waitcnt lgkmcnt(10)
	v_mul_u32_u24_sdwa v147, v61, v41 dst_sel:DWORD dst_unused:UNUSED_PAD src0_sel:WORD_0 src1_sel:DWORD
	;; [unrolled: 2-line block ×3, first 2 shown]
	v_mul_u32_u24_sdwa v156, v65, v41 dst_sel:DWORD dst_unused:UNUSED_PAD src0_sel:WORD_1 src1_sel:DWORD
	s_waitcnt lgkmcnt(8)
	v_mul_u32_u24_sdwa v157, v66, v41 dst_sel:DWORD dst_unused:UNUSED_PAD src0_sel:WORD_0 src1_sel:DWORD
	v_mul_u32_u24_sdwa v158, v66, v41 dst_sel:DWORD dst_unused:UNUSED_PAD src0_sel:WORD_1 src1_sel:DWORD
	v_mul_u32_u24_sdwa v159, v67, v41 dst_sel:DWORD dst_unused:UNUSED_PAD src0_sel:WORD_0 src1_sel:DWORD
	v_mul_u32_u24_sdwa v160, v67, v41 dst_sel:DWORD dst_unused:UNUSED_PAD src0_sel:WORD_1 src1_sel:DWORD
	s_waitcnt lgkmcnt(7)
	v_mul_u32_u24_sdwa v112, v72, v41 dst_sel:DWORD dst_unused:UNUSED_PAD src0_sel:WORD_0 src1_sel:DWORD
	s_waitcnt lgkmcnt(2)
	v_mul_u32_u24_sdwa v65, v121, v41 dst_sel:DWORD dst_unused:UNUSED_PAD src0_sel:WORD_0 src1_sel:DWORD
	v_mul_u32_u24_sdwa v66, v121, v41 dst_sel:DWORD dst_unused:UNUSED_PAD src0_sel:WORD_1 src1_sel:DWORD
	v_mul_f32_e32 v121, 0x3fb8aa3b, v53
	v_mul_u32_u24_sdwa v109, v72, v41 dst_sel:DWORD dst_unused:UNUSED_PAD src0_sel:WORD_1 src1_sel:DWORD
	v_mul_u32_u24_sdwa v67, v122, v41 dst_sel:DWORD dst_unused:UNUSED_PAD src0_sel:WORD_0 src1_sel:DWORD
	v_mul_u32_u24_sdwa v72, v122, v41 dst_sel:DWORD dst_unused:UNUSED_PAD src0_sel:WORD_1 src1_sel:DWORD
	v_mul_u32_u24_sdwa v148, v61, v41 dst_sel:DWORD dst_unused:UNUSED_PAD src0_sel:WORD_1 src1_sel:DWORD
	v_fma_f32 v122, 0x3fb8aa3b, v53, -v121
	v_mul_u32_u24_sdwa v149, v62, v41 dst_sel:DWORD dst_unused:UNUSED_PAD src0_sel:WORD_0 src1_sel:DWORD
	v_mul_u32_u24_sdwa v150, v62, v41 dst_sel:DWORD dst_unused:UNUSED_PAD src0_sel:WORD_1 src1_sel:DWORD
	v_mul_u32_u24_sdwa v61, v123, v41 dst_sel:DWORD dst_unused:UNUSED_PAD src0_sel:WORD_0 src1_sel:DWORD
	v_mul_u32_u24_sdwa v62, v123, v41 dst_sel:DWORD dst_unused:UNUSED_PAD src0_sel:WORD_1 src1_sel:DWORD
	v_fmac_f32_e32 v122, 0x32a5705f, v53
	v_mul_f32_e32 v53, 0x3fb8aa3b, v51
	v_mul_u32_u24_sdwa v151, v63, v41 dst_sel:DWORD dst_unused:UNUSED_PAD src0_sel:WORD_0 src1_sel:DWORD
	v_mul_u32_u24_sdwa v152, v63, v41 dst_sel:DWORD dst_unused:UNUSED_PAD src0_sel:WORD_1 src1_sel:DWORD
	v_mul_u32_u24_sdwa v120, v68, v41 dst_sel:DWORD dst_unused:UNUSED_PAD src0_sel:WORD_0 src1_sel:DWORD
	v_mul_u32_u24_sdwa v118, v68, v41 dst_sel:DWORD dst_unused:UNUSED_PAD src0_sel:WORD_1 src1_sel:DWORD
	v_fma_f32 v123, 0x3fb8aa3b, v51, -v53
	v_mul_u32_u24_sdwa v63, v124, v41 dst_sel:DWORD dst_unused:UNUSED_PAD src0_sel:WORD_0 src1_sel:DWORD
	v_mul_u32_u24_sdwa v68, v124, v41 dst_sel:DWORD dst_unused:UNUSED_PAD src0_sel:WORD_1 src1_sel:DWORD
	v_mul_u32_u24_sdwa v140, v57, v41 dst_sel:DWORD dst_unused:UNUSED_PAD src0_sel:WORD_1 src1_sel:DWORD
	v_mul_u32_u24_sdwa v141, v58, v41 dst_sel:DWORD dst_unused:UNUSED_PAD src0_sel:WORD_0 src1_sel:DWORD
	v_fmac_f32_e32 v123, 0x32a5705f, v51
	v_mul_f32_e32 v51, 0x3fb8aa3b, v50
	v_mul_u32_u24_sdwa v142, v58, v41 dst_sel:DWORD dst_unused:UNUSED_PAD src0_sel:WORD_1 src1_sel:DWORD
	s_waitcnt lgkmcnt(1)
	v_mul_u32_u24_sdwa v57, v125, v41 dst_sel:DWORD dst_unused:UNUSED_PAD src0_sel:WORD_0 src1_sel:DWORD
	v_mul_u32_u24_sdwa v58, v125, v41 dst_sel:DWORD dst_unused:UNUSED_PAD src0_sel:WORD_1 src1_sel:DWORD
	v_mul_u32_u24_sdwa v133, v54, v41 dst_sel:DWORD dst_unused:UNUSED_PAD src0_sel:WORD_0 src1_sel:DWORD
	v_fma_f32 v124, 0x3fb8aa3b, v50, -v51
	v_mul_u32_u24_sdwa v143, v59, v41 dst_sel:DWORD dst_unused:UNUSED_PAD src0_sel:WORD_0 src1_sel:DWORD
	v_mul_u32_u24_sdwa v144, v59, v41 dst_sel:DWORD dst_unused:UNUSED_PAD src0_sel:WORD_1 src1_sel:DWORD
	v_mul_u32_u24_sdwa v153, v64, v41 dst_sel:DWORD dst_unused:UNUSED_PAD src0_sel:WORD_0 src1_sel:DWORD
	v_mul_u32_u24_sdwa v154, v64, v41 dst_sel:DWORD dst_unused:UNUSED_PAD src0_sel:WORD_1 src1_sel:DWORD
	v_fmac_f32_e32 v124, 0x32a5705f, v50
	v_mul_f32_e32 v50, 0x3fb8aa3b, v52
	v_mul_u32_u24_sdwa v59, v126, v41 dst_sel:DWORD dst_unused:UNUSED_PAD src0_sel:WORD_0 src1_sel:DWORD
	v_mul_u32_u24_sdwa v64, v126, v41 dst_sel:DWORD dst_unused:UNUSED_PAD src0_sel:WORD_1 src1_sel:DWORD
	v_mul_u32_u24_sdwa v134, v54, v41 dst_sel:DWORD dst_unused:UNUSED_PAD src0_sel:WORD_1 src1_sel:DWORD
	v_mul_u32_u24_sdwa v135, v55, v41 dst_sel:DWORD dst_unused:UNUSED_PAD src0_sel:WORD_0 src1_sel:DWORD
	v_fma_f32 v125, 0x3fb8aa3b, v52, -v50
	v_mul_u32_u24_sdwa v136, v55, v41 dst_sel:DWORD dst_unused:UNUSED_PAD src0_sel:WORD_1 src1_sel:DWORD
	v_mul_u32_u24_sdwa v54, v127, v41 dst_sel:DWORD dst_unused:UNUSED_PAD src0_sel:WORD_0 src1_sel:DWORD
	v_mul_u32_u24_sdwa v55, v127, v41 dst_sel:DWORD dst_unused:UNUSED_PAD src0_sel:WORD_1 src1_sel:DWORD
	v_mul_u32_u24_sdwa v137, v56, v41 dst_sel:DWORD dst_unused:UNUSED_PAD src0_sel:WORD_0 src1_sel:DWORD
	v_fmac_f32_e32 v125, 0x32a5705f, v52
	v_rndne_f32_e32 v52, v121
	v_mul_u32_u24_sdwa v138, v56, v41 dst_sel:DWORD dst_unused:UNUSED_PAD src0_sel:WORD_1 src1_sel:DWORD
	v_mul_u32_u24_sdwa v145, v60, v41 dst_sel:DWORD dst_unused:UNUSED_PAD src0_sel:WORD_0 src1_sel:DWORD
	v_mul_u32_u24_sdwa v146, v60, v41 dst_sel:DWORD dst_unused:UNUSED_PAD src0_sel:WORD_1 src1_sel:DWORD
	v_mul_u32_u24_sdwa v56, v128, v41 dst_sel:DWORD dst_unused:UNUSED_PAD src0_sel:WORD_0 src1_sel:DWORD
	v_sub_f32_e32 v121, v121, v52
	v_cvt_i32_f32_e32 v52, v52
	v_mul_u32_u24_sdwa v60, v128, v41 dst_sel:DWORD dst_unused:UNUSED_PAD src0_sel:WORD_1 src1_sel:DWORD
	v_mul_u32_u24_sdwa v117, v69, v41 dst_sel:DWORD dst_unused:UNUSED_PAD src0_sel:WORD_0 src1_sel:DWORD
	v_mul_u32_u24_sdwa v161, v69, v41 dst_sel:DWORD dst_unused:UNUSED_PAD src0_sel:WORD_1 src1_sel:DWORD
	v_add_f32_e32 v121, v121, v122
	v_rndne_f32_e32 v122, v53
	v_mul_u32_u24_sdwa v114, v70, v41 dst_sel:DWORD dst_unused:UNUSED_PAD src0_sel:WORD_0 src1_sel:DWORD
	v_mul_u32_u24_sdwa v115, v70, v41 dst_sel:DWORD dst_unused:UNUSED_PAD src0_sel:WORD_1 src1_sel:DWORD
	v_mul_u32_u24_sdwa v113, v71, v41 dst_sel:DWORD dst_unused:UNUSED_PAD src0_sel:WORD_0 src1_sel:DWORD
	v_exp_f32_e32 v121, v121
	v_sub_f32_e32 v53, v53, v122
	v_mul_u32_u24_sdwa v119, v71, v41 dst_sel:DWORD dst_unused:UNUSED_PAD src0_sel:WORD_1 src1_sel:DWORD
	v_mul_u32_u24_sdwa v110, v73, v41 dst_sel:DWORD dst_unused:UNUSED_PAD src0_sel:WORD_0 src1_sel:DWORD
	v_mul_u32_u24_sdwa v116, v73, v41 dst_sel:DWORD dst_unused:UNUSED_PAD src0_sel:WORD_1 src1_sel:DWORD
	v_mul_u32_u24_sdwa v108, v74, v41 dst_sel:DWORD dst_unused:UNUSED_PAD src0_sel:WORD_0 src1_sel:DWORD
	v_add_f32_e32 v53, v53, v123
	v_rndne_f32_e32 v123, v51
	v_mul_u32_u24_sdwa v105, v74, v41 dst_sel:DWORD dst_unused:UNUSED_PAD src0_sel:WORD_1 src1_sel:DWORD
	v_mul_u32_u24_sdwa v106, v75, v41 dst_sel:DWORD dst_unused:UNUSED_PAD src0_sel:WORD_0 src1_sel:DWORD
	v_ldexp_f32 v52, v121, v52
	v_exp_f32_e32 v53, v53
	v_sub_f32_e32 v51, v51, v123
	v_cvt_i32_f32_e32 v121, v122
	v_mul_u32_u24_sdwa v111, v75, v41 dst_sel:DWORD dst_unused:UNUSED_PAD src0_sel:WORD_1 src1_sel:DWORD
	v_mul_u32_u24_sdwa v104, v76, v41 dst_sel:DWORD dst_unused:UNUSED_PAD src0_sel:WORD_0 src1_sel:DWORD
	v_mul_u32_u24_sdwa v102, v76, v41 dst_sel:DWORD dst_unused:UNUSED_PAD src0_sel:WORD_1 src1_sel:DWORD
	v_add_f32_e32 v51, v51, v124
	v_rndne_f32_e32 v124, v50
	v_mul_u32_u24_sdwa v103, v77, v41 dst_sel:DWORD dst_unused:UNUSED_PAD src0_sel:WORD_0 src1_sel:DWORD
	v_mul_u32_u24_sdwa v107, v77, v41 dst_sel:DWORD dst_unused:UNUSED_PAD src0_sel:WORD_1 src1_sel:DWORD
	v_ldexp_f32 v121, v53, v121
	v_exp_f32_e32 v51, v51
	v_sub_f32_e32 v50, v50, v124
	v_cvt_i32_f32_e32 v53, v123
	v_mul_u32_u24_sdwa v100, v78, v41 dst_sel:DWORD dst_unused:UNUSED_PAD src0_sel:WORD_0 src1_sel:DWORD
	v_cndmask_b32_e64 v121, 0, v121, s1
	v_mul_u32_u24_sdwa v97, v78, v41 dst_sel:DWORD dst_unused:UNUSED_PAD src0_sel:WORD_1 src1_sel:DWORD
	v_add_f32_e32 v50, v50, v125
	v_mul_u32_u24_sdwa v98, v79, v41 dst_sel:DWORD dst_unused:UNUSED_PAD src0_sel:WORD_0 src1_sel:DWORD
	v_mul_u32_u24_sdwa v101, v79, v41 dst_sel:DWORD dst_unused:UNUSED_PAD src0_sel:WORD_1 src1_sel:DWORD
	v_cndmask_b32_e64 v127, 0x7f800000, v121, s2
	v_ldexp_f32 v122, v51, v53
	v_exp_f32_e32 v50, v50
	v_cndmask_b32_e64 v51, 0, v52, s3
	v_cvt_i32_f32_e32 v52, v124
	v_cvt_f16_f32_e32 v121, v127
	v_mul_u32_u24_sdwa v88, v80, v41 dst_sel:DWORD dst_unused:UNUSED_PAD src0_sel:WORD_0 src1_sel:DWORD
	v_mul_u32_u24_sdwa v87, v80, v41 dst_sel:DWORD dst_unused:UNUSED_PAD src0_sel:WORD_1 src1_sel:DWORD
	v_cndmask_b32_e64 v125, 0x7f800000, v51, s6
	v_mul_u32_u24_sdwa v86, v81, v41 dst_sel:DWORD dst_unused:UNUSED_PAD src0_sel:WORD_0 src1_sel:DWORD
	v_mul_u32_u24_sdwa v121, v121, v41 dst_sel:DWORD dst_unused:UNUSED_PAD src0_sel:WORD_0 src1_sel:DWORD
	v_mul_u32_u24_sdwa v99, v81, v41 dst_sel:DWORD dst_unused:UNUSED_PAD src0_sel:WORD_1 src1_sel:DWORD
	v_ldexp_f32 v123, v50, v52
	v_cvt_f16_f32_e32 v50, v125
	v_mul_u32_u24_sdwa v83, v89, v41 dst_sel:DWORD dst_unused:UNUSED_PAD src0_sel:WORD_0 src1_sel:DWORD
	v_pk_mul_f16 v29, v29, v121
	v_mul_u32_u24_sdwa v84, v89, v41 dst_sel:DWORD dst_unused:UNUSED_PAD src0_sel:WORD_1 src1_sel:DWORD
	v_cndmask_b32_e64 v123, 0, v123, s10
	v_mul_u32_u24_sdwa v124, v50, v41 dst_sel:DWORD dst_unused:UNUSED_PAD src0_sel:WORD_0 src1_sel:DWORD
	ds_read2_b64 v[50:53], v12 offset1:18
	v_mul_u32_u24_sdwa v81, v90, v41 dst_sel:DWORD dst_unused:UNUSED_PAD src0_sel:WORD_0 src1_sel:DWORD
	v_mul_u32_u24_sdwa v85, v90, v41 dst_sel:DWORD dst_unused:UNUSED_PAD src0_sel:WORD_1 src1_sel:DWORD
	v_mul_u32_u24_sdwa v77, v91, v41 dst_sel:DWORD dst_unused:UNUSED_PAD src0_sel:WORD_0 src1_sel:DWORD
	v_pk_mul_f16 v40, v40, v124
	v_mul_u32_u24_sdwa v78, v91, v41 dst_sel:DWORD dst_unused:UNUSED_PAD src0_sel:WORD_1 src1_sel:DWORD
	v_mul_u32_u24_sdwa v79, v92, v41 dst_sel:DWORD dst_unused:UNUSED_PAD src0_sel:WORD_0 src1_sel:DWORD
	v_mul_u32_u24_sdwa v82, v92, v41 dst_sel:DWORD dst_unused:UNUSED_PAD src0_sel:WORD_1 src1_sel:DWORD
	v_mul_u32_u24_sdwa v73, v93, v41 dst_sel:DWORD dst_unused:UNUSED_PAD src0_sel:WORD_0 src1_sel:DWORD
	;; [unrolled: 2-line block ×5, first 2 shown]
	v_mul_u32_u24_sdwa v76, v96, v41 dst_sel:DWORD dst_unused:UNUSED_PAD src0_sel:WORD_1 src1_sel:DWORD
	s_waitcnt lgkmcnt(1)
	v_mul_u32_u24_sdwa v89, v129, v41 dst_sel:DWORD dst_unused:UNUSED_PAD src0_sel:WORD_0 src1_sel:DWORD
	v_mul_u32_u24_sdwa v90, v129, v41 dst_sel:DWORD dst_unused:UNUSED_PAD src0_sel:WORD_1 src1_sel:DWORD
	v_mul_u32_u24_sdwa v94, v130, v41 dst_sel:DWORD dst_unused:UNUSED_PAD src0_sel:WORD_0 src1_sel:DWORD
	v_mul_u32_u24_sdwa v96, v130, v41 dst_sel:DWORD dst_unused:UNUSED_PAD src0_sel:WORD_1 src1_sel:DWORD
	s_waitcnt lgkmcnt(0)
	v_pk_mul_f16 v126, v50, v133
	v_pk_fma_f16 v40, v51, v133, v40
	v_pk_fma_f16 v29, v51, v134, v29
	v_mul_u32_u24_sdwa v91, v131, v41 dst_sel:DWORD dst_unused:UNUSED_PAD src0_sel:WORD_0 src1_sel:DWORD
	v_mul_u32_u24_sdwa v92, v131, v41 dst_sel:DWORD dst_unused:UNUSED_PAD src0_sel:WORD_1 src1_sel:DWORD
	v_pk_fma_f16 v37, v37, v124, v126
	v_cndmask_b32_e64 v126, 0x7f800000, v123, s11
	v_mul_u32_u24_sdwa v93, v132, v41 dst_sel:DWORD dst_unused:UNUSED_PAD src0_sel:WORD_0 src1_sel:DWORD
	v_mul_u32_u24_sdwa v95, v132, v41 dst_sel:DWORD dst_unused:UNUSED_PAD src0_sel:WORD_1 src1_sel:DWORD
	v_pk_fma_f16 v40, v53, v137, v40
	v_pk_fma_f16 v29, v53, v138, v29
	v_cvt_f16_f32_e32 v123, v126
	v_pk_fma_f16 v37, v52, v137, v37
	v_fmac_f32_e32 v48, v42, v125
	v_fmac_f32_e32 v49, v43, v127
	;; [unrolled: 1-line block ×3, first 2 shown]
	v_mul_u32_u24_sdwa v123, v123, v41 dst_sel:DWORD dst_unused:UNUSED_PAD src0_sel:WORD_0 src1_sel:DWORD
	v_add_nc_u32_e32 v125, 0x400, v12
	v_add_nc_u32_e32 v126, 0x800, v12
	v_pk_mul_f16 v18, v18, v123
	v_pk_mul_f16 v17, v17, v123
	;; [unrolled: 1-line block ×3, first 2 shown]
	v_pk_fma_f16 v18, v50, v136, v18
	v_pk_fma_f16 v17, v51, v136, v17
	;; [unrolled: 1-line block ×3, first 2 shown]
	v_cndmask_b32_e64 v121, 0, v122, s8
	v_pk_mul_f16 v122, v50, v135
	v_pk_fma_f16 v18, v52, v140, v18
	v_pk_fma_f16 v17, v53, v140, v17
	;; [unrolled: 1-line block ×3, first 2 shown]
	v_cndmask_b32_e64 v128, 0x7f800000, v121, s9
	v_cvt_f16_f32_e32 v121, v128
	v_fmac_f32_e32 v47, v44, v128
	v_mul_u32_u24_sdwa v121, v121, v41 dst_sel:DWORD dst_unused:UNUSED_PAD src0_sel:WORD_0 src1_sel:DWORD
	v_pk_fma_f16 v21, v21, v121, v122
	v_pk_mul_f16 v22, v22, v121
	ds_read_b128 v[121:124], v34 offset:192
	v_pk_fma_f16 v21, v52, v139, v21
	v_pk_fma_f16 v22, v51, v135, v22
	;; [unrolled: 1-line block ×3, first 2 shown]
	ds_read_b128 v[50:53], v34 offset:208
	s_waitcnt lgkmcnt(1)
	v_mul_u32_u24_sdwa v129, v121, v41 dst_sel:DWORD dst_unused:UNUSED_PAD src0_sel:WORD_0 src1_sel:DWORD
	v_mul_u32_u24_sdwa v130, v121, v41 dst_sel:DWORD dst_unused:UNUSED_PAD src0_sel:WORD_1 src1_sel:DWORD
	v_mul_u32_u24_sdwa v131, v122, v41 dst_sel:DWORD dst_unused:UNUSED_PAD src0_sel:WORD_0 src1_sel:DWORD
	v_mul_u32_u24_sdwa v132, v122, v41 dst_sel:DWORD dst_unused:UNUSED_PAD src0_sel:WORD_1 src1_sel:DWORD
	;; [unrolled: 2-line block ×4, first 2 shown]
	ds_read2_b64 v[121:124], v12 offset0:36 offset1:54
	s_waitcnt lgkmcnt(1)
	v_mul_u32_u24_sdwa v137, v50, v41 dst_sel:DWORD dst_unused:UNUSED_PAD src0_sel:WORD_0 src1_sel:DWORD
	v_mul_u32_u24_sdwa v138, v50, v41 dst_sel:DWORD dst_unused:UNUSED_PAD src0_sel:WORD_1 src1_sel:DWORD
	v_mul_u32_u24_sdwa v139, v51, v41 dst_sel:DWORD dst_unused:UNUSED_PAD src0_sel:WORD_0 src1_sel:DWORD
	v_mul_u32_u24_sdwa v140, v51, v41 dst_sel:DWORD dst_unused:UNUSED_PAD src0_sel:WORD_1 src1_sel:DWORD
	s_waitcnt lgkmcnt(0)
	v_pk_fma_f16 v18, v121, v144, v18
	v_pk_fma_f16 v17, v122, v144, v17
	;; [unrolled: 1-line block ×16, first 2 shown]
	v_mul_u32_u24_sdwa v141, v52, v41 dst_sel:DWORD dst_unused:UNUSED_PAD src0_sel:WORD_0 src1_sel:DWORD
	v_mul_u32_u24_sdwa v142, v52, v41 dst_sel:DWORD dst_unused:UNUSED_PAD src0_sel:WORD_1 src1_sel:DWORD
	v_mul_u32_u24_sdwa v143, v53, v41 dst_sel:DWORD dst_unused:UNUSED_PAD src0_sel:WORD_0 src1_sel:DWORD
	v_mul_u32_u24_sdwa v144, v53, v41 dst_sel:DWORD dst_unused:UNUSED_PAD src0_sel:WORD_1 src1_sel:DWORD
	ds_read_b128 v[50:53], v34 offset:224
	ds_read_b128 v[121:124], v34 offset:240
	ds_read2_b64 v[42:45], v12 offset0:72 offset1:90
	s_waitcnt lgkmcnt(2)
	v_mul_u32_u24_sdwa v145, v50, v41 dst_sel:DWORD dst_unused:UNUSED_PAD src0_sel:WORD_0 src1_sel:DWORD
	v_mul_u32_u24_sdwa v146, v50, v41 dst_sel:DWORD dst_unused:UNUSED_PAD src0_sel:WORD_1 src1_sel:DWORD
	s_waitcnt lgkmcnt(0)
	v_pk_fma_f16 v18, v42, v152, v18
	v_pk_fma_f16 v17, v43, v152, v17
	v_pk_fma_f16 v40, v43, v149, v40
	v_pk_fma_f16 v37, v42, v149, v37
	v_pk_fma_f16 v29, v43, v150, v29
	v_pk_fma_f16 v28, v42, v150, v28
	v_pk_fma_f16 v22, v43, v151, v22
	v_pk_fma_f16 v21, v42, v151, v21
	v_pk_fma_f16 v18, v44, v156, v18
	v_pk_fma_f16 v17, v45, v156, v17
	v_pk_fma_f16 v40, v45, v153, v40
	v_pk_fma_f16 v37, v44, v153, v37
	v_pk_fma_f16 v29, v45, v154, v29
	v_pk_fma_f16 v28, v44, v154, v28
	v_pk_fma_f16 v22, v45, v155, v22
	v_pk_fma_f16 v21, v44, v155, v21
	ds_read2_b64 v[42:45], v12 offset0:108 offset1:126
	v_mul_u32_u24_sdwa v147, v51, v41 dst_sel:DWORD dst_unused:UNUSED_PAD src0_sel:WORD_0 src1_sel:DWORD
	v_mul_u32_u24_sdwa v148, v51, v41 dst_sel:DWORD dst_unused:UNUSED_PAD src0_sel:WORD_1 src1_sel:DWORD
	v_mul_u32_u24_sdwa v162, v52, v41 dst_sel:DWORD dst_unused:UNUSED_PAD src0_sel:WORD_0 src1_sel:DWORD
	v_mul_u32_u24_sdwa v163, v52, v41 dst_sel:DWORD dst_unused:UNUSED_PAD src0_sel:WORD_1 src1_sel:DWORD
	;; [unrolled: 2-line block ×3, first 2 shown]
	ds_read2_b64 v[50:53], v12 offset0:144 offset1:162
	v_add_nc_u32_e32 v149, 0xc00, v12
	v_add_nc_u32_e32 v150, 0x1000, v12
	s_waitcnt lgkmcnt(1)
	v_pk_fma_f16 v18, v42, v160, v18
	v_pk_fma_f16 v17, v43, v160, v17
	;; [unrolled: 1-line block ×16, first 2 shown]
	ds_read2_b64 v[42:45], v12 offset0:180 offset1:198
	s_waitcnt lgkmcnt(1)
	v_pk_fma_f16 v18, v50, v119, v18
	v_pk_fma_f16 v17, v51, v119, v17
	;; [unrolled: 1-line block ×6, first 2 shown]
	ds_read2_b64 v[117:120], v12 offset0:216 offset1:234
	v_pk_fma_f16 v22, v51, v113, v22
	v_pk_fma_f16 v21, v50, v113, v21
	;; [unrolled: 1-line block ×10, first 2 shown]
	ds_read2_b64 v[112:115], v125 offset0:124 offset1:142
	ds_read2_b64 v[50:53], v126 offset0:32 offset1:50
	s_waitcnt lgkmcnt(3)
	v_pk_fma_f16 v18, v42, v111, v18
	v_pk_fma_f16 v17, v43, v111, v17
	;; [unrolled: 1-line block ×16, first 2 shown]
	s_waitcnt lgkmcnt(2)
	v_pk_fma_f16 v18, v117, v101, v18
	v_pk_fma_f16 v17, v118, v101, v17
	v_pk_fma_f16 v40, v118, v100, v40
	v_pk_fma_f16 v37, v117, v100, v37
	v_pk_fma_f16 v29, v118, v97, v29
	v_pk_fma_f16 v22, v118, v98, v22
	v_pk_fma_f16 v28, v117, v97, v28
	v_pk_fma_f16 v21, v117, v98, v21
	v_pk_fma_f16 v18, v119, v99, v18
	v_pk_fma_f16 v17, v120, v99, v17
	v_pk_fma_f16 v40, v120, v88, v40
	v_pk_fma_f16 v37, v119, v88, v37
	v_pk_fma_f16 v29, v120, v87, v29
	v_pk_fma_f16 v28, v119, v87, v28
	v_pk_fma_f16 v22, v120, v86, v22
	v_pk_fma_f16 v21, v119, v86, v21
	ds_read2_b64 v[108:111], v126 offset0:68 offset1:86
	s_waitcnt lgkmcnt(2)
	v_pk_fma_f16 v18, v112, v85, v18
	v_pk_fma_f16 v17, v113, v85, v17
	v_pk_fma_f16 v40, v113, v83, v40
	v_pk_fma_f16 v29, v113, v84, v29
	v_pk_fma_f16 v37, v112, v83, v37
	v_pk_fma_f16 v28, v112, v84, v28
	v_pk_fma_f16 v22, v113, v81, v22
	v_pk_fma_f16 v21, v112, v81, v21
	v_pk_fma_f16 v18, v114, v82, v18
	v_pk_fma_f16 v17, v115, v82, v17
	v_pk_fma_f16 v40, v115, v77, v40
	v_pk_fma_f16 v29, v115, v78, v29
	v_pk_fma_f16 v22, v115, v79, v22
	v_pk_fma_f16 v37, v114, v77, v37
	v_pk_fma_f16 v28, v114, v78, v28
	v_pk_fma_f16 v21, v114, v79, v21
	ds_read2_b64 v[104:107], v126 offset0:104 offset1:122
	;; [unrolled: 18-line block ×7, first 2 shown]
	s_waitcnt lgkmcnt(2)
	v_pk_fma_f16 v18, v125, v140, v18
	v_pk_fma_f16 v40, v126, v137, v40
	;; [unrolled: 1-line block ×8, first 2 shown]
	s_waitcnt lgkmcnt(0)
	s_barrier
	buffer_gl0_inv
	s_load_dword s1, s[18:19], 0x4
	v_pk_fma_f16 v18, v127, v144, v18
	v_pk_fma_f16 v40, v128, v141, v40
	;; [unrolled: 1-line block ×16, first 2 shown]
	v_mul_u32_u24_sdwa v88, v121, v41 dst_sel:DWORD dst_unused:UNUSED_PAD src0_sel:WORD_0 src1_sel:DWORD
	v_mul_u32_u24_sdwa v87, v121, v41 dst_sel:DWORD dst_unused:UNUSED_PAD src0_sel:WORD_1 src1_sel:DWORD
	v_mul_u32_u24_sdwa v97, v122, v41 dst_sel:DWORD dst_unused:UNUSED_PAD src0_sel:WORD_0 src1_sel:DWORD
	v_mul_u32_u24_sdwa v98, v122, v41 dst_sel:DWORD dst_unused:UNUSED_PAD src0_sel:WORD_1 src1_sel:DWORD
	v_pk_fma_f16 v18, v118, v165, v18
	v_pk_fma_f16 v40, v119, v162, v40
	;; [unrolled: 1-line block ×8, first 2 shown]
	v_mul_u32_u24_sdwa v99, v123, v41 dst_sel:DWORD dst_unused:UNUSED_PAD src0_sel:WORD_0 src1_sel:DWORD
	v_mul_u32_u24_sdwa v120, v123, v41 dst_sel:DWORD dst_unused:UNUSED_PAD src0_sel:WORD_1 src1_sel:DWORD
	v_mul_u32_u24_sdwa v121, v124, v41 dst_sel:DWORD dst_unused:UNUSED_PAD src0_sel:WORD_0 src1_sel:DWORD
	v_mul_u32_u24_sdwa v122, v124, v41 dst_sel:DWORD dst_unused:UNUSED_PAD src0_sel:WORD_1 src1_sel:DWORD
	v_pk_fma_f16 v18, v83, v98, v18
	v_pk_fma_f16 v40, v84, v88, v40
	;; [unrolled: 1-line block ×8, first 2 shown]
	s_waitcnt lgkmcnt(0)
	s_lshl_b32 s1, s1, 5
	v_pk_fma_f16 v18, v85, v122, v18
	v_pk_fma_f16 v40, v86, v99, v40
	;; [unrolled: 1-line block ×8, first 2 shown]
	s_add_i32 s15, s1, s15
	s_cmp_ge_i32 s15, s34
	s_cbranch_scc1 .LBB21_17
; %bb.16:                               ;   in Loop: Header=BB21_11 Depth=1
	v_mov_b32_e32 v50, v1
	v_mov_b32_e32 v51, v2
	;; [unrolled: 1-line block ×8, first 2 shown]
	s_branch .LBB21_11
.LBB21_17:
	v_mov_b32_e32 v5, v19
.LBB21_18:
	v_cmp_lt_i32_e32 vcc_lo, v27, v20
	s_cmp_lg_u64 s[16:17], 0
	s_cselect_b32 s1, -1, 0
	s_cmp_eq_u32 s7, 0
	v_cndmask_b32_e32 v6, v5, v27, vcc_lo
	v_cmp_lt_i32_e32 vcc_lo, v26, v20
	s_cselect_b32 s2, -1, 0
	s_and_b32 s1, s2, s1
	v_lshlrev_b32_e32 v6, 2, v6
	v_cndmask_b32_e32 v10, v5, v26, vcc_lo
	v_cmp_lt_i32_e32 vcc_lo, v25, v20
	ds_bpermute_b32 v7, v6, v48
	ds_bpermute_b32 v8, v6, v49
	;; [unrolled: 1-line block ×4, first 2 shown]
	v_lshlrev_b32_e32 v10, 2, v10
	v_cndmask_b32_e32 v16, v5, v25, vcc_lo
	v_cmp_lt_i32_e32 vcc_lo, v24, v20
	v_lshlrev_b32_e32 v16, 2, v16
	s_waitcnt lgkmcnt(3)
	v_add_f32_e32 v7, v48, v7
	s_waitcnt lgkmcnt(2)
	v_add_f32_e32 v8, v49, v8
	;; [unrolled: 2-line block ×4, first 2 shown]
	ds_bpermute_b32 v11, v10, v7
	ds_bpermute_b32 v12, v10, v8
	;; [unrolled: 1-line block ×4, first 2 shown]
	s_waitcnt lgkmcnt(3)
	v_add_f32_e32 v7, v7, v11
	s_waitcnt lgkmcnt(2)
	v_add_f32_e32 v8, v8, v12
	;; [unrolled: 2-line block ×4, first 2 shown]
	ds_bpermute_b32 v10, v16, v7
	ds_bpermute_b32 v11, v16, v8
	;; [unrolled: 1-line block ×4, first 2 shown]
	v_cndmask_b32_e32 v16, v5, v24, vcc_lo
	v_cmp_lt_i32_e32 vcc_lo, v23, v20
	v_lshlrev_b32_e32 v16, 2, v16
	v_cndmask_b32_e32 v5, v5, v23, vcc_lo
	s_and_b32 vcc_lo, exec_lo, s1
	v_lshlrev_b32_e32 v5, 2, v5
	s_waitcnt lgkmcnt(3)
	v_add_f32_e32 v7, v7, v10
	s_waitcnt lgkmcnt(2)
	v_add_f32_e32 v8, v8, v11
	;; [unrolled: 2-line block ×4, first 2 shown]
	ds_bpermute_b32 v10, v16, v7
	ds_bpermute_b32 v11, v16, v8
	;; [unrolled: 1-line block ×4, first 2 shown]
	s_waitcnt lgkmcnt(3)
	v_add_f32_e32 v7, v7, v10
	s_waitcnt lgkmcnt(2)
	v_add_f32_e32 v8, v8, v11
	;; [unrolled: 2-line block ×4, first 2 shown]
	ds_bpermute_b32 v6, v5, v7
	ds_bpermute_b32 v11, v5, v8
	;; [unrolled: 1-line block ×4, first 2 shown]
	s_waitcnt lgkmcnt(3)
	v_add_f32_e32 v5, v7, v6
	s_waitcnt lgkmcnt(2)
	v_add_f32_e32 v6, v8, v11
	s_waitcnt lgkmcnt(1)
	v_add_f32_e32 v7, v9, v12
	s_waitcnt lgkmcnt(0)
	v_add_f32_e32 v8, v10, v15
	s_cbranch_vccz .LBB21_21
; %bb.19:
	s_ashr_i32 s15, s14, 31
	v_mov_b32_e32 v9, 0
	s_lshl_b64 s[2:3], s[14:15], 2
	v_max_f32_e32 v15, v1, v1
	s_add_u32 s2, s16, s2
	s_addc_u32 s3, s17, s3
	v_max_f32_e32 v16, v2, v2
	global_load_dwordx4 v[9:12], v9, s[2:3]
	v_max_f32_e32 v19, v3, v3
	v_max_f32_e32 v26, v4, v4
	s_waitcnt vmcnt(0)
	v_max_f32_e32 v20, v9, v9
	v_max_f32_e32 v24, v10, v10
	;; [unrolled: 1-line block ×8, first 2 shown]
	v_mov_b32_e32 v15, 0x10001
	v_sub_f32_e32 v16, v1, v23
	v_sub_f32_e32 v19, v2, v24
	;; [unrolled: 1-line block ×4, first 2 shown]
	v_mov_b32_e32 v1, v23
	v_sub_f32_e32 v9, v9, v23
	v_mov_b32_e32 v2, v24
	v_mov_b32_e32 v3, v25
	;; [unrolled: 1-line block ×3, first 2 shown]
	v_mul_f32_e32 v23, 0x3fb8aa3b, v16
	v_sub_f32_e32 v10, v10, v24
	v_mul_f32_e32 v24, 0x3fb8aa3b, v9
	v_sub_f32_e32 v11, v11, v25
	v_mul_f32_e32 v25, 0x3fb8aa3b, v19
	v_fma_f32 v34, 0x3fb8aa3b, v16, -v23
	v_rndne_f32_e32 v35, v23
	v_fma_f32 v36, 0x3fb8aa3b, v9, -v24
	v_rndne_f32_e32 v38, v24
	v_sub_f32_e32 v12, v12, v26
	v_fmac_f32_e32 v34, 0x32a5705f, v16
	v_sub_f32_e32 v23, v23, v35
	v_mul_f32_e32 v26, 0x3fb8aa3b, v10
	v_fma_f32 v39, 0x3fb8aa3b, v19, -v25
	v_rndne_f32_e32 v41, v25
	v_fmac_f32_e32 v36, 0x32a5705f, v9
	v_sub_f32_e32 v24, v24, v38
	v_add_f32_e32 v23, v23, v34
	v_mul_f32_e32 v30, 0x3fb8aa3b, v20
	v_fma_f32 v42, 0x3fb8aa3b, v10, -v26
	v_rndne_f32_e32 v43, v26
	v_fmac_f32_e32 v39, 0x32a5705f, v19
	v_sub_f32_e32 v25, v25, v41
	v_add_f32_e32 v24, v24, v36
	v_exp_f32_e32 v23, v23
	v_mul_f32_e32 v31, 0x3fb8aa3b, v11
	v_fma_f32 v44, 0x3fb8aa3b, v20, -v30
	v_rndne_f32_e32 v45, v30
	v_cvt_i32_f32_e32 v35, v35
	v_fmac_f32_e32 v42, 0x32a5705f, v10
	v_sub_f32_e32 v26, v26, v43
	v_add_f32_e32 v25, v25, v39
	v_exp_f32_e32 v24, v24
	v_mul_f32_e32 v32, 0x3fb8aa3b, v27
	v_fma_f32 v46, 0x3fb8aa3b, v11, -v31
	v_rndne_f32_e32 v47, v31
	v_cvt_i32_f32_e32 v38, v38
	v_fmac_f32_e32 v44, 0x32a5705f, v20
	v_sub_f32_e32 v30, v30, v45
	v_add_f32_e32 v26, v26, v42
	v_exp_f32_e32 v25, v25
	v_ldexp_f32 v23, v23, v35
	v_cmp_ngt_f32_e32 vcc_lo, 0xc2ce8ed0, v16
	v_mul_f32_e32 v33, 0x3fb8aa3b, v12
	v_fma_f32 v48, 0x3fb8aa3b, v27, -v32
	v_rndne_f32_e32 v49, v32
	v_cvt_i32_f32_e32 v41, v41
	v_fmac_f32_e32 v46, 0x32a5705f, v11
	v_sub_f32_e32 v31, v31, v47
	v_add_f32_e32 v30, v30, v44
	v_exp_f32_e32 v26, v26
	v_ldexp_f32 v24, v24, v38
	v_cndmask_b32_e32 v23, 0, v23, vcc_lo
	v_cmp_ngt_f32_e32 vcc_lo, 0xc2ce8ed0, v9
	v_fma_f32 v50, 0x3fb8aa3b, v12, -v33
	v_rndne_f32_e32 v51, v33
	v_cvt_i32_f32_e32 v43, v43
	v_fmac_f32_e32 v48, 0x32a5705f, v27
	v_sub_f32_e32 v32, v32, v49
	v_add_f32_e32 v31, v31, v46
	v_exp_f32_e32 v30, v30
	v_ldexp_f32 v25, v25, v41
	v_cndmask_b32_e32 v24, 0, v24, vcc_lo
	v_cmp_ngt_f32_e32 vcc_lo, 0xc2ce8ed0, v19
	v_cvt_i32_f32_e32 v45, v45
	v_fmac_f32_e32 v50, 0x32a5705f, v12
	v_sub_f32_e32 v33, v33, v51
	v_add_f32_e32 v32, v32, v48
	v_exp_f32_e32 v31, v31
	v_ldexp_f32 v26, v26, v43
	v_cndmask_b32_e32 v25, 0, v25, vcc_lo
	v_cmp_ngt_f32_e32 vcc_lo, 0xc2ce8ed0, v10
	v_cvt_i32_f32_e32 v47, v47
	v_add_f32_e32 v33, v33, v50
	v_exp_f32_e32 v32, v32
	v_ldexp_f32 v30, v30, v45
	v_cndmask_b32_e32 v26, 0, v26, vcc_lo
	v_cmp_ngt_f32_e32 vcc_lo, 0xc2ce8ed0, v20
	v_exp_f32_e32 v33, v33
	v_cvt_i32_f32_e32 v34, v49
	v_ldexp_f32 v31, v31, v47
	v_cvt_i32_f32_e32 v36, v51
	v_cndmask_b32_e32 v30, 0, v30, vcc_lo
	v_cmp_ngt_f32_e32 vcc_lo, 0xc2ce8ed0, v11
	v_ldexp_f32 v32, v32, v34
	v_cndmask_b32_e32 v31, 0, v31, vcc_lo
	v_cmp_ngt_f32_e32 vcc_lo, 0xc2ce8ed0, v27
	v_ldexp_f32 v33, v33, v36
	v_cndmask_b32_e32 v32, 0, v32, vcc_lo
	v_cmp_ngt_f32_e32 vcc_lo, 0xc2ce8ed0, v12
	v_cndmask_b32_e32 v33, 0, v33, vcc_lo
	v_cmp_nlt_f32_e32 vcc_lo, 0x42b17218, v16
	v_cndmask_b32_e32 v16, 0x7f800000, v23, vcc_lo
	v_cmp_nlt_f32_e32 vcc_lo, 0x42b17218, v9
	v_cndmask_b32_e32 v9, 0x7f800000, v24, vcc_lo
	v_cmp_nlt_f32_e32 vcc_lo, 0x42b17218, v19
	v_fmac_f32_e32 v9, v5, v16
	v_cndmask_b32_e32 v19, 0x7f800000, v25, vcc_lo
	v_cmp_nlt_f32_e32 vcc_lo, 0x42b17218, v10
	v_cvt_f16_f32_e32 v5, v16
	v_cndmask_b32_e32 v10, 0x7f800000, v26, vcc_lo
	v_cmp_nlt_f32_e32 vcc_lo, 0x42b17218, v20
	v_fmac_f32_e32 v10, v6, v19
	v_cndmask_b32_e32 v20, 0x7f800000, v30, vcc_lo
	v_cmp_nlt_f32_e32 vcc_lo, 0x42b17218, v11
	v_cvt_f16_f32_e32 v6, v19
	v_cndmask_b32_e32 v11, 0x7f800000, v31, vcc_lo
	v_cmp_nlt_f32_e32 vcc_lo, 0x42b17218, v27
	v_mul_u32_u24_sdwa v19, v6, v15 dst_sel:DWORD dst_unused:UNUSED_PAD src0_sel:WORD_0 src1_sel:DWORD
	v_mov_b32_e32 v6, v10
	v_fmac_f32_e32 v11, v7, v20
	v_cndmask_b32_e32 v23, 0x7f800000, v32, vcc_lo
	v_cmp_nlt_f32_e32 vcc_lo, 0x42b17218, v12
	v_cvt_f16_f32_e32 v7, v20
	v_pk_mul_f16 v28, v28, v19
	v_pk_mul_f16 v29, v29, v19
	v_cvt_f16_f32_e32 v16, v23
	v_cndmask_b32_e32 v12, 0x7f800000, v33, vcc_lo
	v_mul_u32_u24_sdwa v20, v7, v15 dst_sel:DWORD dst_unused:UNUSED_PAD src0_sel:WORD_0 src1_sel:DWORD
	v_mov_b32_e32 v7, v11
	v_fmac_f32_e32 v12, v8, v23
	v_mul_u32_u24_sdwa v8, v5, v15 dst_sel:DWORD dst_unused:UNUSED_PAD src0_sel:WORD_0 src1_sel:DWORD
	v_mul_u32_u24_sdwa v15, v16, v15 dst_sel:DWORD dst_unused:UNUSED_PAD src0_sel:WORD_0 src1_sel:DWORD
	v_mov_b32_e32 v5, v9
	v_pk_mul_f16 v21, v21, v20
	v_pk_mul_f16 v22, v22, v20
	;; [unrolled: 1-line block ×6, first 2 shown]
	v_mov_b32_e32 v8, v12
	s_mov_b32 s1, exec_lo
	v_cmpx_gt_i32_e64 s26, v14
	s_cbranch_execnz .LBB21_22
.LBB21_20:
	s_endpgm
.LBB21_21:
	v_mov_b32_e32 v12, v8
	v_mov_b32_e32 v11, v7
	;; [unrolled: 1-line block ×4, first 2 shown]
	s_mov_b32 s1, exec_lo
	v_cmpx_gt_i32_e64 s26, v14
	s_cbranch_execz .LBB21_20
.LBB21_22:
	s_load_dword s1, s[4:5], 0xd4
	v_mov_b32_e32 v15, 1.0
	s_waitcnt lgkmcnt(0)
	s_cmp_lg_u32 s1, 1
	s_cselect_b32 s2, -1, 0
	s_cmp_eq_u32 s1, 1
	s_cselect_b32 s3, -1, 0
	s_and_b32 vcc_lo, exec_lo, s2
	s_cbranch_vccnz .LBB21_24
; %bb.23:
	v_div_scale_f32 v15, null, v5, v5, 1.0
	v_rcp_f32_e32 v16, v15
	v_fma_f32 v19, -v15, v16, 1.0
	v_fmac_f32_e32 v16, v19, v16
	v_div_scale_f32 v19, vcc_lo, 1.0, v5, 1.0
	v_mul_f32_e32 v20, v19, v16
	v_fma_f32 v23, -v15, v20, v19
	v_fmac_f32_e32 v20, v23, v16
	v_fma_f32 v15, -v15, v20, v19
	v_div_fmas_f32 v15, v15, v16, v20
	v_div_fixup_f32 v15, v15, v5, 1.0
.LBB21_24:
	v_mad_u64_u32 v[19:20], null, s33, s26, v[14:15]
	v_mad_u64_u32 v[19:20], null, v19, s27, s[14:15]
	v_mul_lo_u32 v16, s1, v19
	v_add_nc_u32_e32 v14, s7, v16
	s_and_saveexec_b32 s4, s0
	s_cbranch_execz .LBB21_26
; %bb.25:
	v_mad_u64_u32 v[19:20], null, 0x48, v14, v[13:14]
	v_mov_b32_e32 v20, 0
	v_cvt_f32_f16_sdwa v5, v40 dst_sel:DWORD dst_unused:UNUSED_PAD src0_sel:WORD_1
	v_cvt_f32_f16_e32 v23, v40
	v_cvt_f32_f16_sdwa v24, v37 dst_sel:DWORD dst_unused:UNUSED_PAD src0_sel:WORD_1
	v_cvt_f32_f16_e32 v27, v37
	v_mul_f32_e32 v26, v15, v5
	v_lshlrev_b64 v[19:20], 2, v[19:20]
	v_mul_f32_e32 v25, v15, v23
	v_mul_f32_e32 v24, v15, v24
	;; [unrolled: 1-line block ×3, first 2 shown]
	v_add_co_u32 v19, vcc_lo, s20, v19
	v_add_co_ci_u32_e64 v20, null, s21, v20, vcc_lo
	global_store_dwordx4 v[19:20], v[23:26], off
.LBB21_26:
	s_or_b32 exec_lo, exec_lo, s4
	v_cmp_eq_u32_e32 vcc_lo, 0, v0
	s_and_b32 s2, vcc_lo, s2
	s_and_saveexec_b32 s4, s2
	s_cbranch_execz .LBB21_28
; %bb.27:
	v_ashrrev_i32_e32 v15, 31, v14
	v_mov_b32_e32 v0, v1
	v_mov_b32_e32 v1, v9
	v_lshlrev_b64 v[14:15], 3, v[14:15]
	v_add_co_u32 v14, vcc_lo, s22, v14
	v_add_co_ci_u32_e64 v15, null, s23, v15, vcc_lo
	global_store_dwordx2 v[14:15], v[0:1], off
.LBB21_28:
	s_or_b32 exec_lo, exec_lo, s4
	v_cndmask_b32_e64 v5, 0, 1, s3
	v_mov_b32_e32 v1, 1.0
	s_andn2_b32 vcc_lo, exec_lo, s3
	s_cbranch_vccz .LBB21_39
; %bb.29:
	v_add_nc_u32_e32 v6, s1, v16
	v_add_nc_u32_e32 v0, s7, v6
	s_and_saveexec_b32 s3, s0
	s_cbranch_execnz .LBB21_40
.LBB21_30:
	s_or_b32 exec_lo, exec_lo, s3
	s_and_saveexec_b32 s3, s2
	s_cbranch_execz .LBB21_32
.LBB21_31:
	v_ashrrev_i32_e32 v1, 31, v0
	v_mov_b32_e32 v9, v2
	v_lshlrev_b64 v[0:1], 3, v[0:1]
	v_add_co_u32 v0, vcc_lo, s22, v0
	v_add_co_ci_u32_e64 v1, null, s23, v1, vcc_lo
	global_store_dwordx2 v[0:1], v[9:10], off
.LBB21_32:
	s_or_b32 exec_lo, exec_lo, s3
	v_cmp_ne_u32_e32 vcc_lo, 1, v5
	v_mov_b32_e32 v1, 1.0
	s_cbranch_vccz .LBB21_41
; %bb.33:
	v_add_nc_u32_e32 v2, s1, v6
	v_add_nc_u32_e32 v0, s7, v2
	s_and_saveexec_b32 s3, s0
	s_cbranch_execnz .LBB21_42
.LBB21_34:
	s_or_b32 exec_lo, exec_lo, s3
	s_and_saveexec_b32 s3, s2
	s_cbranch_execz .LBB21_36
.LBB21_35:
	v_ashrrev_i32_e32 v1, 31, v0
	v_mov_b32_e32 v10, v3
	v_lshlrev_b64 v[0:1], 3, v[0:1]
	v_add_co_u32 v0, vcc_lo, s22, v0
	v_add_co_ci_u32_e64 v1, null, s23, v1, vcc_lo
	global_store_dwordx2 v[0:1], v[10:11], off
.LBB21_36:
	s_or_b32 exec_lo, exec_lo, s3
	v_cmp_ne_u32_e32 vcc_lo, 1, v5
	v_mov_b32_e32 v1, 1.0
	s_cbranch_vccz .LBB21_43
; %bb.37:
	v_add3_u32 v0, s7, s1, v2
	s_and_saveexec_b32 s1, s0
	s_cbranch_execnz .LBB21_44
.LBB21_38:
	s_or_b32 exec_lo, exec_lo, s1
	s_and_b32 exec_lo, exec_lo, s2
	s_cbranch_execz .LBB21_20
	s_branch .LBB21_45
.LBB21_39:
	v_div_scale_f32 v0, null, v6, v6, 1.0
	v_rcp_f32_e32 v1, v0
	v_fma_f32 v9, -v0, v1, 1.0
	v_fmac_f32_e32 v1, v9, v1
	v_div_scale_f32 v9, vcc_lo, 1.0, v6, 1.0
	v_mul_f32_e32 v14, v9, v1
	v_fma_f32 v15, -v0, v14, v9
	v_fmac_f32_e32 v14, v15, v1
	v_fma_f32 v0, -v0, v14, v9
	v_div_fmas_f32 v0, v0, v1, v14
	v_div_fixup_f32 v1, v0, v6, 1.0
	v_add_nc_u32_e32 v6, s1, v16
	v_add_nc_u32_e32 v0, s7, v6
	s_and_saveexec_b32 s3, s0
	s_cbranch_execz .LBB21_30
.LBB21_40:
	v_mad_u64_u32 v[14:15], null, 0x48, v0, v[13:14]
	v_mov_b32_e32 v15, 0
	v_cvt_f32_f16_sdwa v9, v29 dst_sel:DWORD dst_unused:UNUSED_PAD src0_sel:WORD_1
	v_cvt_f32_f16_e32 v16, v29
	v_cvt_f32_f16_sdwa v19, v28 dst_sel:DWORD dst_unused:UNUSED_PAD src0_sel:WORD_1
	v_cvt_f32_f16_e32 v20, v28
	v_mul_f32_e32 v26, v1, v9
	v_lshlrev_b64 v[14:15], 2, v[14:15]
	v_mul_f32_e32 v25, v1, v16
	v_mul_f32_e32 v24, v1, v19
	;; [unrolled: 1-line block ×3, first 2 shown]
	v_add_co_u32 v14, vcc_lo, s20, v14
	v_add_co_ci_u32_e64 v15, null, s21, v15, vcc_lo
	global_store_dwordx4 v[14:15], v[23:26], off
	s_or_b32 exec_lo, exec_lo, s3
	s_and_saveexec_b32 s3, s2
	s_cbranch_execnz .LBB21_31
	s_branch .LBB21_32
.LBB21_41:
	v_div_scale_f32 v0, null, v7, v7, 1.0
	v_rcp_f32_e32 v1, v0
	v_fma_f32 v2, -v0, v1, 1.0
	v_fmac_f32_e32 v1, v2, v1
	v_div_scale_f32 v2, vcc_lo, 1.0, v7, 1.0
	v_mul_f32_e32 v9, v2, v1
	v_fma_f32 v10, -v0, v9, v2
	v_fmac_f32_e32 v9, v10, v1
	v_fma_f32 v0, -v0, v9, v2
	v_div_fmas_f32 v0, v0, v1, v9
	v_div_fixup_f32 v1, v0, v7, 1.0
	v_add_nc_u32_e32 v2, s1, v6
	v_add_nc_u32_e32 v0, s7, v2
	s_and_saveexec_b32 s3, s0
	s_cbranch_execz .LBB21_34
.LBB21_42:
	v_mad_u64_u32 v[6:7], null, 0x48, v0, v[13:14]
	v_mov_b32_e32 v7, 0
	v_cvt_f32_f16_sdwa v9, v22 dst_sel:DWORD dst_unused:UNUSED_PAD src0_sel:WORD_1
	v_cvt_f32_f16_e32 v10, v22
	v_cvt_f32_f16_sdwa v14, v21 dst_sel:DWORD dst_unused:UNUSED_PAD src0_sel:WORD_1
	v_cvt_f32_f16_e32 v15, v21
	v_mul_f32_e32 v22, v1, v9
	v_lshlrev_b64 v[6:7], 2, v[6:7]
	v_mul_f32_e32 v21, v1, v10
	v_mul_f32_e32 v20, v1, v14
	;; [unrolled: 1-line block ×3, first 2 shown]
	v_add_co_u32 v6, vcc_lo, s20, v6
	v_add_co_ci_u32_e64 v7, null, s21, v7, vcc_lo
	global_store_dwordx4 v[6:7], v[19:22], off
	s_or_b32 exec_lo, exec_lo, s3
	s_and_saveexec_b32 s3, s2
	s_cbranch_execnz .LBB21_35
	s_branch .LBB21_36
.LBB21_43:
	v_div_scale_f32 v0, null, v8, v8, 1.0
	v_rcp_f32_e32 v1, v0
	v_fma_f32 v3, -v0, v1, 1.0
	v_fmac_f32_e32 v1, v3, v1
	v_div_scale_f32 v3, vcc_lo, 1.0, v8, 1.0
	v_mul_f32_e32 v5, v3, v1
	v_fma_f32 v6, -v0, v5, v3
	v_fmac_f32_e32 v5, v6, v1
	v_fma_f32 v0, -v0, v5, v3
	v_div_fmas_f32 v0, v0, v1, v5
	v_div_fixup_f32 v1, v0, v8, 1.0
	v_add3_u32 v0, s7, s1, v2
	s_and_saveexec_b32 s1, s0
	s_cbranch_execz .LBB21_38
.LBB21_44:
	v_mad_u64_u32 v[2:3], null, 0x48, v0, v[13:14]
	v_mov_b32_e32 v3, 0
	v_cvt_f32_f16_sdwa v5, v17 dst_sel:DWORD dst_unused:UNUSED_PAD src0_sel:WORD_1
	v_cvt_f32_f16_e32 v6, v17
	v_cvt_f32_f16_sdwa v9, v18 dst_sel:DWORD dst_unused:UNUSED_PAD src0_sel:WORD_1
	v_cvt_f32_f16_e32 v10, v18
	v_mul_f32_e32 v8, v1, v5
	v_lshlrev_b64 v[2:3], 2, v[2:3]
	v_mul_f32_e32 v7, v1, v6
	v_mul_f32_e32 v6, v1, v9
	;; [unrolled: 1-line block ×3, first 2 shown]
	v_add_co_u32 v2, vcc_lo, s20, v2
	v_add_co_ci_u32_e64 v3, null, s21, v3, vcc_lo
	global_store_dwordx4 v[2:3], v[5:8], off
	s_or_b32 exec_lo, exec_lo, s1
	s_and_b32 exec_lo, exec_lo, s2
	s_cbranch_execz .LBB21_20
.LBB21_45:
	v_ashrrev_i32_e32 v1, 31, v0
	v_mov_b32_e32 v11, v4
	v_lshlrev_b64 v[0:1], 3, v[0:1]
	v_add_co_u32 v0, vcc_lo, s22, v0
	v_add_co_ci_u32_e64 v1, null, s23, v1, vcc_lo
	global_store_dwordx2 v[0:1], v[11:12], off
	s_endpgm
	.section	.rodata,"a",@progbits
	.p2align	6, 0x0
	.amdhsa_kernel _ZL15flash_attn_tileILi72ELi72ELi8ELi4ELb0EEvPKcS1_S1_S1_S1_PKiPfP15HIP_vector_typeIfLj2EEffffjfiS5_IjLj3EEiiiiiiiiiiiliiliiiiil
		.amdhsa_group_segment_fixed_size 12000
		.amdhsa_private_segment_fixed_size 0
		.amdhsa_kernarg_size 464
		.amdhsa_user_sgpr_count 6
		.amdhsa_user_sgpr_private_segment_buffer 1
		.amdhsa_user_sgpr_dispatch_ptr 0
		.amdhsa_user_sgpr_queue_ptr 0
		.amdhsa_user_sgpr_kernarg_segment_ptr 1
		.amdhsa_user_sgpr_dispatch_id 0
		.amdhsa_user_sgpr_flat_scratch_init 0
		.amdhsa_user_sgpr_private_segment_size 0
		.amdhsa_wavefront_size32 1
		.amdhsa_uses_dynamic_stack 0
		.amdhsa_system_sgpr_private_segment_wavefront_offset 0
		.amdhsa_system_sgpr_workgroup_id_x 1
		.amdhsa_system_sgpr_workgroup_id_y 1
		.amdhsa_system_sgpr_workgroup_id_z 1
		.amdhsa_system_sgpr_workgroup_info 0
		.amdhsa_system_vgpr_workitem_id 1
		.amdhsa_next_free_vgpr 166
		.amdhsa_next_free_sgpr 41
		.amdhsa_reserve_vcc 1
		.amdhsa_reserve_flat_scratch 0
		.amdhsa_float_round_mode_32 0
		.amdhsa_float_round_mode_16_64 0
		.amdhsa_float_denorm_mode_32 3
		.amdhsa_float_denorm_mode_16_64 3
		.amdhsa_dx10_clamp 1
		.amdhsa_ieee_mode 1
		.amdhsa_fp16_overflow 0
		.amdhsa_workgroup_processor_mode 1
		.amdhsa_memory_ordered 1
		.amdhsa_forward_progress 1
		.amdhsa_shared_vgpr_count 0
		.amdhsa_exception_fp_ieee_invalid_op 0
		.amdhsa_exception_fp_denorm_src 0
		.amdhsa_exception_fp_ieee_div_zero 0
		.amdhsa_exception_fp_ieee_overflow 0
		.amdhsa_exception_fp_ieee_underflow 0
		.amdhsa_exception_fp_ieee_inexact 0
		.amdhsa_exception_int_div_zero 0
	.end_amdhsa_kernel
	.section	.text._ZL15flash_attn_tileILi72ELi72ELi8ELi4ELb0EEvPKcS1_S1_S1_S1_PKiPfP15HIP_vector_typeIfLj2EEffffjfiS5_IjLj3EEiiiiiiiiiiiliiliiiiil,"axG",@progbits,_ZL15flash_attn_tileILi72ELi72ELi8ELi4ELb0EEvPKcS1_S1_S1_S1_PKiPfP15HIP_vector_typeIfLj2EEffffjfiS5_IjLj3EEiiiiiiiiiiiliiliiiiil,comdat
.Lfunc_end21:
	.size	_ZL15flash_attn_tileILi72ELi72ELi8ELi4ELb0EEvPKcS1_S1_S1_S1_PKiPfP15HIP_vector_typeIfLj2EEffffjfiS5_IjLj3EEiiiiiiiiiiiliiliiiiil, .Lfunc_end21-_ZL15flash_attn_tileILi72ELi72ELi8ELi4ELb0EEvPKcS1_S1_S1_S1_PKiPfP15HIP_vector_typeIfLj2EEffffjfiS5_IjLj3EEiiiiiiiiiiiliiliiiiil
                                        ; -- End function
	.set _ZL15flash_attn_tileILi72ELi72ELi8ELi4ELb0EEvPKcS1_S1_S1_S1_PKiPfP15HIP_vector_typeIfLj2EEffffjfiS5_IjLj3EEiiiiiiiiiiiliiliiiiil.num_vgpr, 166
	.set _ZL15flash_attn_tileILi72ELi72ELi8ELi4ELb0EEvPKcS1_S1_S1_S1_PKiPfP15HIP_vector_typeIfLj2EEffffjfiS5_IjLj3EEiiiiiiiiiiiliiliiiiil.num_agpr, 0
	.set _ZL15flash_attn_tileILi72ELi72ELi8ELi4ELb0EEvPKcS1_S1_S1_S1_PKiPfP15HIP_vector_typeIfLj2EEffffjfiS5_IjLj3EEiiiiiiiiiiiliiliiiiil.numbered_sgpr, 41
	.set _ZL15flash_attn_tileILi72ELi72ELi8ELi4ELb0EEvPKcS1_S1_S1_S1_PKiPfP15HIP_vector_typeIfLj2EEffffjfiS5_IjLj3EEiiiiiiiiiiiliiliiiiil.num_named_barrier, 0
	.set _ZL15flash_attn_tileILi72ELi72ELi8ELi4ELb0EEvPKcS1_S1_S1_S1_PKiPfP15HIP_vector_typeIfLj2EEffffjfiS5_IjLj3EEiiiiiiiiiiiliiliiiiil.private_seg_size, 0
	.set _ZL15flash_attn_tileILi72ELi72ELi8ELi4ELb0EEvPKcS1_S1_S1_S1_PKiPfP15HIP_vector_typeIfLj2EEffffjfiS5_IjLj3EEiiiiiiiiiiiliiliiiiil.uses_vcc, 1
	.set _ZL15flash_attn_tileILi72ELi72ELi8ELi4ELb0EEvPKcS1_S1_S1_S1_PKiPfP15HIP_vector_typeIfLj2EEffffjfiS5_IjLj3EEiiiiiiiiiiiliiliiiiil.uses_flat_scratch, 0
	.set _ZL15flash_attn_tileILi72ELi72ELi8ELi4ELb0EEvPKcS1_S1_S1_S1_PKiPfP15HIP_vector_typeIfLj2EEffffjfiS5_IjLj3EEiiiiiiiiiiiliiliiiiil.has_dyn_sized_stack, 0
	.set _ZL15flash_attn_tileILi72ELi72ELi8ELi4ELb0EEvPKcS1_S1_S1_S1_PKiPfP15HIP_vector_typeIfLj2EEffffjfiS5_IjLj3EEiiiiiiiiiiiliiliiiiil.has_recursion, 0
	.set _ZL15flash_attn_tileILi72ELi72ELi8ELi4ELb0EEvPKcS1_S1_S1_S1_PKiPfP15HIP_vector_typeIfLj2EEffffjfiS5_IjLj3EEiiiiiiiiiiiliiliiiiil.has_indirect_call, 0
	.section	.AMDGPU.csdata,"",@progbits
; Kernel info:
; codeLenInByte = 13296
; TotalNumSgprs: 43
; NumVgprs: 166
; ScratchSize: 0
; MemoryBound: 0
; FloatMode: 240
; IeeeMode: 1
; LDSByteSize: 12000 bytes/workgroup (compile time only)
; SGPRBlocks: 0
; VGPRBlocks: 20
; NumSGPRsForWavesPerEU: 43
; NumVGPRsForWavesPerEU: 166
; Occupancy: 5
; WaveLimiterHint : 1
; COMPUTE_PGM_RSRC2:SCRATCH_EN: 0
; COMPUTE_PGM_RSRC2:USER_SGPR: 6
; COMPUTE_PGM_RSRC2:TRAP_HANDLER: 0
; COMPUTE_PGM_RSRC2:TGID_X_EN: 1
; COMPUTE_PGM_RSRC2:TGID_Y_EN: 1
; COMPUTE_PGM_RSRC2:TGID_Z_EN: 1
; COMPUTE_PGM_RSRC2:TIDIG_COMP_CNT: 1
	.section	.text._ZL33flash_attn_stream_k_fixup_uniformILi72ELi8ELi4EEvPfPK15HIP_vector_typeIfLj2EEiiiiiiS1_IjLj3EES5_S5_,"axG",@progbits,_ZL33flash_attn_stream_k_fixup_uniformILi72ELi8ELi4EEvPfPK15HIP_vector_typeIfLj2EEiiiiiiS1_IjLj3EES5_S5_,comdat
	.globl	_ZL33flash_attn_stream_k_fixup_uniformILi72ELi8ELi4EEvPfPK15HIP_vector_typeIfLj2EEiiiiiiS1_IjLj3EES5_S5_ ; -- Begin function _ZL33flash_attn_stream_k_fixup_uniformILi72ELi8ELi4EEvPfPK15HIP_vector_typeIfLj2EEiiiiiiS1_IjLj3EES5_S5_
	.p2align	8
	.type	_ZL33flash_attn_stream_k_fixup_uniformILi72ELi8ELi4EEvPfPK15HIP_vector_typeIfLj2EEiiiiiiS1_IjLj3EES5_S5_,@function
_ZL33flash_attn_stream_k_fixup_uniformILi72ELi8ELi4EEvPfPK15HIP_vector_typeIfLj2EEiiiiiiS1_IjLj3EES5_S5_: ; @_ZL33flash_attn_stream_k_fixup_uniformILi72ELi8ELi4EEvPfPK15HIP_vector_typeIfLj2EEiiiiiiS1_IjLj3EES5_S5_
; %bb.0:
	s_clause 0x2
	s_load_dwordx8 s[12:19], s[4:5], 0x1c
	s_load_dwordx4 s[20:23], s[4:5], 0x3c
	s_load_dwordx2 s[10:11], s[4:5], 0x10
	s_waitcnt lgkmcnt(0)
	s_mul_hi_u32 s0, s15, s6
	s_add_i32 s0, s6, s0
	s_lshr_b32 s0, s0, s16
	s_mul_i32 s1, s0, s17
	s_sub_i32 s1, s6, s1
	s_mul_hi_u32 s2, s1, s18
	s_add_i32 s2, s1, s2
	s_lshr_b32 s9, s2, s19
	s_mul_i32 s2, s9, s20
	s_sub_i32 s1, s1, s2
	s_mul_hi_u32 s2, s1, s21
	s_add_i32 s2, s1, s2
	s_lshr_b32 s2, s2, s22
	s_mul_i32 s3, s2, s23
	s_lshl_b32 s16, s2, 2
	s_sub_i32 s15, s1, s3
	s_lshl_b32 s1, s15, 3
	s_add_i32 s1, s1, s7
	s_cmp_lt_i32 s1, s10
	s_cselect_b32 s1, -1, 0
	s_add_i32 s16, s16, s8
	s_cmp_lt_i32 s16, s13
	s_cselect_b32 s2, -1, 0
	s_and_b32 s1, s1, s2
	s_andn2_b32 vcc_lo, exec_lo, s1
	s_cbranch_vccnz .LBB22_6
; %bb.1:
	s_mul_i32 s10, s0, s10
	s_load_dwordx4 s[0:3], s[4:5], 0x0
	s_add_i32 s4, s10, s7
	s_mul_i32 s9, s9, s13
	s_mul_i32 s4, s4, s11
	s_add_i32 s5, s16, s9
	s_mul_i32 s9, s11, s15
	s_add_i32 s4, s5, s4
	s_mulk_i32 s9, 0x240
	s_mulk_i32 s4, 0x48
	s_lshl_b32 s10, s7, 2
	v_add3_u32 v1, s4, s9, v0
	s_mul_i32 s4, s14, s6
	s_add_i32 s11, s4, s14
	v_ashrrev_i32_e32 v2, 31, v1
	v_lshlrev_b64 v[1:2], 2, v[1:2]
	s_waitcnt lgkmcnt(0)
	v_add_co_u32 v1, vcc_lo, s0, v1
	v_add_co_ci_u32_e64 v2, null, s1, v2, vcc_lo
	s_add_i32 s0, s10, s8
	s_lshl_b32 s1, s11, 5
	global_load_dword v5, v[1:2], off
	s_add_i32 s0, s0, s1
	s_sub_i32 s0, s0, 32
	s_ashr_i32 s1, s0, 31
	s_lshl_b64 s[0:1], s[0:1], 3
	s_add_u32 s0, s2, s0
	s_addc_u32 s1, s3, s1
	s_add_i32 s5, s11, -2
	s_load_dword s13, s[0:1], 0x4
	s_cmp_lt_i32 s5, s4
	s_cbranch_scc1 .LBB22_4
; %bb.2:
	s_load_dword s15, s[0:1], 0x0
	s_lshl_b32 s16, s12, 7
	s_mulk_i32 s7, 0x120
	s_ashr_i32 s17, s16, 31
	s_waitcnt lgkmcnt(0)
	v_mov_b32_e32 v6, s13
	s_lshl_b64 s[0:1], s[16:17], 2
	s_add_u32 s5, s2, s0
	s_addc_u32 s9, s3, s1
	s_add_i32 s6, s6, 1
	s_mul_i32 s0, s14, s6
	s_mul_i32 s6, s8, 0x48
	s_lshl_b32 s1, s0, 5
	s_mulk_i32 s0, 0x900
	s_add_i32 s6, s6, s7
	s_add_i32 s1, s8, s1
	s_lshl_b32 s7, s12, 5
	s_add_i32 s6, s6, s0
	s_add_i32 s0, s1, s7
	v_add3_u32 v3, s6, v0, 0xffffee00
	v_mov_b32_e32 v0, s15
	s_add_i32 s0, s0, s10
	s_add_i32 s6, s11, -1
	s_sub_i32 s0, s0, 64
.LBB22_3:                               ; =>This Inner Loop Header: Depth=1
	v_ashrrev_i32_e32 v4, 31, v3
	s_ashr_i32 s1, s0, 31
	s_lshl_b64 s[10:11], s[0:1], 3
	s_add_u32 s10, s2, s10
	v_lshlrev_b64 v[7:8], 2, v[3:4]
	s_addc_u32 s11, s3, s11
	v_add_nc_u32_e32 v3, 0xfffff700, v3
	s_add_i32 s6, s6, -1
	s_sub_i32 s0, s0, 32
	s_cmp_le_i32 s6, s4
	v_add_co_u32 v7, vcc_lo, s5, v7
	v_add_co_ci_u32_e64 v8, null, s9, v8, vcc_lo
	s_load_dwordx2 s[10:11], s[10:11], 0x0
	global_load_dword v4, v[7:8], off
	v_max_f32_e32 v7, v0, v0
	s_waitcnt lgkmcnt(0)
	v_max_f32_e64 v8, s10, s10
	v_max_f32_e32 v7, v7, v8
	v_sub_f32_e32 v8, s10, v7
	v_sub_f32_e32 v0, v0, v7
	v_mul_f32_e32 v9, 0x3fb8aa3b, v8
	v_mul_f32_e32 v12, 0x3fb8aa3b, v0
	v_cmp_ngt_f32_e32 vcc_lo, 0xc2ce8ed0, v8
	v_fma_f32 v10, 0x3fb8aa3b, v8, -v9
	v_rndne_f32_e32 v11, v9
	v_fma_f32 v13, 0x3fb8aa3b, v0, -v12
	v_rndne_f32_e32 v14, v12
	v_fmac_f32_e32 v10, 0x32a5705f, v8
	v_sub_f32_e32 v9, v9, v11
	v_fmac_f32_e32 v13, 0x32a5705f, v0
	v_cvt_i32_f32_e32 v11, v11
	v_add_f32_e32 v9, v9, v10
	v_sub_f32_e32 v10, v12, v14
	v_exp_f32_e32 v9, v9
	v_add_f32_e32 v10, v10, v13
	v_exp_f32_e32 v10, v10
	v_ldexp_f32 v9, v9, v11
	v_cvt_i32_f32_e32 v11, v14
	v_cndmask_b32_e32 v9, 0, v9, vcc_lo
	v_cmp_nlt_f32_e32 vcc_lo, 0x42b17218, v8
	v_ldexp_f32 v10, v10, v11
	v_mov_b32_e32 v11, v6
	v_cndmask_b32_e32 v9, 0x7f800000, v9, vcc_lo
	v_cmp_ngt_f32_e32 vcc_lo, 0xc2ce8ed0, v0
	v_cndmask_b32_e32 v10, 0, v10, vcc_lo
	v_cmp_le_f32_e32 vcc_lo, 0xc1a00000, v8
	v_cndmask_b32_e32 v8, 0, v9, vcc_lo
	v_cmp_nlt_f32_e32 vcc_lo, 0x42b17218, v0
	s_waitcnt vmcnt(1)
	v_mov_b32_e32 v9, v5
	v_cndmask_b32_e32 v5, 0x7f800000, v10, vcc_lo
	v_mul_f32_e32 v10, s11, v8
	v_cmp_le_f32_e32 vcc_lo, 0xc1a00000, v0
	v_mov_b32_e32 v0, v7
	v_mov_b32_e32 v6, v10
	v_cndmask_b32_e32 v12, 0, v5, vcc_lo
	v_fmac_f32_e32 v6, v11, v12
	s_waitcnt vmcnt(0)
	v_mul_f32_e32 v5, v4, v8
	v_fmac_f32_e32 v5, v9, v12
	s_cbranch_scc0 .LBB22_3
	s_branch .LBB22_5
.LBB22_4:
	s_waitcnt lgkmcnt(0)
	v_mov_b32_e32 v6, s13
.LBB22_5:
	s_waitcnt vmcnt(0)
	v_div_scale_f32 v0, null, v6, v6, v5
	v_rcp_f32_e32 v3, v0
	v_fma_f32 v4, -v0, v3, 1.0
	v_fmac_f32_e32 v3, v4, v3
	v_div_scale_f32 v4, vcc_lo, v5, v6, v5
	v_mul_f32_e32 v7, v4, v3
	v_fma_f32 v8, -v0, v7, v4
	v_fmac_f32_e32 v7, v8, v3
	v_fma_f32 v0, -v0, v7, v4
	v_div_fmas_f32 v0, v0, v3, v7
	v_div_fixup_f32 v0, v0, v6, v5
	global_store_dword v[1:2], v0, off
.LBB22_6:
	s_endpgm
	.section	.rodata,"a",@progbits
	.p2align	6, 0x0
	.amdhsa_kernel _ZL33flash_attn_stream_k_fixup_uniformILi72ELi8ELi4EEvPfPK15HIP_vector_typeIfLj2EEiiiiiiS1_IjLj3EES5_S5_
		.amdhsa_group_segment_fixed_size 0
		.amdhsa_private_segment_fixed_size 0
		.amdhsa_kernarg_size 76
		.amdhsa_user_sgpr_count 6
		.amdhsa_user_sgpr_private_segment_buffer 1
		.amdhsa_user_sgpr_dispatch_ptr 0
		.amdhsa_user_sgpr_queue_ptr 0
		.amdhsa_user_sgpr_kernarg_segment_ptr 1
		.amdhsa_user_sgpr_dispatch_id 0
		.amdhsa_user_sgpr_flat_scratch_init 0
		.amdhsa_user_sgpr_private_segment_size 0
		.amdhsa_wavefront_size32 1
		.amdhsa_uses_dynamic_stack 0
		.amdhsa_system_sgpr_private_segment_wavefront_offset 0
		.amdhsa_system_sgpr_workgroup_id_x 1
		.amdhsa_system_sgpr_workgroup_id_y 1
		.amdhsa_system_sgpr_workgroup_id_z 1
		.amdhsa_system_sgpr_workgroup_info 0
		.amdhsa_system_vgpr_workitem_id 0
		.amdhsa_next_free_vgpr 15
		.amdhsa_next_free_sgpr 24
		.amdhsa_reserve_vcc 1
		.amdhsa_reserve_flat_scratch 0
		.amdhsa_float_round_mode_32 0
		.amdhsa_float_round_mode_16_64 0
		.amdhsa_float_denorm_mode_32 3
		.amdhsa_float_denorm_mode_16_64 3
		.amdhsa_dx10_clamp 1
		.amdhsa_ieee_mode 1
		.amdhsa_fp16_overflow 0
		.amdhsa_workgroup_processor_mode 1
		.amdhsa_memory_ordered 1
		.amdhsa_forward_progress 1
		.amdhsa_shared_vgpr_count 0
		.amdhsa_exception_fp_ieee_invalid_op 0
		.amdhsa_exception_fp_denorm_src 0
		.amdhsa_exception_fp_ieee_div_zero 0
		.amdhsa_exception_fp_ieee_overflow 0
		.amdhsa_exception_fp_ieee_underflow 0
		.amdhsa_exception_fp_ieee_inexact 0
		.amdhsa_exception_int_div_zero 0
	.end_amdhsa_kernel
	.section	.text._ZL33flash_attn_stream_k_fixup_uniformILi72ELi8ELi4EEvPfPK15HIP_vector_typeIfLj2EEiiiiiiS1_IjLj3EES5_S5_,"axG",@progbits,_ZL33flash_attn_stream_k_fixup_uniformILi72ELi8ELi4EEvPfPK15HIP_vector_typeIfLj2EEiiiiiiS1_IjLj3EES5_S5_,comdat
.Lfunc_end22:
	.size	_ZL33flash_attn_stream_k_fixup_uniformILi72ELi8ELi4EEvPfPK15HIP_vector_typeIfLj2EEiiiiiiS1_IjLj3EES5_S5_, .Lfunc_end22-_ZL33flash_attn_stream_k_fixup_uniformILi72ELi8ELi4EEvPfPK15HIP_vector_typeIfLj2EEiiiiiiS1_IjLj3EES5_S5_
                                        ; -- End function
	.set _ZL33flash_attn_stream_k_fixup_uniformILi72ELi8ELi4EEvPfPK15HIP_vector_typeIfLj2EEiiiiiiS1_IjLj3EES5_S5_.num_vgpr, 15
	.set _ZL33flash_attn_stream_k_fixup_uniformILi72ELi8ELi4EEvPfPK15HIP_vector_typeIfLj2EEiiiiiiS1_IjLj3EES5_S5_.num_agpr, 0
	.set _ZL33flash_attn_stream_k_fixup_uniformILi72ELi8ELi4EEvPfPK15HIP_vector_typeIfLj2EEiiiiiiS1_IjLj3EES5_S5_.numbered_sgpr, 24
	.set _ZL33flash_attn_stream_k_fixup_uniformILi72ELi8ELi4EEvPfPK15HIP_vector_typeIfLj2EEiiiiiiS1_IjLj3EES5_S5_.num_named_barrier, 0
	.set _ZL33flash_attn_stream_k_fixup_uniformILi72ELi8ELi4EEvPfPK15HIP_vector_typeIfLj2EEiiiiiiS1_IjLj3EES5_S5_.private_seg_size, 0
	.set _ZL33flash_attn_stream_k_fixup_uniformILi72ELi8ELi4EEvPfPK15HIP_vector_typeIfLj2EEiiiiiiS1_IjLj3EES5_S5_.uses_vcc, 1
	.set _ZL33flash_attn_stream_k_fixup_uniformILi72ELi8ELi4EEvPfPK15HIP_vector_typeIfLj2EEiiiiiiS1_IjLj3EES5_S5_.uses_flat_scratch, 0
	.set _ZL33flash_attn_stream_k_fixup_uniformILi72ELi8ELi4EEvPfPK15HIP_vector_typeIfLj2EEiiiiiiS1_IjLj3EES5_S5_.has_dyn_sized_stack, 0
	.set _ZL33flash_attn_stream_k_fixup_uniformILi72ELi8ELi4EEvPfPK15HIP_vector_typeIfLj2EEiiiiiiS1_IjLj3EES5_S5_.has_recursion, 0
	.set _ZL33flash_attn_stream_k_fixup_uniformILi72ELi8ELi4EEvPfPK15HIP_vector_typeIfLj2EEiiiiiiS1_IjLj3EES5_S5_.has_indirect_call, 0
	.section	.AMDGPU.csdata,"",@progbits
; Kernel info:
; codeLenInByte = 848
; TotalNumSgprs: 26
; NumVgprs: 15
; ScratchSize: 0
; MemoryBound: 0
; FloatMode: 240
; IeeeMode: 1
; LDSByteSize: 0 bytes/workgroup (compile time only)
; SGPRBlocks: 0
; VGPRBlocks: 1
; NumSGPRsForWavesPerEU: 26
; NumVGPRsForWavesPerEU: 15
; Occupancy: 16
; WaveLimiterHint : 0
; COMPUTE_PGM_RSRC2:SCRATCH_EN: 0
; COMPUTE_PGM_RSRC2:USER_SGPR: 6
; COMPUTE_PGM_RSRC2:TRAP_HANDLER: 0
; COMPUTE_PGM_RSRC2:TGID_X_EN: 1
; COMPUTE_PGM_RSRC2:TGID_Y_EN: 1
; COMPUTE_PGM_RSRC2:TGID_Z_EN: 1
; COMPUTE_PGM_RSRC2:TIDIG_COMP_CNT: 0
	.section	.text._ZL33flash_attn_stream_k_fixup_generalILi72ELi8ELi4EEvPfPK15HIP_vector_typeIfLj2EEiiiiS1_IjLj3EES5_S5_S5_,"axG",@progbits,_ZL33flash_attn_stream_k_fixup_generalILi72ELi8ELi4EEvPfPK15HIP_vector_typeIfLj2EEiiiiS1_IjLj3EES5_S5_S5_,comdat
	.globl	_ZL33flash_attn_stream_k_fixup_generalILi72ELi8ELi4EEvPfPK15HIP_vector_typeIfLj2EEiiiiS1_IjLj3EES5_S5_S5_ ; -- Begin function _ZL33flash_attn_stream_k_fixup_generalILi72ELi8ELi4EEvPfPK15HIP_vector_typeIfLj2EEiiiiS1_IjLj3EES5_S5_S5_
	.p2align	8
	.type	_ZL33flash_attn_stream_k_fixup_generalILi72ELi8ELi4EEvPfPK15HIP_vector_typeIfLj2EEiiiiS1_IjLj3EES5_S5_S5_,@function
_ZL33flash_attn_stream_k_fixup_generalILi72ELi8ELi4EEvPfPK15HIP_vector_typeIfLj2EEiiiiS1_IjLj3EES5_S5_S5_: ; @_ZL33flash_attn_stream_k_fixup_generalILi72ELi8ELi4EEvPfPK15HIP_vector_typeIfLj2EEiiiiS1_IjLj3EES5_S5_S5_
; %bb.0:
	s_clause 0x1
	s_load_dwordx4 s[0:3], s[4:5], 0x10
	s_load_dword s9, s[4:5], 0x50
	s_mov_b32 s16, 0
	s_waitcnt lgkmcnt(0)
	s_mul_hi_i32 s17, s3, s6
	s_mul_i32 s18, s3, s6
	s_cmp_lg_u64 s[16:17], 0
	s_cbranch_scc0 .LBB23_21
; %bb.1:
	s_add_u32 s10, s9, 0
	s_addc_u32 s11, 0, 0
	s_xor_b64 s[10:11], s[10:11], 0
	v_cvt_f32_u32_e32 v1, s10
	v_cvt_f32_u32_e32 v2, s11
	s_sub_u32 s14, 0, s10
	s_subb_u32 s15, 0, s11
	v_fmamk_f32 v1, v2, 0x4f800000, v1
	v_rcp_f32_e32 v1, v1
	v_mul_f32_e32 v1, 0x5f7ffffc, v1
	v_mul_f32_e32 v2, 0x2f800000, v1
	v_trunc_f32_e32 v2, v2
	v_fmamk_f32 v1, v2, 0xcf800000, v1
	v_cvt_u32_f32_e32 v2, v2
	v_cvt_u32_f32_e32 v1, v1
	v_readfirstlane_b32 s12, v2
	v_readfirstlane_b32 s13, v1
	s_mul_i32 s19, s14, s12
	s_mul_hi_u32 s21, s14, s13
	s_mul_i32 s20, s15, s13
	s_add_i32 s19, s21, s19
	s_mul_i32 s22, s14, s13
	s_add_i32 s19, s19, s20
	s_mul_hi_u32 s21, s13, s22
	s_mul_i32 s24, s13, s19
	s_mul_hi_u32 s23, s12, s22
	s_mul_i32 s20, s12, s22
	s_mul_hi_u32 s22, s13, s19
	s_add_u32 s21, s21, s24
	s_addc_u32 s22, 0, s22
	s_mul_hi_u32 s25, s12, s19
	s_add_u32 s20, s21, s20
	s_mul_i32 s19, s12, s19
	s_addc_u32 s20, s22, s23
	s_addc_u32 s21, s25, 0
	s_add_u32 s19, s20, s19
	s_addc_u32 s20, 0, s21
	s_add_u32 s13, s13, s19
	s_cselect_b32 s19, -1, 0
	s_mul_hi_u32 s21, s14, s13
	s_cmp_lg_u32 s19, 0
	s_mul_i32 s19, s14, s13
	s_addc_u32 s12, s12, s20
	s_mul_i32 s15, s15, s13
	s_mul_i32 s14, s14, s12
	s_mul_hi_u32 s20, s13, s19
	s_add_i32 s14, s21, s14
	s_mul_hi_u32 s21, s12, s19
	s_add_i32 s14, s14, s15
	s_mul_i32 s15, s12, s19
	s_mul_i32 s23, s13, s14
	s_mul_hi_u32 s22, s13, s14
	s_add_u32 s20, s20, s23
	s_addc_u32 s22, 0, s22
	s_mul_hi_u32 s19, s12, s14
	s_add_u32 s15, s20, s15
	s_mul_i32 s14, s12, s14
	s_addc_u32 s15, s22, s21
	s_addc_u32 s19, s19, 0
	s_add_u32 s14, s15, s14
	s_addc_u32 s15, 0, s19
	s_add_u32 s19, s13, s14
	s_cselect_b32 s13, -1, 0
	s_cmp_lg_u32 s13, 0
	s_addc_u32 s20, s12, s15
	s_ashr_i32 s12, s17, 31
	s_add_u32 s14, s18, s12
	s_mov_b32 s13, s12
	s_addc_u32 s15, s17, s12
	s_xor_b64 s[14:15], s[14:15], s[12:13]
	s_mul_i32 s21, s14, s20
	s_mul_hi_u32 s22, s14, s19
	s_mul_hi_u32 s17, s14, s20
	;; [unrolled: 1-line block ×3, first 2 shown]
	s_mul_i32 s19, s15, s19
	s_add_u32 s21, s22, s21
	s_addc_u32 s17, 0, s17
	s_mul_hi_u32 s23, s15, s20
	s_add_u32 s19, s21, s19
	s_mul_i32 s20, s15, s20
	s_addc_u32 s17, s17, s24
	s_addc_u32 s19, s23, 0
	s_add_u32 s17, s17, s20
	s_addc_u32 s19, 0, s19
	s_mul_hi_u32 s20, s10, s17
	s_mul_i32 s21, s10, s19
	s_mul_i32 s22, s11, s17
	s_add_i32 s20, s20, s21
	s_mul_i32 s21, s10, s17
	s_add_i32 s20, s20, s22
	s_sub_i32 s22, s15, s20
	s_sub_u32 s14, s14, s21
	s_cselect_b32 s21, -1, 0
	s_cmp_lg_u32 s21, 0
	s_subb_u32 s22, s22, s11
	s_sub_u32 s23, s14, s10
	s_cselect_b32 s24, -1, 0
	s_cmp_lg_u32 s24, 0
	s_subb_u32 s22, s22, 0
	s_cmp_ge_u32 s22, s11
	s_cselect_b32 s24, -1, 0
	s_cmp_ge_u32 s23, s10
	s_cselect_b32 s23, -1, 0
	s_cmp_eq_u32 s22, s11
	s_cselect_b32 s22, s23, s24
	s_add_u32 s23, s17, 1
	s_addc_u32 s24, s19, 0
	s_add_u32 s25, s17, 2
	s_addc_u32 s26, s19, 0
	s_cmp_lg_u32 s22, 0
	s_cselect_b32 s22, s25, s23
	s_cselect_b32 s23, s26, s24
	s_cmp_lg_u32 s21, 0
	s_subb_u32 s15, s15, s20
	s_cmp_ge_u32 s15, s11
	s_cselect_b32 s20, -1, 0
	s_cmp_ge_u32 s14, s10
	s_cselect_b32 s10, -1, 0
	s_cmp_eq_u32 s15, s11
	s_cselect_b32 s10, s10, s20
	s_cmp_lg_u32 s10, 0
	s_cselect_b32 s11, s23, s19
	s_cselect_b32 s10, s22, s17
	s_xor_b64 s[12:13], s[12:13], 0
	s_xor_b64 s[10:11], s[10:11], s[12:13]
	s_sub_u32 s10, s10, s12
	s_load_dwordx4 s[12:15], s[4:5], 0x44
	s_andn2_b32 vcc_lo, exec_lo, s16
	s_cbranch_vccnz .LBB23_3
.LBB23_2:
	v_cvt_f32_u32_e32 v1, s9
	s_sub_i32 s11, 0, s9
	v_rcp_iflag_f32_e32 v1, v1
	v_mul_f32_e32 v1, 0x4f7ffffe, v1
	v_cvt_u32_f32_e32 v1, v1
	v_readfirstlane_b32 s10, v1
	s_mul_i32 s11, s11, s10
	s_mul_hi_u32 s11, s10, s11
	s_add_i32 s10, s10, s11
	s_mul_hi_u32 s10, s18, s10
	s_mul_i32 s11, s10, s9
	s_waitcnt lgkmcnt(0)
	s_add_i32 s15, s10, 1
	s_sub_i32 s11, s18, s11
	s_sub_i32 s16, s11, s9
	s_cmp_ge_u32 s11, s9
	s_cselect_b32 s10, s15, s10
	s_cselect_b32 s11, s16, s11
	s_add_i32 s15, s10, 1
	s_cmp_ge_u32 s11, s9
	s_cselect_b32 s10, s15, s10
.LBB23_3:
	s_add_i32 s11, s6, 1
	s_mov_b32 s16, 0
	s_mul_hi_i32 s17, s3, s11
	s_mul_i32 s11, s3, s11
	s_cmp_lg_u64 s[16:17], 0
	s_cbranch_scc0 .LBB23_22
; %bb.4:
	s_add_u32 s18, s9, 0
	s_addc_u32 s19, 0, 0
	s_xor_b64 s[18:19], s[18:19], 0
	v_cvt_f32_u32_e32 v1, s18
	v_cvt_f32_u32_e32 v2, s19
	s_sub_u32 s21, 0, s18
	s_subb_u32 s22, 0, s19
	v_fmamk_f32 v1, v2, 0x4f800000, v1
	v_rcp_f32_e32 v1, v1
	v_mul_f32_e32 v1, 0x5f7ffffc, v1
	v_mul_f32_e32 v2, 0x2f800000, v1
	v_trunc_f32_e32 v2, v2
	v_fmamk_f32 v1, v2, 0xcf800000, v1
	v_cvt_u32_f32_e32 v2, v2
	v_cvt_u32_f32_e32 v1, v1
	s_waitcnt lgkmcnt(0)
	v_readfirstlane_b32 s15, v2
	v_readfirstlane_b32 s20, v1
	s_mul_i32 s23, s21, s15
	s_mul_hi_u32 s25, s21, s20
	s_mul_i32 s24, s22, s20
	s_add_i32 s23, s25, s23
	s_mul_i32 s26, s21, s20
	s_add_i32 s23, s23, s24
	s_mul_hi_u32 s25, s20, s26
	s_mul_i32 s28, s20, s23
	s_mul_hi_u32 s27, s15, s26
	s_mul_i32 s24, s15, s26
	s_mul_hi_u32 s26, s20, s23
	s_add_u32 s25, s25, s28
	s_addc_u32 s26, 0, s26
	s_mul_hi_u32 s29, s15, s23
	s_add_u32 s24, s25, s24
	s_mul_i32 s23, s15, s23
	s_addc_u32 s24, s26, s27
	s_addc_u32 s25, s29, 0
	s_add_u32 s23, s24, s23
	s_addc_u32 s24, 0, s25
	s_add_u32 s20, s20, s23
	s_cselect_b32 s23, -1, 0
	s_mul_hi_u32 s25, s21, s20
	s_cmp_lg_u32 s23, 0
	s_mul_i32 s23, s21, s20
	s_addc_u32 s15, s15, s24
	s_mul_i32 s22, s22, s20
	s_mul_i32 s21, s21, s15
	s_mul_hi_u32 s24, s20, s23
	s_add_i32 s21, s25, s21
	s_mul_hi_u32 s25, s15, s23
	s_add_i32 s21, s21, s22
	s_mul_i32 s22, s15, s23
	s_mul_i32 s27, s20, s21
	s_mul_hi_u32 s26, s20, s21
	s_add_u32 s24, s24, s27
	s_addc_u32 s26, 0, s26
	s_mul_hi_u32 s23, s15, s21
	s_add_u32 s22, s24, s22
	s_mul_i32 s21, s15, s21
	s_addc_u32 s22, s26, s25
	s_addc_u32 s23, s23, 0
	s_add_u32 s21, s22, s21
	s_addc_u32 s22, 0, s23
	s_add_u32 s24, s20, s21
	s_cselect_b32 s20, -1, 0
	s_cmp_lg_u32 s20, 0
	s_addc_u32 s15, s15, s22
	s_ashr_i32 s20, s17, 31
	s_add_u32 s22, s11, s20
	s_mov_b32 s21, s20
	s_addc_u32 s23, s17, s20
	s_xor_b64 s[22:23], s[22:23], s[20:21]
	s_mul_i32 s25, s22, s15
	s_mul_hi_u32 s26, s22, s24
	s_mul_hi_u32 s17, s22, s15
	;; [unrolled: 1-line block ×3, first 2 shown]
	s_mul_i32 s24, s23, s24
	s_add_u32 s25, s26, s25
	s_addc_u32 s17, 0, s17
	s_mul_hi_u32 s27, s23, s15
	s_add_u32 s24, s25, s24
	s_mul_i32 s15, s23, s15
	s_addc_u32 s17, s17, s28
	s_addc_u32 s24, s27, 0
	s_add_u32 s15, s17, s15
	s_addc_u32 s17, 0, s24
	s_mul_hi_u32 s24, s18, s15
	s_mul_i32 s25, s18, s17
	s_mul_i32 s26, s19, s15
	s_add_i32 s24, s24, s25
	s_mul_i32 s25, s18, s15
	s_add_i32 s24, s24, s26
	s_sub_i32 s26, s23, s24
	s_sub_u32 s22, s22, s25
	s_cselect_b32 s25, -1, 0
	s_cmp_lg_u32 s25, 0
	s_subb_u32 s26, s26, s19
	s_sub_u32 s27, s22, s18
	s_cselect_b32 s28, -1, 0
	s_cmp_lg_u32 s28, 0
	s_subb_u32 s26, s26, 0
	s_cmp_ge_u32 s26, s19
	s_cselect_b32 s28, -1, 0
	s_cmp_ge_u32 s27, s18
	s_cselect_b32 s27, -1, 0
	s_cmp_eq_u32 s26, s19
	s_cselect_b32 s26, s27, s28
	s_add_u32 s27, s15, 1
	s_addc_u32 s28, s17, 0
	s_add_u32 s29, s15, 2
	s_addc_u32 s30, s17, 0
	s_cmp_lg_u32 s26, 0
	s_cselect_b32 s26, s29, s27
	s_cselect_b32 s27, s30, s28
	s_cmp_lg_u32 s25, 0
	s_subb_u32 s23, s23, s24
	s_cmp_ge_u32 s23, s19
	s_cselect_b32 s24, -1, 0
	s_cmp_ge_u32 s22, s18
	s_cselect_b32 s18, -1, 0
	s_cmp_eq_u32 s23, s19
	s_cselect_b32 s18, s18, s24
	s_cmp_lg_u32 s18, 0
	s_cselect_b32 s19, s27, s17
	s_cselect_b32 s18, s26, s15
	s_xor_b64 s[20:21], s[20:21], 0
	s_xor_b64 s[18:19], s[18:19], s[20:21]
	s_sub_u32 s18, s18, s20
	s_andn2_b32 vcc_lo, exec_lo, s16
	s_cbranch_vccnz .LBB23_6
.LBB23_5:
	v_cvt_f32_u32_e32 v1, s9
	s_sub_i32 s16, 0, s9
	v_rcp_iflag_f32_e32 v1, v1
	v_mul_f32_e32 v1, 0x4f7ffffe, v1
	v_cvt_u32_f32_e32 v1, v1
	s_waitcnt lgkmcnt(0)
	v_readfirstlane_b32 s15, v1
	s_mul_i32 s16, s16, s15
	s_mul_hi_u32 s16, s15, s16
	s_add_i32 s15, s15, s16
	s_mul_hi_u32 s15, s11, s15
	s_mul_i32 s16, s15, s9
	s_sub_i32 s11, s11, s16
	s_add_i32 s16, s15, 1
	s_sub_i32 s17, s11, s9
	s_cmp_ge_u32 s11, s9
	s_cselect_b32 s15, s16, s15
	s_cselect_b32 s11, s17, s11
	s_add_i32 s16, s15, 1
	s_cmp_ge_u32 s11, s9
	s_cselect_b32 s18, s16, s15
.LBB23_6:
	s_cmp_eq_u32 s10, s18
	s_waitcnt lgkmcnt(0)
	s_mul_hi_u32 s11, s10, s12
	s_cselect_b32 s15, -1, 0
	s_add_i32 s11, s11, s10
	s_lshr_b32 s11, s11, s13
	s_mul_i32 s16, s11, s14
	s_cmp_eq_u32 s16, s10
	s_mul_hi_u32 s16, s18, s12
	s_cselect_b32 s17, -1, 0
	s_add_i32 s16, s16, s18
	s_lshr_b32 s16, s16, s13
	s_cmp_eq_u32 s11, s16
	s_mul_i32 s16, s16, s14
	s_cselect_b32 s19, -1, 0
	s_cmp_lg_u32 s16, s18
	s_cselect_b32 s16, -1, 0
	s_or_b32 s15, s15, s17
	s_and_b32 s16, s19, s16
	s_or_b32 s15, s15, s16
	s_and_b32 vcc_lo, exec_lo, s15
	s_cbranch_vccnz .LBB23_24
; %bb.7:
	s_clause 0x1
	s_load_dwordx8 s[20:27], s[4:5], 0x20
	s_load_dword s16, s[4:5], 0x40
	s_waitcnt lgkmcnt(0)
	s_mul_hi_u32 s15, s10, s20
	s_add_i32 s15, s15, s10
	s_lshr_b32 s15, s15, s21
	s_mul_i32 s17, s15, s22
	s_sub_i32 s17, s10, s17
	s_mul_hi_u32 s18, s17, s23
	s_add_i32 s18, s17, s18
	s_lshr_b32 s21, s18, s24
	s_mul_i32 s18, s21, s25
	s_sub_i32 s17, s17, s18
	s_mul_hi_u32 s18, s17, s26
	s_add_i32 s18, s17, s18
	s_lshr_b32 s18, s18, s27
	s_mul_i32 s16, s18, s16
	s_lshl_b32 s22, s18, 2
	s_sub_i32 s16, s17, s16
	s_mul_hi_u32 s17, s16, s12
	s_add_i32 s16, s16, s17
	s_lshr_b32 s20, s16, s13
	s_lshl_b32 s16, s20, 3
	s_add_i32 s16, s16, s7
	s_cmp_lt_i32 s16, s0
	s_cselect_b32 s16, -1, 0
	s_add_i32 s22, s22, s8
	s_cmp_lt_i32 s22, s2
	s_cselect_b32 s17, -1, 0
	s_and_b32 s16, s16, s17
	s_andn2_b32 vcc_lo, exec_lo, s16
	s_cbranch_vccnz .LBB23_24
; %bb.8:
	s_load_dwordx4 s[16:19], s[4:5], 0x0
	s_mov_b32 s4, 0
	s_lshl_b32 s24, s9, 7
	s_mov_b32 s25, s4
	s_lshl_b32 s5, s7, 2
	s_lshl_b64 s[24:25], s[24:25], 2
	s_mul_i32 s21, s21, s2
	s_mul_i32 s0, s15, s0
	s_add_i32 s2, s5, s8
	v_cvt_f32_u32_e32 v3, s9
	v_rcp_iflag_f32_e32 v3, v3
	s_waitcnt lgkmcnt(0)
	s_add_u32 s8, s18, s24
	s_addc_u32 s15, s19, s25
	s_add_i32 s0, s0, s7
	s_add_i32 s5, s22, s21
	s_mul_i32 s0, s0, s1
	s_mul_i32 s1, s1, s20
	s_add_i32 s0, s5, s0
	s_mulk_i32 s1, 0x240
	s_mulk_i32 s0, 0x48
	v_mul_f32_e32 v7, 0x4f7ffffe, v3
	v_add3_u32 v1, s1, s0, v0
	s_lshl_b32 s0, s6, 5
	s_add_i32 s0, s2, s0
	v_ashrrev_i32_e32 v2, 31, v1
	s_ashr_i32 s1, s0, 31
	s_lshl_b64 s[0:1], s[0:1], 3
	v_lshlrev_b64 v[1:2], 2, v[1:2]
	s_add_u32 s0, s18, s0
	s_addc_u32 s1, s19, s1
	s_load_dwordx2 s[0:1], s[0:1], 0x0
	v_add_co_u32 v1, vcc_lo, s16, v1
	v_add_co_ci_u32_e64 v2, null, s17, v2, vcc_lo
	s_add_i32 s17, s6, -1
	v_mad_u64_u32 v[3:4], null, 0x48, s2, v[0:1]
	global_load_dword v5, v[1:2], off
	v_cvt_u32_f32_e32 v0, v7
	s_sub_i32 s16, 0, s9
	s_waitcnt lgkmcnt(0)
	v_mov_b32_e32 v4, s1
	v_mov_b32_e32 v6, s0
.LBB23_9:                               ; =>This Inner Loop Header: Depth=1
	s_mul_hi_i32 s5, s17, s3
	s_mul_i32 s6, s17, s3
	s_cmp_lg_u64 s[4:5], 0
	s_mov_b32 s7, -1
                                        ; implicit-def: $sgpr0_sgpr1
	s_cbranch_scc0 .LBB23_11
; %bb.10:                               ;   in Loop: Header=BB23_9 Depth=1
	s_add_u32 s0, s9, 0
	s_addc_u32 s1, 0, 0
	s_xor_b64 s[0:1], s[0:1], 0
	v_cvt_f32_u32_e32 v7, s0
	v_cvt_f32_u32_e32 v8, s1
	s_sub_u32 s21, 0, s0
	s_subb_u32 s22, 0, s1
	v_fmac_f32_e32 v7, 0x4f800000, v8
	v_rcp_f32_e32 v7, v7
	v_mul_f32_e32 v7, 0x5f7ffffc, v7
	v_mul_f32_e32 v8, 0x2f800000, v7
	v_trunc_f32_e32 v8, v8
	v_fmac_f32_e32 v7, 0xcf800000, v8
	v_cvt_u32_f32_e32 v8, v8
	v_cvt_u32_f32_e32 v7, v7
	v_readfirstlane_b32 s7, v8
	v_readfirstlane_b32 s20, v7
	s_mul_i32 s23, s21, s7
	s_mul_hi_u32 s25, s21, s20
	s_mul_i32 s24, s22, s20
	s_add_i32 s23, s25, s23
	s_mul_i32 s26, s21, s20
	s_add_i32 s23, s23, s24
	s_mul_hi_u32 s25, s20, s26
	s_mul_i32 s28, s20, s23
	s_mul_hi_u32 s27, s7, s26
	s_mul_i32 s24, s7, s26
	s_mul_hi_u32 s26, s20, s23
	s_add_u32 s25, s25, s28
	s_addc_u32 s26, 0, s26
	s_mul_hi_u32 s29, s7, s23
	s_add_u32 s24, s25, s24
	s_mul_i32 s23, s7, s23
	s_addc_u32 s24, s26, s27
	s_addc_u32 s25, s29, 0
	s_add_u32 s23, s24, s23
	s_addc_u32 s24, 0, s25
	s_add_u32 s20, s20, s23
	s_cselect_b32 s23, -1, 0
	s_mul_hi_u32 s25, s21, s20
	s_cmp_lg_u32 s23, 0
	s_mul_i32 s23, s21, s20
	s_addc_u32 s7, s7, s24
	s_mul_i32 s22, s22, s20
	s_mul_i32 s21, s21, s7
	s_mul_hi_u32 s24, s20, s23
	s_add_i32 s21, s25, s21
	s_mul_hi_u32 s25, s7, s23
	s_add_i32 s21, s21, s22
	s_mul_i32 s22, s7, s23
	s_mul_i32 s27, s20, s21
	s_mul_hi_u32 s26, s20, s21
	s_add_u32 s24, s24, s27
	s_addc_u32 s26, 0, s26
	s_mul_hi_u32 s23, s7, s21
	s_add_u32 s22, s24, s22
	s_mul_i32 s21, s7, s21
	s_addc_u32 s22, s26, s25
	s_addc_u32 s23, s23, 0
	s_add_u32 s21, s22, s21
	s_addc_u32 s22, 0, s23
	s_add_u32 s24, s20, s21
	s_cselect_b32 s20, -1, 0
	s_cmp_lg_u32 s20, 0
	s_addc_u32 s7, s7, s22
	s_ashr_i32 s20, s5, 31
	s_add_u32 s22, s6, s20
	s_mov_b32 s21, s20
	s_addc_u32 s23, s5, s20
	s_xor_b64 s[22:23], s[22:23], s[20:21]
	s_mul_i32 s25, s22, s7
	s_mul_hi_u32 s26, s22, s24
	s_mul_hi_u32 s5, s22, s7
	;; [unrolled: 1-line block ×3, first 2 shown]
	s_mul_i32 s24, s23, s24
	s_add_u32 s25, s26, s25
	s_addc_u32 s5, 0, s5
	s_mul_hi_u32 s27, s23, s7
	s_add_u32 s24, s25, s24
	s_mul_i32 s7, s23, s7
	s_addc_u32 s5, s5, s28
	s_addc_u32 s24, s27, 0
	s_add_u32 s5, s5, s7
	s_addc_u32 s7, 0, s24
	s_mul_hi_u32 s24, s0, s5
	s_mul_i32 s25, s0, s7
	s_mul_i32 s26, s1, s5
	s_add_i32 s24, s24, s25
	s_mul_i32 s25, s0, s5
	s_add_i32 s24, s24, s26
	s_sub_i32 s26, s23, s24
	s_sub_u32 s22, s22, s25
	s_cselect_b32 s25, -1, 0
	s_cmp_lg_u32 s25, 0
	s_subb_u32 s26, s26, s1
	s_sub_u32 s27, s22, s0
	s_cselect_b32 s28, -1, 0
	s_cmp_lg_u32 s28, 0
	s_subb_u32 s26, s26, 0
	s_cmp_ge_u32 s26, s1
	s_cselect_b32 s28, -1, 0
	s_cmp_ge_u32 s27, s0
	s_cselect_b32 s27, -1, 0
	s_cmp_eq_u32 s26, s1
	s_cselect_b32 s26, s27, s28
	s_add_u32 s27, s5, 1
	s_addc_u32 s28, s7, 0
	s_add_u32 s29, s5, 2
	s_addc_u32 s30, s7, 0
	s_cmp_lg_u32 s26, 0
	s_cselect_b32 s26, s29, s27
	s_cselect_b32 s27, s30, s28
	s_cmp_lg_u32 s25, 0
	s_subb_u32 s23, s23, s24
	s_cmp_ge_u32 s23, s1
	s_cselect_b32 s24, -1, 0
	s_cmp_ge_u32 s22, s0
	s_cselect_b32 s0, -1, 0
	s_cmp_eq_u32 s23, s1
	s_cselect_b32 s0, s0, s24
	s_cmp_lg_u32 s0, 0
	s_cselect_b32 s1, s27, s7
	s_cselect_b32 s0, s26, s5
	s_xor_b64 s[20:21], s[20:21], 0
	s_mov_b32 s7, 0
	s_xor_b64 s[0:1], s[0:1], s[20:21]
	s_sub_u32 s0, s0, s20
.LBB23_11:                              ;   in Loop: Header=BB23_9 Depth=1
	s_andn2_b32 vcc_lo, exec_lo, s7
	s_cbranch_vccnz .LBB23_13
; %bb.12:                               ;   in Loop: Header=BB23_9 Depth=1
	v_readfirstlane_b32 s0, v0
	s_mul_i32 s1, s16, s0
	s_mul_hi_u32 s1, s0, s1
	s_add_i32 s0, s0, s1
	s_mul_hi_u32 s0, s6, s0
	s_mul_i32 s1, s0, s9
	s_add_i32 s5, s0, 1
	s_sub_i32 s1, s6, s1
	s_sub_i32 s6, s1, s9
	s_cmp_ge_u32 s1, s9
	s_cselect_b32 s0, s5, s0
	s_cselect_b32 s1, s6, s1
	s_add_i32 s5, s0, 1
	s_cmp_ge_u32 s1, s9
	s_cselect_b32 s0, s5, s0
.LBB23_13:                              ;   in Loop: Header=BB23_9 Depth=1
	s_cmp_lg_u32 s10, s0
	s_mov_b32 s6, -1
                                        ; implicit-def: $sgpr5
                                        ; implicit-def: $vgpr8
                                        ; implicit-def: $vgpr7
                                        ; implicit-def: $vgpr9
                                        ; implicit-def: $sgpr1
                                        ; implicit-def: $sgpr20
	s_cbranch_scc0 .LBB23_18
; %bb.14:                               ;   in Loop: Header=BB23_9 Depth=1
	s_add_i32 s1, s17, s9
	s_mov_b32 s7, s4
	s_lshl_b32 s1, s1, 5
	s_mov_b32 s20, s10
	s_add_i32 s6, s1, s2
	s_mul_hi_u32 s1, s0, s12
	s_lshl_b64 s[6:7], s[6:7], 3
	s_add_u32 s6, s18, s6
	s_addc_u32 s7, s19, s7
	s_add_i32 s1, s1, s0
	s_lshr_b32 s1, s1, s13
	s_mul_i32 s5, s1, s14
	s_cmp_eq_u32 s5, s0
	s_cselect_b32 s5, -1, 0
	s_cmp_lt_u32 s1, s11
	s_cselect_b32 s1, -1, 0
	s_or_b32 s1, s1, s5
	s_mov_b32 s5, -1
	s_and_b32 vcc_lo, exec_lo, s1
	s_mov_b32 s1, s17
	s_cbranch_vccnz .LBB23_16
; %bb.15:                               ;   in Loop: Header=BB23_9 Depth=1
	s_add_i32 s1, s17, -1
	s_mov_b32 s5, 0
	s_mov_b32 s20, s0
.LBB23_16:                              ;   in Loop: Header=BB23_9 Depth=1
	v_mad_u64_u32 v[7:8], null, 0x900, s17, v[3:4]
	s_load_dwordx2 s[6:7], s[6:7], 0x0
	v_ashrrev_i32_e32 v8, 31, v7
	v_lshlrev_b64 v[7:8], 2, v[7:8]
	v_add_co_u32 v7, vcc_lo, s8, v7
	v_add_co_ci_u32_e64 v8, null, s15, v8, vcc_lo
	s_waitcnt lgkmcnt(0)
	v_max_f32_e64 v9, s6, s6
	global_load_dword v8, v[7:8], off
	v_max_f32_e32 v7, v6, v6
	v_max_f32_e32 v7, v7, v9
	v_sub_f32_e32 v9, s6, v7
	v_sub_f32_e32 v10, v6, v7
	v_mul_f32_e32 v11, 0x3fb8aa3b, v9
	v_mul_f32_e32 v12, 0x3fb8aa3b, v10
	v_cmp_ngt_f32_e32 vcc_lo, 0xc2ce8ed0, v9
	v_fma_f32 v13, 0x3fb8aa3b, v9, -v11
	v_rndne_f32_e32 v14, v11
	v_fma_f32 v15, 0x3fb8aa3b, v10, -v12
	v_rndne_f32_e32 v16, v12
	v_fmac_f32_e32 v13, 0x32a5705f, v9
	v_sub_f32_e32 v11, v11, v14
	v_fmac_f32_e32 v15, 0x32a5705f, v10
	v_sub_f32_e32 v12, v12, v16
	v_add_f32_e32 v11, v11, v13
	v_cvt_i32_f32_e32 v13, v14
	v_add_f32_e32 v12, v12, v15
	v_cvt_i32_f32_e32 v14, v16
	v_exp_f32_e32 v11, v11
	v_exp_f32_e32 v12, v12
	v_ldexp_f32 v11, v11, v13
	v_ldexp_f32 v12, v12, v14
	v_cndmask_b32_e32 v11, 0, v11, vcc_lo
	v_cmp_ngt_f32_e32 vcc_lo, 0xc2ce8ed0, v10
	v_cndmask_b32_e32 v12, 0, v12, vcc_lo
	v_cmp_nlt_f32_e32 vcc_lo, 0x42b17218, v9
	v_cndmask_b32_e32 v11, 0x7f800000, v11, vcc_lo
	v_cmp_nlt_f32_e32 vcc_lo, 0x42b17218, v10
	v_cndmask_b32_e32 v12, 0x7f800000, v12, vcc_lo
	v_cmp_le_f32_e32 vcc_lo, 0xc1a00000, v9
	v_cndmask_b32_e32 v9, 0, v11, vcc_lo
	v_cmp_le_f32_e32 vcc_lo, 0xc1a00000, v10
	v_cndmask_b32_e32 v10, 0, v12, vcc_lo
	s_waitcnt vmcnt(0)
	v_mul_f32_e32 v8, v8, v9
	v_mul_f32_e32 v9, s7, v9
	v_fmac_f32_e32 v8, v5, v10
	v_fmac_f32_e32 v9, v4, v10
	s_cbranch_execz .LBB23_19
.LBB23_17:                              ;   in Loop: Header=BB23_9 Depth=1
	s_andn2_b32 vcc_lo, exec_lo, s5
	s_cbranch_vccnz .LBB23_20
	s_branch .LBB23_23
.LBB23_18:                              ;   in Loop: Header=BB23_9 Depth=1
	s_andn2_b32 vcc_lo, exec_lo, s6
	s_cbranch_vccnz .LBB23_17
.LBB23_19:                              ;   in Loop: Header=BB23_9 Depth=1
	v_mov_b32_e32 v9, v4
	v_mov_b32_e32 v7, v6
	s_waitcnt vmcnt(0)
	v_mov_b32_e32 v8, v5
	s_add_i32 s1, s17, -1
	s_mov_b32 s20, s10
	s_cbranch_execz .LBB23_23
.LBB23_20:                              ;   in Loop: Header=BB23_9 Depth=1
	v_mov_b32_e32 v4, v9
	v_mov_b32_e32 v6, v7
	s_waitcnt vmcnt(0)
	v_mov_b32_e32 v5, v8
	s_mov_b32 s10, s20
	s_mov_b32 s17, s1
	s_branch .LBB23_9
.LBB23_21:
                                        ; implicit-def: $sgpr10_sgpr11
	s_load_dwordx4 s[12:15], s[4:5], 0x44
	s_branch .LBB23_2
.LBB23_22:
                                        ; implicit-def: $sgpr18_sgpr19
	s_branch .LBB23_5
.LBB23_23:
	v_div_scale_f32 v0, null, v9, v9, v8
	v_rcp_f32_e32 v3, v0
	v_fma_f32 v4, -v0, v3, 1.0
	v_fmac_f32_e32 v3, v4, v3
	v_div_scale_f32 v4, vcc_lo, v8, v9, v8
	s_waitcnt vmcnt(0)
	v_mul_f32_e32 v5, v4, v3
	v_fma_f32 v6, -v0, v5, v4
	v_fmac_f32_e32 v5, v6, v3
	v_fma_f32 v0, -v0, v5, v4
	v_div_fmas_f32 v0, v0, v3, v5
	v_div_fixup_f32 v0, v0, v9, v8
	global_store_dword v[1:2], v0, off
.LBB23_24:
	s_endpgm
	.section	.rodata,"a",@progbits
	.p2align	6, 0x0
	.amdhsa_kernel _ZL33flash_attn_stream_k_fixup_generalILi72ELi8ELi4EEvPfPK15HIP_vector_typeIfLj2EEiiiiS1_IjLj3EES5_S5_S5_
		.amdhsa_group_segment_fixed_size 0
		.amdhsa_private_segment_fixed_size 0
		.amdhsa_kernarg_size 336
		.amdhsa_user_sgpr_count 6
		.amdhsa_user_sgpr_private_segment_buffer 1
		.amdhsa_user_sgpr_dispatch_ptr 0
		.amdhsa_user_sgpr_queue_ptr 0
		.amdhsa_user_sgpr_kernarg_segment_ptr 1
		.amdhsa_user_sgpr_dispatch_id 0
		.amdhsa_user_sgpr_flat_scratch_init 0
		.amdhsa_user_sgpr_private_segment_size 0
		.amdhsa_wavefront_size32 1
		.amdhsa_uses_dynamic_stack 0
		.amdhsa_system_sgpr_private_segment_wavefront_offset 0
		.amdhsa_system_sgpr_workgroup_id_x 1
		.amdhsa_system_sgpr_workgroup_id_y 1
		.amdhsa_system_sgpr_workgroup_id_z 1
		.amdhsa_system_sgpr_workgroup_info 0
		.amdhsa_system_vgpr_workitem_id 0
		.amdhsa_next_free_vgpr 17
		.amdhsa_next_free_sgpr 31
		.amdhsa_reserve_vcc 1
		.amdhsa_reserve_flat_scratch 0
		.amdhsa_float_round_mode_32 0
		.amdhsa_float_round_mode_16_64 0
		.amdhsa_float_denorm_mode_32 3
		.amdhsa_float_denorm_mode_16_64 3
		.amdhsa_dx10_clamp 1
		.amdhsa_ieee_mode 1
		.amdhsa_fp16_overflow 0
		.amdhsa_workgroup_processor_mode 1
		.amdhsa_memory_ordered 1
		.amdhsa_forward_progress 1
		.amdhsa_shared_vgpr_count 0
		.amdhsa_exception_fp_ieee_invalid_op 0
		.amdhsa_exception_fp_denorm_src 0
		.amdhsa_exception_fp_ieee_div_zero 0
		.amdhsa_exception_fp_ieee_overflow 0
		.amdhsa_exception_fp_ieee_underflow 0
		.amdhsa_exception_fp_ieee_inexact 0
		.amdhsa_exception_int_div_zero 0
	.end_amdhsa_kernel
	.section	.text._ZL33flash_attn_stream_k_fixup_generalILi72ELi8ELi4EEvPfPK15HIP_vector_typeIfLj2EEiiiiS1_IjLj3EES5_S5_S5_,"axG",@progbits,_ZL33flash_attn_stream_k_fixup_generalILi72ELi8ELi4EEvPfPK15HIP_vector_typeIfLj2EEiiiiS1_IjLj3EES5_S5_S5_,comdat
.Lfunc_end23:
	.size	_ZL33flash_attn_stream_k_fixup_generalILi72ELi8ELi4EEvPfPK15HIP_vector_typeIfLj2EEiiiiS1_IjLj3EES5_S5_S5_, .Lfunc_end23-_ZL33flash_attn_stream_k_fixup_generalILi72ELi8ELi4EEvPfPK15HIP_vector_typeIfLj2EEiiiiS1_IjLj3EES5_S5_S5_
                                        ; -- End function
	.set _ZL33flash_attn_stream_k_fixup_generalILi72ELi8ELi4EEvPfPK15HIP_vector_typeIfLj2EEiiiiS1_IjLj3EES5_S5_S5_.num_vgpr, 17
	.set _ZL33flash_attn_stream_k_fixup_generalILi72ELi8ELi4EEvPfPK15HIP_vector_typeIfLj2EEiiiiS1_IjLj3EES5_S5_S5_.num_agpr, 0
	.set _ZL33flash_attn_stream_k_fixup_generalILi72ELi8ELi4EEvPfPK15HIP_vector_typeIfLj2EEiiiiS1_IjLj3EES5_S5_S5_.numbered_sgpr, 31
	.set _ZL33flash_attn_stream_k_fixup_generalILi72ELi8ELi4EEvPfPK15HIP_vector_typeIfLj2EEiiiiS1_IjLj3EES5_S5_S5_.num_named_barrier, 0
	.set _ZL33flash_attn_stream_k_fixup_generalILi72ELi8ELi4EEvPfPK15HIP_vector_typeIfLj2EEiiiiS1_IjLj3EES5_S5_S5_.private_seg_size, 0
	.set _ZL33flash_attn_stream_k_fixup_generalILi72ELi8ELi4EEvPfPK15HIP_vector_typeIfLj2EEiiiiS1_IjLj3EES5_S5_S5_.uses_vcc, 1
	.set _ZL33flash_attn_stream_k_fixup_generalILi72ELi8ELi4EEvPfPK15HIP_vector_typeIfLj2EEiiiiS1_IjLj3EES5_S5_S5_.uses_flat_scratch, 0
	.set _ZL33flash_attn_stream_k_fixup_generalILi72ELi8ELi4EEvPfPK15HIP_vector_typeIfLj2EEiiiiS1_IjLj3EES5_S5_S5_.has_dyn_sized_stack, 0
	.set _ZL33flash_attn_stream_k_fixup_generalILi72ELi8ELi4EEvPfPK15HIP_vector_typeIfLj2EEiiiiS1_IjLj3EES5_S5_S5_.has_recursion, 0
	.set _ZL33flash_attn_stream_k_fixup_generalILi72ELi8ELi4EEvPfPK15HIP_vector_typeIfLj2EEiiiiS1_IjLj3EES5_S5_S5_.has_indirect_call, 0
	.section	.AMDGPU.csdata,"",@progbits
; Kernel info:
; codeLenInByte = 2948
; TotalNumSgprs: 33
; NumVgprs: 17
; ScratchSize: 0
; MemoryBound: 0
; FloatMode: 240
; IeeeMode: 1
; LDSByteSize: 0 bytes/workgroup (compile time only)
; SGPRBlocks: 0
; VGPRBlocks: 2
; NumSGPRsForWavesPerEU: 33
; NumVGPRsForWavesPerEU: 17
; Occupancy: 16
; WaveLimiterHint : 0
; COMPUTE_PGM_RSRC2:SCRATCH_EN: 0
; COMPUTE_PGM_RSRC2:USER_SGPR: 6
; COMPUTE_PGM_RSRC2:TRAP_HANDLER: 0
; COMPUTE_PGM_RSRC2:TGID_X_EN: 1
; COMPUTE_PGM_RSRC2:TGID_Y_EN: 1
; COMPUTE_PGM_RSRC2:TGID_Z_EN: 1
; COMPUTE_PGM_RSRC2:TIDIG_COMP_CNT: 0
	.section	.text._ZL15flash_attn_tileILi72ELi72ELi4ELi4ELb0EEvPKcS1_S1_S1_S1_PKiPfP15HIP_vector_typeIfLj2EEffffjfiS5_IjLj3EEiiiiiiiiiiiliiliiiiil,"axG",@progbits,_ZL15flash_attn_tileILi72ELi72ELi4ELi4ELb0EEvPKcS1_S1_S1_S1_PKiPfP15HIP_vector_typeIfLj2EEffffjfiS5_IjLj3EEiiiiiiiiiiiliiliiiiil,comdat
	.globl	_ZL15flash_attn_tileILi72ELi72ELi4ELi4ELb0EEvPKcS1_S1_S1_S1_PKiPfP15HIP_vector_typeIfLj2EEffffjfiS5_IjLj3EEiiiiiiiiiiiliiliiiiil ; -- Begin function _ZL15flash_attn_tileILi72ELi72ELi4ELi4ELb0EEvPKcS1_S1_S1_S1_PKiPfP15HIP_vector_typeIfLj2EEffffjfiS5_IjLj3EEiiiiiiiiiiiliiliiiiil
	.p2align	8
	.type	_ZL15flash_attn_tileILi72ELi72ELi4ELi4ELb0EEvPKcS1_S1_S1_S1_PKiPfP15HIP_vector_typeIfLj2EEffffjfiS5_IjLj3EEiiiiiiiiiiiliiliiiiil,@function
_ZL15flash_attn_tileILi72ELi72ELi4ELi4ELb0EEvPKcS1_S1_S1_S1_PKiPfP15HIP_vector_typeIfLj2EEffffjfiS5_IjLj3EEiiiiiiiiiiiliiliiiiil: ; @_ZL15flash_attn_tileILi72ELi72ELi4ELi4ELb0EEvPKcS1_S1_S1_S1_PKiPfP15HIP_vector_typeIfLj2EEffffjfiS5_IjLj3EEiiiiiiiiiiiliiliiiiil
; %bb.0:
	s_clause 0x1
	s_load_dwordx4 s[24:27], s[4:5], 0x5c
	s_load_dwordx2 s[34:35], s[4:5], 0x80
	s_mov_b64 s[36:37], 0
	s_waitcnt lgkmcnt(0)
	s_ashr_i32 s0, s27, 31
	s_lshr_b32 s0, s0, 30
	s_add_i32 s0, s27, s0
	s_ashr_i32 s0, s0, 2
	v_cvt_f32_u32_e32 v2, s0
	s_sub_i32 s2, 0, s0
	v_rcp_iflag_f32_e32 v2, v2
	v_mul_f32_e32 v2, 0x4f7ffffe, v2
	v_cvt_u32_f32_e32 v2, v2
	v_readfirstlane_b32 s1, v2
	s_mul_i32 s2, s2, s1
	s_mul_hi_u32 s2, s1, s2
	s_add_i32 s1, s1, s2
	s_mul_hi_u32 s1, s8, s1
	s_mul_i32 s2, s1, s0
	s_add_i32 s3, s1, 1
	s_sub_i32 s2, s8, s2
	s_sub_i32 s9, s2, s0
	s_cmp_ge_u32 s2, s0
	s_cselect_b32 s1, s3, s1
	s_cselect_b32 s2, s9, s2
	s_add_i32 s3, s1, 1
	s_cmp_ge_u32 s2, s0
	s_cselect_b32 s33, s3, s1
	s_abs_i32 s0, s35
	s_abs_i32 s3, s27
	v_cvt_f32_u32_e32 v2, s0
	s_sub_i32 s2, 0, s0
	s_lshl_b32 s28, s8, 2
	s_mul_i32 s29, s33, s27
	v_rcp_iflag_f32_e32 v2, v2
	v_mul_f32_e32 v2, 0x4f7ffffe, v2
	v_cvt_u32_f32_e32 v2, v2
	v_readfirstlane_b32 s1, v2
	s_mul_i32 s2, s2, s1
	s_mul_hi_u32 s2, s1, s2
	s_add_i32 s1, s1, s2
	s_xor_b32 s2, s27, s35
	s_mul_hi_u32 s1, s3, s1
	s_ashr_i32 s2, s2, 31
	s_mul_i32 s8, s1, s0
	s_sub_i32 s3, s3, s8
	s_add_i32 s8, s1, 1
	s_sub_i32 s9, s3, s0
	s_cmp_ge_u32 s3, s0
	s_cselect_b32 s1, s8, s1
	s_cselect_b32 s3, s9, s3
	s_add_i32 s8, s1, 1
	s_cmp_ge_u32 s3, s0
	s_cselect_b32 s0, s8, s1
	s_xor_b32 s0, s0, s2
	s_sub_i32 s3, s0, s2
	s_clause 0x1
	s_load_dwordx16 s[8:23], s[4:5], 0x0
	s_load_dwordx2 s[0:1], s[4:5], 0xb8
	s_abs_i32 s2, s3
	v_cvt_f32_u32_e32 v2, s2
	v_rcp_iflag_f32_e32 v2, v2
	v_mul_f32_e32 v2, 0x4f7ffffe, v2
	s_waitcnt lgkmcnt(0)
	s_cmp_eq_u64 s[14:15], 0
	v_cvt_u32_f32_e32 v2, v2
	v_readfirstlane_b32 s35, v2
	s_cbranch_scc1 .LBB24_2
; %bb.1:
	s_abs_i32 s0, s0
	s_abs_i32 s36, s33
	v_cvt_f32_u32_e32 v2, s0
	s_sub_i32 s31, 0, s0
	v_rcp_iflag_f32_e32 v2, v2
	v_mul_f32_e32 v2, 0x4f7ffffe, v2
	v_cvt_u32_f32_e32 v2, v2
	v_readfirstlane_b32 s30, v2
	s_mul_i32 s31, s31, s30
	s_mul_hi_u32 s31, s30, s31
	s_add_i32 s30, s30, s31
	s_mul_hi_u32 s37, s36, s30
	s_load_dwordx2 s[30:31], s[4:5], 0xc8
	s_mul_i32 s37, s37, s0
	s_sub_i32 s36, s36, s37
	s_ashr_i32 s37, s33, 31
	s_sub_i32 s38, s36, s0
	s_cmp_ge_u32 s36, s0
	s_cselect_b32 s36, s38, s36
	s_sub_i32 s38, s36, s0
	s_cmp_ge_u32 s36, s0
	s_cselect_b32 s0, s38, s36
	s_xor_b32 s0, s0, s37
	s_sub_i32 s0, s0, s37
	s_ashr_i32 s36, s0, 31
	s_waitcnt lgkmcnt(0)
	s_mul_hi_u32 s37, s30, s0
	s_mul_i32 s36, s30, s36
	s_mul_i32 s31, s31, s0
	s_add_i32 s36, s37, s36
	s_mul_i32 s0, s30, s0
	s_add_i32 s30, s36, s31
	s_add_u32 s36, s14, s0
	s_addc_u32 s37, s15, s30
.LBB24_2:
	v_lshrrev_b32_e32 v2, 1, v1
	v_lshlrev_b32_e32 v5, 1, v1
	v_cmp_gt_u32_e64 s0, 18, v0
	v_lshlrev_b32_e32 v16, 3, v0
	s_sub_i32 s14, s28, s29
	v_lshl_add_u32 v3, s6, 2, v2
	v_and_b32_e32 v15, 2, v5
	v_mul_hi_u32 v2, s24, v3
	v_add_nc_u32_e32 v2, v3, v2
	v_lshrrev_b32_e32 v2, s25, v2
	v_mul_lo_u32 v4, v2, s26
	v_lshlrev_b32_e32 v2, 2, v0
	v_sub_nc_u32_e32 v4, v3, v4
	s_and_saveexec_b32 s15, s0
	s_cbranch_execz .LBB24_4
; %bb.3:
	s_load_dwordx4 s[28:31], s[4:5], 0x70
	v_or_b32_e32 v13, 1, v5
	v_add_nc_u32_e32 v14, 0x14e0, v16
	v_and_b32_e32 v11, 3, v13
	v_mad_u32_u24 v17, 0x120, v1, v14
	s_waitcnt lgkmcnt(0)
	s_mul_i32 s25, s33, s30
	s_mul_i32 s30, s14, s29
	s_ashr_i32 s31, s25, 31
	s_add_u32 s8, s8, s25
	s_addc_u32 s9, s9, s31
	s_ashr_i32 s25, s30, 31
	s_add_u32 s30, s8, s30
	s_mov_b32 s24, s28
	s_addc_u32 s31, s9, s25
	s_ashr_i32 s25, s28, 31
	s_lshr_b64 s[8:9], s[24:25], 2
	s_ashr_i32 s9, s29, 31
	v_mad_u64_u32 v[5:6], null, s8, v4, 0
	s_mov_b32 s8, s29
	s_lshr_b32 s24, s25, 2
	s_lshr_b32 s25, s9, 2
	s_lshr_b64 s[8:9], s[8:9], 2
	v_mul_lo_u32 v12, s25, v15
	v_mad_u64_u32 v[9:10], null, s8, v15, 0
	v_mad_u64_u32 v[6:7], null, s24, v4, v[6:7]
	;; [unrolled: 1-line block ×3, first 2 shown]
	s_load_dword s8, s[4:5], 0x40
	v_or_b32_e32 v10, v10, v12
	v_lshlrev_b64 v[5:6], 2, v[5:6]
	v_mad_u64_u32 v[11:12], null, s25, v11, v[8:9]
	v_lshlrev_b32_e32 v12, 2, v2
	v_lshlrev_b64 v[9:10], 2, v[9:10]
	v_add_co_u32 v5, vcc_lo, s30, v5
	v_add_co_ci_u32_e64 v6, null, s31, v6, vcc_lo
	v_mov_b32_e32 v8, v11
	v_add_co_u32 v11, vcc_lo, v5, v12
	v_add_co_ci_u32_e64 v12, null, 0, v6, vcc_lo
	v_lshlrev_b64 v[5:6], 2, v[7:8]
	v_add_co_u32 v7, vcc_lo, v11, v9
	v_add_co_ci_u32_e64 v8, null, v12, v10, vcc_lo
	v_add_co_u32 v9, vcc_lo, v11, v5
	v_add_co_ci_u32_e64 v10, null, v12, v6, vcc_lo
	s_clause 0x1
	global_load_dwordx4 v[5:8], v[7:8], off
	global_load_dwordx4 v[9:12], v[9:10], off
	s_waitcnt vmcnt(1) lgkmcnt(0)
	v_fma_mixlo_f16 v5, s8, v5, 0
	v_fma_mixlo_f16 v6, s8, v6, 0
	s_waitcnt vmcnt(0)
	v_fma_mixlo_f16 v9, s8, v9, 0
	v_fma_mixlo_f16 v10, s8, v10, 0
	;; [unrolled: 1-line block ×4, first 2 shown]
	v_lshlrev_b32_e32 v6, 16, v6
	v_and_b32_e32 v5, 0xffff, v5
	v_fma_mixlo_f16 v11, s8, v11, 0
	v_fma_mixlo_f16 v12, s8, v12, 0
	v_lshlrev_b32_e32 v10, 16, v10
	v_and_b32_e32 v9, 0xffff, v9
	v_lshlrev_b32_e32 v8, 16, v8
	v_and_b32_e32 v7, 0xffff, v7
	v_or_b32_e32 v5, v6, v5
	v_lshlrev_b32_e32 v12, 16, v12
	v_and_b32_e32 v11, 0xffff, v11
	v_or_b32_e32 v9, v10, v9
	v_or3_b32 v6, v8, v7, 0
	v_or3_b32 v5, 0, 0, v5
	v_mad_u32_u24 v10, 0x90, v13, v14
	v_or3_b32 v8, v12, v11, 0
	v_or3_b32 v7, 0, 0, v9
	ds_write_b64 v17, v[5:6]
	ds_write_b64 v10, v[7:8]
.LBB24_4:
	s_or_b32 exec_lo, exec_lo, s15
	s_cmp_eq_u64 s[18:19], 0
	s_waitcnt lgkmcnt(0)
	s_barrier
	buffer_gl0_inv
	s_cbranch_scc1 .LBB24_6
; %bb.5:
	s_load_dword s8, s[4:5], 0xd0
	s_mov_b32 s9, 0
	s_waitcnt lgkmcnt(0)
	s_mul_i32 s8, s8, s33
	s_add_i32 s8, s8, s6
	s_lshl_b64 s[8:9], s[8:9], 2
	s_add_u32 s8, s18, s8
	s_addc_u32 s9, s19, s9
	s_load_dword s34, s[8:9], 0x0
.LBB24_6:
	v_mbcnt_lo_u32_b32 v17, -1, 0
	s_lshl_b32 s9, s7, 5
	s_waitcnt lgkmcnt(0)
	s_cmp_lt_i32 s9, s34
	s_cbranch_scc1 .LBB24_9
; %bb.7:
	v_mbcnt_lo_u32_b32 v5, -1, 0
	v_mov_b32_e32 v18, 32
	v_xor_b32_e32 v23, 16, v5
	v_xor_b32_e32 v22, 8, v5
	;; [unrolled: 1-line block ×5, first 2 shown]
	s_cbranch_execz .LBB24_10
; %bb.8:
	v_mov_b32_e32 v24, 0
	v_mov_b32_e32 v37, 0
	;; [unrolled: 1-line block ×8, first 2 shown]
	s_branch .LBB24_18
.LBB24_9:
                                        ; implicit-def: $vgpr5
                                        ; implicit-def: $vgpr18
                                        ; implicit-def: $vgpr23
                                        ; implicit-def: $vgpr22
                                        ; implicit-def: $vgpr21
                                        ; implicit-def: $vgpr20
                                        ; implicit-def: $vgpr19
.LBB24_10:
	s_clause 0x1
	s_load_dwordx4 s[28:31], s[4:5], 0x98
	s_load_dwordx2 s[18:19], s[4:5], 0x8c
	s_sub_i32 s6, 0, s2
	s_ashr_i32 s25, s33, 31
	s_mul_i32 s6, s6, s35
	s_abs_i32 s8, s14
	s_mul_hi_u32 s6, s35, s6
	s_ashr_i32 s24, s14, 31
	s_add_i32 s35, s35, s6
	s_ashr_i32 s3, s3, 31
	s_mul_hi_u32 s6, s8, s35
	s_load_dwordx2 s[38:39], s[4:5], 0xa8
	s_ashr_i32 s1, s1, 1
	s_mul_i32 s35, s6, s2
	v_lshrrev_b32_e32 v5, 3, v0
	v_lshl_add_u32 v14, v1, 5, v0
	v_and_b32_e32 v18, 28, v2
	v_lshl_add_u32 v30, v1, 7, 0x1de0
	v_mov_b32_e32 v28, 0
	v_lshl_add_u32 v6, v1, 2, v5
	s_waitcnt lgkmcnt(0)
	s_ashr_i32 s15, s30, 2
	s_mul_hi_u32 s30, s28, s33
	s_mul_i32 s40, s28, s25
	s_mul_i32 s29, s29, s33
	s_add_i32 s30, s30, s40
	s_mul_i32 s28, s28, s33
	s_ashr_i32 s18, s18, 2
	s_add_i32 s30, s30, s29
	s_add_u32 s10, s10, s28
	s_addc_u32 s11, s11, s30
	s_sub_i32 s8, s8, s35
	s_xor_b32 s3, s24, s3
	s_add_i32 s24, s6, 1
	s_sub_i32 s28, s8, s2
	s_cmp_ge_u32 s8, s2
	v_mul_lo_u32 v7, s18, v6
	s_cselect_b32 s6, s24, s6
	s_cselect_b32 s8, s28, s8
	s_add_i32 s24, s6, 1
	s_cmp_ge_u32 s8, s2
	v_mul_lo_u32 v9, s18, v14
	s_cselect_b32 s2, s24, s6
	s_mul_hi_u32 s6, s38, s33
	s_xor_b32 s2, s2, s3
	v_mul_lo_u32 v11, s15, v14
	s_sub_i32 s2, s2, s3
	s_mul_i32 s3, s38, s25
	s_mul_i32 s8, s2, s19
	v_mul_lo_u32 v13, s15, v6
	s_ashr_i32 s24, s8, 31
	s_add_u32 s19, s10, s8
	s_mul_i32 s25, s39, s33
	s_addc_u32 s24, s11, s24
	s_add_i32 s3, s6, s3
	s_mul_i32 s6, s38, s33
	s_add_i32 s3, s3, s25
	s_mul_i32 s2, s2, s31
	s_add_u32 s6, s12, s6
	s_addc_u32 s3, s13, s3
	s_ashr_i32 s8, s2, 31
	s_add_u32 s12, s6, s2
	s_movk_i32 s2, 0x80
	v_mad_u64_u32 v[4:5], null, v4, s1, v[0:1]
	s_movk_i32 s1, 0x90
	v_lshlrev_b32_e32 v19, 2, v18
	v_cmp_gt_u32_e32 vcc_lo, 32, v14
	v_ashrrev_i32_e32 v8, 31, v7
	v_ashrrev_i32_e32 v10, 31, v9
	v_mad_u32_u24 v27, 0xa0, v14, s2
	v_ashrrev_i32_e32 v12, 31, v11
	v_mad_u32_u24 v31, v14, s1, 0x80
	v_ashrrev_i32_e32 v14, 31, v13
	s_movk_i32 s2, 0x120
	v_mad_u32_u24 v25, 0xa0, v6, v19
	v_mad_u32_u24 v32, 0x90, v6, v19
	v_lshlrev_b64 v[5:6], 2, v[9:10]
	v_lshlrev_b64 v[7:8], 2, v[7:8]
	;; [unrolled: 1-line block ×4, first 2 shown]
	v_mul_u32_u24_e32 v26, 0xa0, v0
	v_mad_u32_u24 v29, v1, s2, 0x14e0
	v_mov_b32_e32 v41, 0xfeffffff
	v_lshlrev_b32_e32 v33, 2, v18
	v_mov_b32_e32 v18, 32
	v_xor_b32_e32 v23, 16, v17
	v_xor_b32_e32 v22, 8, v17
	;; [unrolled: 1-line block ×5, first 2 shown]
	v_add_nc_u32_e32 v34, v30, v2
	v_mov_b32_e32 v35, 0x10001
	v_mov_b32_e32 v1, 0
	;; [unrolled: 1-line block ×7, first 2 shown]
	s_addc_u32 s13, s3, s8
	s_add_u32 s10, s4, 0xd0
	s_addc_u32 s11, s5, 0
.LBB24_11:                              ; =>This Inner Loop Header: Depth=1
	s_mul_hi_i32 s3, s9, s18
	s_mul_i32 s2, s9, s18
	s_lshl_b64 s[2:3], s[2:3], 2
	s_add_u32 s2, s19, s2
	s_addc_u32 s3, s24, s3
	s_and_saveexec_b32 s6, vcc_lo
	s_cbranch_execz .LBB24_13
; %bb.12:                               ;   in Loop: Header=BB24_11 Depth=1
	v_add_co_u32 v13, s1, s2, v5
	v_add_co_ci_u32_e64 v14, null, s3, v6, s1
	global_load_dwordx4 v[43:46], v[13:14], off offset:128
	s_waitcnt vmcnt(0)
	ds_write_b128 v27, v[43:46]
.LBB24_13:                              ;   in Loop: Header=BB24_11 Depth=1
	s_or_b32 exec_lo, exec_lo, s6
	v_add_co_u32 v13, s1, s2, v7
	v_add_co_ci_u32_e64 v14, null, s3, v8, s1
	v_mov_b32_e32 v37, 0
	v_add_co_u32 v13, s1, v13, v33
	v_add_co_ci_u32_e64 v14, null, 0, v14, s1
	v_mov_b32_e32 v38, 0
	s_mul_hi_i32 s29, s9, s15
	s_mul_i32 s28, s9, s15
	global_load_dwordx4 v[43:46], v[13:14], off
	v_add_nc_u32_e32 v13, s9, v4
	s_lshl_b64 s[28:29], s[28:29], 2
	s_add_u32 s25, s12, s28
	s_addc_u32 s28, s13, s29
	v_ashrrev_i32_e32 v14, 31, v13
	v_lshlrev_b64 v[13:14], 1, v[13:14]
	v_add_co_u32 v13, s1, s36, v13
	v_add_co_ci_u32_e64 v14, null, s37, v14, s1
	v_cmp_gt_i32_e64 s1, 32, v23
	s_waitcnt vmcnt(0)
	ds_write_b128 v25, v[43:46]
	s_waitcnt lgkmcnt(0)
	s_barrier
	buffer_gl0_inv
	ds_read_b128 v[43:46], v26
	ds_read_b128 v[47:50], v29
	ds_read_b128 v[51:54], v29 offset:144
	s_waitcnt lgkmcnt(1)
	;;#ASMSTART
	v_dot2_f32_f16 v37, v43, v47, v37
	;;#ASMEND
	;;#ASMSTART
	v_dot2_f32_f16 v37, v44, v48, v37
	;;#ASMEND
	;;#ASMSTART
	v_dot2_f32_f16 v37, v45, v49, v37
	;;#ASMEND
	;;#ASMSTART
	v_dot2_f32_f16 v37, v46, v50, v37
	;;#ASMEND
	s_waitcnt lgkmcnt(0)
	;;#ASMSTART
	v_dot2_f32_f16 v38, v43, v51, v38
	;;#ASMEND
	;;#ASMSTART
	v_dot2_f32_f16 v38, v44, v52, v38
	;;#ASMEND
	;;#ASMSTART
	v_dot2_f32_f16 v38, v45, v53, v38
	;;#ASMEND
	;;#ASMSTART
	v_dot2_f32_f16 v38, v46, v54, v38
	;;#ASMEND
	ds_read_b128 v[43:46], v26 offset:16
	ds_read_b128 v[47:50], v29 offset:16
	ds_read_b128 v[51:54], v29 offset:160
	s_waitcnt lgkmcnt(1)
	;;#ASMSTART
	v_dot2_f32_f16 v37, v43, v47, v37
	;;#ASMEND
	;;#ASMSTART
	v_dot2_f32_f16 v37, v44, v48, v37
	;;#ASMEND
	;;#ASMSTART
	v_dot2_f32_f16 v37, v45, v49, v37
	;;#ASMEND
	;;#ASMSTART
	v_dot2_f32_f16 v37, v46, v50, v37
	;;#ASMEND
	s_waitcnt lgkmcnt(0)
	;;#ASMSTART
	v_dot2_f32_f16 v38, v43, v51, v38
	;;#ASMEND
	;;#ASMSTART
	v_dot2_f32_f16 v38, v44, v52, v38
	;;#ASMEND
	;;#ASMSTART
	v_dot2_f32_f16 v38, v45, v53, v38
	;;#ASMEND
	;;#ASMSTART
	v_dot2_f32_f16 v38, v46, v54, v38
	;;#ASMEND
	ds_read_b128 v[43:46], v26 offset:32
	ds_read_b128 v[47:50], v29 offset:32
	;; [unrolled: 29-line block ×8, first 2 shown]
	ds_read_b128 v[51:54], v29 offset:272
	s_waitcnt lgkmcnt(1)
	;;#ASMSTART
	v_dot2_f32_f16 v37, v43, v47, v37
	;;#ASMEND
	;;#ASMSTART
	v_dot2_f32_f16 v37, v44, v48, v37
	;;#ASMEND
	;; [unrolled: 3-line block ×4, first 2 shown]
	s_waitcnt lgkmcnt(0)
	;;#ASMSTART
	v_dot2_f32_f16 v38, v43, v51, v38
	;;#ASMEND
	;;#ASMSTART
	v_dot2_f32_f16 v38, v44, v52, v38
	;;#ASMEND
	;; [unrolled: 3-line block ×4, first 2 shown]
	global_load_ushort v13, v[13:14], off
	v_max_f32_e32 v14, v41, v41
	v_max_f32_e32 v44, v42, v42
	s_waitcnt vmcnt(0)
	s_barrier
	buffer_gl0_inv
	v_cvt_f32_f16_e32 v13, v13
	v_add_f32_e32 v37, v37, v13
	v_add_f32_e32 v38, v38, v13
	v_cndmask_b32_e64 v13, v17, v23, s1
	v_cmp_gt_i32_e64 s1, 32, v22
	v_add_f32_e32 v43, 0x40051340, v37
	v_add_f32_e32 v45, 0x40051340, v38
	v_lshlrev_b32_e32 v13, 2, v13
	v_max_f32_e32 v14, v14, v43
	v_max_f32_e32 v43, v44, v45
	v_cndmask_b32_e64 v45, v17, v22, s1
	v_cmp_gt_i32_e64 s1, 32, v21
	ds_bpermute_b32 v44, v13, v14
	ds_bpermute_b32 v13, v13, v43
	v_lshlrev_b32_e32 v45, 2, v45
	s_waitcnt lgkmcnt(1)
	v_max_f32_e32 v44, v44, v44
	s_waitcnt lgkmcnt(0)
	v_max_f32_e32 v13, v13, v13
	v_max_f32_e32 v14, v14, v44
	;; [unrolled: 1-line block ×3, first 2 shown]
	ds_bpermute_b32 v43, v45, v14
	ds_bpermute_b32 v44, v45, v13
	v_cndmask_b32_e64 v45, v17, v21, s1
	v_cmp_gt_i32_e64 s1, 32, v20
	v_lshlrev_b32_e32 v45, 2, v45
	s_waitcnt lgkmcnt(1)
	v_max_f32_e32 v43, v43, v43
	s_waitcnt lgkmcnt(0)
	v_max_f32_e32 v44, v44, v44
	v_max_f32_e32 v14, v14, v43
	;; [unrolled: 1-line block ×3, first 2 shown]
	ds_bpermute_b32 v43, v45, v14
	ds_bpermute_b32 v44, v45, v13
	v_cndmask_b32_e64 v45, v17, v20, s1
	v_cmp_gt_i32_e64 s1, 32, v19
	v_lshlrev_b32_e32 v45, 2, v45
	s_waitcnt lgkmcnt(1)
	v_max_f32_e32 v43, v43, v43
	s_waitcnt lgkmcnt(0)
	v_max_f32_e32 v44, v44, v44
	v_max_f32_e32 v14, v14, v43
	;; [unrolled: 1-line block ×3, first 2 shown]
	ds_bpermute_b32 v43, v45, v14
	ds_bpermute_b32 v44, v45, v13
	v_cndmask_b32_e64 v45, v17, v19, s1
	v_lshlrev_b32_e32 v45, 2, v45
	s_waitcnt lgkmcnt(1)
	v_max_f32_e32 v43, v43, v43
	s_waitcnt lgkmcnt(0)
	v_max_f32_e32 v44, v44, v44
	v_max_f32_e32 v14, v14, v43
	;; [unrolled: 1-line block ×3, first 2 shown]
	ds_bpermute_b32 v13, v45, v14
	ds_bpermute_b32 v44, v45, v43
	s_waitcnt lgkmcnt(1)
	v_max_f32_e32 v13, v13, v13
	s_waitcnt lgkmcnt(0)
	v_max_f32_e32 v44, v44, v44
	v_max_f32_e32 v13, v14, v13
	;; [unrolled: 1-line block ×3, first 2 shown]
	v_sub_f32_e32 v37, v37, v13
	v_sub_f32_e32 v43, v38, v14
	;; [unrolled: 1-line block ×4, first 2 shown]
	v_mul_f32_e32 v38, 0x3fb8aa3b, v37
	v_mul_f32_e32 v44, 0x3fb8aa3b, v43
	v_cmp_ngt_f32_e64 s1, 0xc2ce8ed0, v37
	v_cmp_ngt_f32_e64 s2, 0xc2ce8ed0, v41
	;; [unrolled: 1-line block ×3, first 2 shown]
	v_fma_f32 v45, 0x3fb8aa3b, v37, -v38
	v_rndne_f32_e32 v46, v38
	v_fma_f32 v47, 0x3fb8aa3b, v43, -v44
	v_rndne_f32_e32 v48, v44
	v_cmp_nlt_f32_e64 s3, 0x42b17218, v42
	v_fmac_f32_e32 v45, 0x32a5705f, v37
	v_sub_f32_e32 v38, v38, v46
	v_fmac_f32_e32 v47, 0x32a5705f, v43
	v_sub_f32_e32 v44, v44, v48
	v_add_f32_e32 v38, v38, v45
	v_cvt_i32_f32_e32 v45, v46
	v_add_f32_e32 v44, v44, v47
	v_cvt_i32_f32_e32 v46, v48
	v_exp_f32_e32 v38, v38
	v_exp_f32_e32 v44, v44
	v_ldexp_f32 v38, v38, v45
	v_ldexp_f32 v44, v44, v46
	v_cndmask_b32_e64 v38, 0, v38, s1
	v_cmp_ngt_f32_e64 s1, 0xc2ce8ed0, v43
	v_cndmask_b32_e64 v44, 0, v44, s1
	v_cmp_nlt_f32_e64 s1, 0x42b17218, v37
	v_cndmask_b32_e64 v38, 0x7f800000, v38, s1
	v_cmp_nlt_f32_e64 s1, 0x42b17218, v43
	v_cvt_f16_f32_e32 v43, v38
	v_cndmask_b32_e64 v37, 0x7f800000, v44, s1
	v_cmp_nlt_f32_e64 s1, 0x42b17218, v41
	v_cvt_f16_f32_e32 v44, v37
	v_pack_b32_f16 v43, v43, v44
	ds_write_b32 v34, v43
	s_and_saveexec_b32 s29, vcc_lo
	s_cbranch_execz .LBB24_15
; %bb.14:                               ;   in Loop: Header=BB24_11 Depth=1
	v_add_co_u32 v43, s8, s25, v9
	v_add_co_ci_u32_e64 v44, null, s28, v10, s8
	global_load_dwordx4 v[43:46], v[43:44], off offset:128
	s_waitcnt vmcnt(0)
	ds_write_b128 v31, v[43:46]
.LBB24_15:                              ;   in Loop: Header=BB24_11 Depth=1
	s_or_b32 exec_lo, exec_lo, s29
	v_add_co_u32 v43, s8, s25, v11
	v_add_co_ci_u32_e64 v44, null, s28, v12, s8
	v_mul_f32_e32 v47, 0x3fb8aa3b, v41
	v_add_co_u32 v43, s8, v43, v33
	v_add_co_ci_u32_e64 v44, null, 0, v44, s8
	v_mul_f32_e32 v48, 0x3fb8aa3b, v42
	v_fma_f32 v49, 0x3fb8aa3b, v41, -v47
	v_rndne_f32_e32 v50, v47
	global_load_dwordx4 v[43:46], v[43:44], off
	v_add_nc_u32_e32 v85, 0x400, v16
	v_fma_f32 v51, 0x3fb8aa3b, v42, -v48
	v_rndne_f32_e32 v52, v48
	v_fmac_f32_e32 v49, 0x32a5705f, v41
	v_sub_f32_e32 v41, v47, v50
	v_cvt_i32_f32_e32 v47, v50
	v_fmac_f32_e32 v51, 0x32a5705f, v42
	v_sub_f32_e32 v42, v48, v52
	v_cvt_i32_f32_e32 v48, v52
	v_add_f32_e32 v41, v41, v49
	v_add_nc_u32_e32 v109, 0x800, v16
	v_add_nc_u32_e32 v110, 0xc00, v16
	v_add_f32_e32 v42, v42, v51
	v_add_nc_u32_e32 v111, 0x1000, v16
	v_exp_f32_e32 v41, v41
	v_exp_f32_e32 v42, v42
	v_ldexp_f32 v41, v41, v47
	v_ldexp_f32 v42, v42, v48
	v_cndmask_b32_e64 v41, 0, v41, s2
	v_cndmask_b32_e64 v42, 0, v42, s6
	;; [unrolled: 1-line block ×4, first 2 shown]
	v_cvt_f16_f32_e32 v41, v47
	v_fmac_f32_e32 v38, v39, v47
	v_cvt_f16_f32_e32 v42, v48
	v_fmac_f32_e32 v37, v40, v48
	v_mul_u32_u24_sdwa v105, v41, v35 dst_sel:DWORD dst_unused:UNUSED_PAD src0_sel:WORD_0 src1_sel:DWORD
	v_mul_u32_u24_sdwa v106, v42, v35 dst_sel:DWORD dst_unused:UNUSED_PAD src0_sel:WORD_0 src1_sel:DWORD
	v_pk_mul_f16 v36, v36, v105
	v_pk_mul_f16 v28, v28, v106
	s_waitcnt vmcnt(0)
	ds_write_b128 v32, v[43:46]
	s_waitcnt lgkmcnt(0)
	s_barrier
	buffer_gl0_inv
	ds_read_b128 v[41:44], v30
	ds_read_b128 v[45:48], v30 offset:16
	ds_read2_b64 v[49:52], v16 offset1:18
	ds_read_b128 v[53:56], v30 offset:32
	ds_read_b128 v[57:60], v30 offset:48
	ds_read2_b64 v[61:64], v16 offset0:36 offset1:54
	ds_read2_b64 v[65:68], v16 offset0:72 offset1:90
	;; [unrolled: 1-line block ×10, first 2 shown]
	s_waitcnt lgkmcnt(13)
	v_mul_u32_u24_sdwa v119, v45, v35 dst_sel:DWORD dst_unused:UNUSED_PAD src0_sel:WORD_0 src1_sel:DWORD
	v_mul_u32_u24_sdwa v120, v47, v35 dst_sel:DWORD dst_unused:UNUSED_PAD src0_sel:WORD_0 src1_sel:DWORD
	v_mul_u32_u24_sdwa v121, v47, v35 dst_sel:DWORD dst_unused:UNUSED_PAD src0_sel:WORD_1 src1_sel:DWORD
	v_mul_u32_u24_sdwa v122, v48, v35 dst_sel:DWORD dst_unused:UNUSED_PAD src0_sel:WORD_0 src1_sel:DWORD
	v_mul_u32_u24_sdwa v123, v48, v35 dst_sel:DWORD dst_unused:UNUSED_PAD src0_sel:WORD_1 src1_sel:DWORD
	s_waitcnt lgkmcnt(11)
	v_mul_u32_u24_sdwa v124, v55, v35 dst_sel:DWORD dst_unused:UNUSED_PAD src0_sel:WORD_0 src1_sel:DWORD
	v_mul_u32_u24_sdwa v125, v55, v35 dst_sel:DWORD dst_unused:UNUSED_PAD src0_sel:WORD_1 src1_sel:DWORD
	v_mul_u32_u24_sdwa v126, v56, v35 dst_sel:DWORD dst_unused:UNUSED_PAD src0_sel:WORD_0 src1_sel:DWORD
	v_mul_u32_u24_sdwa v127, v56, v35 dst_sel:DWORD dst_unused:UNUSED_PAD src0_sel:WORD_1 src1_sel:DWORD
	;; [unrolled: 2-line block ×5, first 2 shown]
	v_pk_mul_f16 v43, v49, v107
	v_pk_mul_f16 v44, v49, v112
	v_mul_u32_u24_sdwa v113, v42, v35 dst_sel:DWORD dst_unused:UNUSED_PAD src0_sel:WORD_0 src1_sel:DWORD
	v_mul_u32_u24_sdwa v114, v42, v35 dst_sel:DWORD dst_unused:UNUSED_PAD src0_sel:WORD_1 src1_sel:DWORD
	v_pk_fma_f16 v36, v50, v107, v36
	v_pk_fma_f16 v24, v24, v105, v43
	v_pk_fma_f16 v1, v1, v106, v44
	v_pk_fma_f16 v28, v50, v112, v28
	v_mul_u32_u24_sdwa v112, v45, v35 dst_sel:DWORD dst_unused:UNUSED_PAD src0_sel:WORD_1 src1_sel:DWORD
	v_pk_fma_f16 v36, v52, v113, v36
	v_pk_fma_f16 v24, v51, v113, v24
	v_pk_fma_f16 v1, v51, v114, v1
	v_pk_fma_f16 v28, v52, v114, v28
	v_mul_u32_u24_sdwa v113, v46, v35 dst_sel:DWORD dst_unused:UNUSED_PAD src0_sel:WORD_0 src1_sel:DWORD
	s_waitcnt lgkmcnt(9)
	v_pk_fma_f16 v36, v62, v115, v36
	v_pk_fma_f16 v24, v61, v115, v24
	v_pk_fma_f16 v1, v61, v116, v1
	v_pk_fma_f16 v28, v62, v116, v28
	v_mul_u32_u24_sdwa v114, v46, v35 dst_sel:DWORD dst_unused:UNUSED_PAD src0_sel:WORD_1 src1_sel:DWORD
	v_pk_fma_f16 v36, v64, v117, v36
	v_pk_fma_f16 v24, v63, v117, v24
	v_pk_fma_f16 v1, v63, v118, v1
	v_pk_fma_f16 v28, v64, v118, v28
	v_mul_u32_u24_sdwa v115, v53, v35 dst_sel:DWORD dst_unused:UNUSED_PAD src0_sel:WORD_0 src1_sel:DWORD
	s_waitcnt lgkmcnt(8)
	;; [unrolled: 11-line block ×3, first 2 shown]
	v_pk_fma_f16 v36, v70, v120, v36
	v_pk_fma_f16 v24, v69, v120, v24
	;; [unrolled: 1-line block ×4, first 2 shown]
	v_mul_u32_u24_sdwa v118, v54, v35 dst_sel:DWORD dst_unused:UNUSED_PAD src0_sel:WORD_1 src1_sel:DWORD
	v_pk_fma_f16 v36, v72, v122, v36
	v_pk_fma_f16 v24, v71, v122, v24
	;; [unrolled: 1-line block ×4, first 2 shown]
	ds_read_b128 v[39:42], v30 offset:64
	ds_read_b128 v[101:104], v30 offset:80
	s_waitcnt lgkmcnt(8)
	v_pk_fma_f16 v36, v74, v115, v36
	v_pk_fma_f16 v24, v73, v115, v24
	;; [unrolled: 1-line block ×4, first 2 shown]
	ds_read2_b64 v[105:108], v109 offset0:140 offset1:158
	v_pk_fma_f16 v36, v76, v117, v36
	v_pk_fma_f16 v24, v75, v117, v24
	;; [unrolled: 1-line block ×4, first 2 shown]
	ds_read2_b64 v[43:46], v109 offset0:176 offset1:194
	s_waitcnt lgkmcnt(9)
	v_pk_fma_f16 v36, v78, v124, v36
	v_pk_fma_f16 v24, v77, v124, v24
	;; [unrolled: 1-line block ×4, first 2 shown]
	ds_read2_b64 v[47:50], v109 offset0:212 offset1:230
	v_mul_u32_u24_sdwa v109, v57, v35 dst_sel:DWORD dst_unused:UNUSED_PAD src0_sel:WORD_0 src1_sel:DWORD
	v_mul_u32_u24_sdwa v67, v57, v35 dst_sel:DWORD dst_unused:UNUSED_PAD src0_sel:WORD_1 src1_sel:DWORD
	v_pk_fma_f16 v36, v80, v126, v36
	v_pk_fma_f16 v28, v80, v127, v28
	;; [unrolled: 1-line block ×4, first 2 shown]
	ds_read2_b64 v[51:54], v110 offset0:120 offset1:138
	v_mul_u32_u24_sdwa v68, v58, v35 dst_sel:DWORD dst_unused:UNUSED_PAD src0_sel:WORD_0 src1_sel:DWORD
	v_mul_u32_u24_sdwa v110, v58, v35 dst_sel:DWORD dst_unused:UNUSED_PAD src0_sel:WORD_1 src1_sel:DWORD
	s_waitcnt lgkmcnt(10)
	v_pk_fma_f16 v36, v82, v109, v36
	v_pk_fma_f16 v28, v82, v67, v28
	;; [unrolled: 1-line block ×4, first 2 shown]
	v_mul_u32_u24_sdwa v112, v59, v35 dst_sel:DWORD dst_unused:UNUSED_PAD src0_sel:WORD_0 src1_sel:DWORD
	v_mul_u32_u24_sdwa v113, v59, v35 dst_sel:DWORD dst_unused:UNUSED_PAD src0_sel:WORD_1 src1_sel:DWORD
	v_pk_fma_f16 v36, v84, v68, v36
	v_pk_fma_f16 v28, v84, v110, v28
	;; [unrolled: 1-line block ×4, first 2 shown]
	v_mul_u32_u24_sdwa v70, v60, v35 dst_sel:DWORD dst_unused:UNUSED_PAD src0_sel:WORD_0 src1_sel:DWORD
	v_mul_u32_u24_sdwa v69, v60, v35 dst_sel:DWORD dst_unused:UNUSED_PAD src0_sel:WORD_1 src1_sel:DWORD
	s_waitcnt lgkmcnt(9)
	v_pk_fma_f16 v36, v86, v112, v36
	v_pk_fma_f16 v28, v86, v113, v28
	;; [unrolled: 1-line block ×4, first 2 shown]
	s_waitcnt lgkmcnt(5)
	v_mul_u32_u24_sdwa v71, v39, v35 dst_sel:DWORD dst_unused:UNUSED_PAD src0_sel:WORD_0 src1_sel:DWORD
	v_mul_u32_u24_sdwa v39, v39, v35 dst_sel:DWORD dst_unused:UNUSED_PAD src0_sel:WORD_1 src1_sel:DWORD
	v_pk_fma_f16 v36, v88, v70, v36
	v_pk_fma_f16 v28, v88, v69, v28
	v_pk_fma_f16 v24, v87, v70, v24
	v_pk_fma_f16 v1, v87, v69, v1
	v_mul_u32_u24_sdwa v72, v40, v35 dst_sel:DWORD dst_unused:UNUSED_PAD src0_sel:WORD_0 src1_sel:DWORD
	v_mul_u32_u24_sdwa v40, v40, v35 dst_sel:DWORD dst_unused:UNUSED_PAD src0_sel:WORD_1 src1_sel:DWORD
	v_pk_fma_f16 v36, v90, v71, v36
	v_pk_fma_f16 v28, v90, v39, v28
	v_pk_fma_f16 v24, v89, v71, v24
	v_pk_fma_f16 v1, v89, v39, v1
	v_mul_u32_u24_sdwa v73, v41, v35 dst_sel:DWORD dst_unused:UNUSED_PAD src0_sel:WORD_0 src1_sel:DWORD
	v_mul_u32_u24_sdwa v41, v41, v35 dst_sel:DWORD dst_unused:UNUSED_PAD src0_sel:WORD_1 src1_sel:DWORD
	v_pk_fma_f16 v36, v92, v72, v36
	v_pk_fma_f16 v28, v92, v40, v28
	v_pk_fma_f16 v24, v91, v72, v24
	v_pk_fma_f16 v1, v91, v40, v1
	v_mul_u32_u24_sdwa v74, v42, v35 dst_sel:DWORD dst_unused:UNUSED_PAD src0_sel:WORD_0 src1_sel:DWORD
	v_mul_u32_u24_sdwa v42, v42, v35 dst_sel:DWORD dst_unused:UNUSED_PAD src0_sel:WORD_1 src1_sel:DWORD
	v_pk_fma_f16 v36, v94, v73, v36
	v_pk_fma_f16 v28, v94, v41, v28
	v_pk_fma_f16 v24, v93, v73, v24
	v_pk_fma_f16 v1, v93, v41, v1
	s_waitcnt lgkmcnt(4)
	v_mul_u32_u24_sdwa v75, v101, v35 dst_sel:DWORD dst_unused:UNUSED_PAD src0_sel:WORD_0 src1_sel:DWORD
	v_mul_u32_u24_sdwa v76, v101, v35 dst_sel:DWORD dst_unused:UNUSED_PAD src0_sel:WORD_1 src1_sel:DWORD
	v_pk_fma_f16 v36, v96, v74, v36
	v_pk_fma_f16 v28, v96, v42, v28
	;; [unrolled: 1-line block ×4, first 2 shown]
	ds_read_b128 v[55:58], v30 offset:96
	ds_read_b128 v[59:62], v30 offset:112
	v_mul_u32_u24_sdwa v101, v102, v35 dst_sel:DWORD dst_unused:UNUSED_PAD src0_sel:WORD_0 src1_sel:DWORD
	v_mul_u32_u24_sdwa v78, v102, v35 dst_sel:DWORD dst_unused:UNUSED_PAD src0_sel:WORD_1 src1_sel:DWORD
	v_pk_fma_f16 v36, v98, v75, v36
	v_pk_fma_f16 v28, v98, v76, v28
	;; [unrolled: 1-line block ×4, first 2 shown]
	v_mul_u32_u24_sdwa v77, v103, v35 dst_sel:DWORD dst_unused:UNUSED_PAD src0_sel:WORD_0 src1_sel:DWORD
	v_mul_u32_u24_sdwa v79, v103, v35 dst_sel:DWORD dst_unused:UNUSED_PAD src0_sel:WORD_1 src1_sel:DWORD
	v_pk_fma_f16 v36, v100, v101, v36
	v_pk_fma_f16 v28, v100, v78, v28
	;; [unrolled: 1-line block ×4, first 2 shown]
	v_mul_u32_u24_sdwa v67, v104, v35 dst_sel:DWORD dst_unused:UNUSED_PAD src0_sel:WORD_0 src1_sel:DWORD
	v_mul_u32_u24_sdwa v68, v104, v35 dst_sel:DWORD dst_unused:UNUSED_PAD src0_sel:WORD_1 src1_sel:DWORD
	s_waitcnt lgkmcnt(5)
	v_pk_fma_f16 v36, v106, v77, v36
	v_pk_fma_f16 v28, v106, v79, v28
	v_pk_fma_f16 v24, v105, v77, v24
	v_pk_fma_f16 v1, v105, v79, v1
	s_waitcnt lgkmcnt(1)
	v_mul_u32_u24_sdwa v80, v55, v35 dst_sel:DWORD dst_unused:UNUSED_PAD src0_sel:WORD_0 src1_sel:DWORD
	v_mul_u32_u24_sdwa v55, v55, v35 dst_sel:DWORD dst_unused:UNUSED_PAD src0_sel:WORD_1 src1_sel:DWORD
	v_pk_fma_f16 v36, v108, v67, v36
	v_pk_fma_f16 v28, v108, v68, v28
	v_pk_fma_f16 v24, v107, v67, v24
	v_pk_fma_f16 v1, v107, v68, v1
	v_mul_u32_u24_sdwa v39, v56, v35 dst_sel:DWORD dst_unused:UNUSED_PAD src0_sel:WORD_0 src1_sel:DWORD
	v_mul_u32_u24_sdwa v40, v56, v35 dst_sel:DWORD dst_unused:UNUSED_PAD src0_sel:WORD_1 src1_sel:DWORD
	v_pk_fma_f16 v36, v44, v80, v36
	v_pk_fma_f16 v28, v44, v55, v28
	v_pk_fma_f16 v24, v43, v80, v24
	v_pk_fma_f16 v1, v43, v55, v1
	;; [unrolled: 6-line block ×3, first 2 shown]
	ds_read2_b64 v[63:66], v111 offset0:28 offset1:46
	v_mul_u32_u24_sdwa v56, v58, v35 dst_sel:DWORD dst_unused:UNUSED_PAD src0_sel:WORD_0 src1_sel:DWORD
	v_mul_u32_u24_sdwa v57, v58, v35 dst_sel:DWORD dst_unused:UNUSED_PAD src0_sel:WORD_1 src1_sel:DWORD
	v_pk_fma_f16 v36, v48, v41, v36
	v_pk_fma_f16 v28, v48, v42, v28
	;; [unrolled: 1-line block ×4, first 2 shown]
	s_waitcnt lgkmcnt(0)
	s_barrier
	buffer_gl0_inv
	s_load_dword s1, s[10:11], 0x4
	v_mul_u32_u24_sdwa v58, v59, v35 dst_sel:DWORD dst_unused:UNUSED_PAD src0_sel:WORD_0 src1_sel:DWORD
	v_mul_u32_u24_sdwa v59, v59, v35 dst_sel:DWORD dst_unused:UNUSED_PAD src0_sel:WORD_1 src1_sel:DWORD
	v_pk_fma_f16 v36, v50, v56, v36
	v_pk_fma_f16 v28, v50, v57, v28
	v_pk_fma_f16 v24, v49, v56, v24
	v_pk_fma_f16 v1, v49, v57, v1
	v_mul_u32_u24_sdwa v43, v60, v35 dst_sel:DWORD dst_unused:UNUSED_PAD src0_sel:WORD_0 src1_sel:DWORD
	v_mul_u32_u24_sdwa v39, v60, v35 dst_sel:DWORD dst_unused:UNUSED_PAD src0_sel:WORD_1 src1_sel:DWORD
	v_pk_fma_f16 v36, v52, v58, v36
	v_pk_fma_f16 v28, v52, v59, v28
	v_pk_fma_f16 v24, v51, v58, v24
	v_pk_fma_f16 v1, v51, v59, v1
	v_mul_u32_u24_sdwa v40, v61, v35 dst_sel:DWORD dst_unused:UNUSED_PAD src0_sel:WORD_0 src1_sel:DWORD
	v_mul_u32_u24_sdwa v41, v61, v35 dst_sel:DWORD dst_unused:UNUSED_PAD src0_sel:WORD_1 src1_sel:DWORD
	v_pk_fma_f16 v36, v54, v43, v36
	v_pk_fma_f16 v28, v54, v39, v28
	v_pk_fma_f16 v24, v53, v43, v24
	v_pk_fma_f16 v1, v53, v39, v1
	v_mul_u32_u24_sdwa v42, v62, v35 dst_sel:DWORD dst_unused:UNUSED_PAD src0_sel:WORD_0 src1_sel:DWORD
	v_mul_u32_u24_sdwa v39, v62, v35 dst_sel:DWORD dst_unused:UNUSED_PAD src0_sel:WORD_1 src1_sel:DWORD
	v_pk_fma_f16 v36, v64, v40, v36
	v_pk_fma_f16 v28, v64, v41, v28
	v_pk_fma_f16 v24, v63, v40, v24
	v_pk_fma_f16 v1, v63, v41, v1
	s_waitcnt lgkmcnt(0)
	s_lshl_b32 s1, s1, 5
	v_pk_fma_f16 v36, v66, v42, v36
	v_pk_fma_f16 v28, v66, v39, v28
	;; [unrolled: 1-line block ×4, first 2 shown]
	s_add_i32 s9, s1, s9
	s_cmp_ge_i32 s9, s34
	s_cbranch_scc1 .LBB24_17
; %bb.16:                               ;   in Loop: Header=BB24_11 Depth=1
	v_mov_b32_e32 v41, v13
	v_mov_b32_e32 v42, v14
	;; [unrolled: 1-line block ×4, first 2 shown]
	s_branch .LBB24_11
.LBB24_17:
	v_mov_b32_e32 v5, v17
.LBB24_18:
	v_cmp_lt_i32_e32 vcc_lo, v23, v18
	s_cmp_lg_u64 s[16:17], 0
	s_cselect_b32 s1, -1, 0
	s_cmp_eq_u32 s7, 0
	v_cndmask_b32_e32 v4, v5, v23, vcc_lo
	v_cmp_lt_i32_e32 vcc_lo, v22, v18
	s_cselect_b32 s2, -1, 0
	s_and_b32 s1, s2, s1
	v_lshlrev_b32_e32 v4, 2, v4
	v_cndmask_b32_e32 v7, v5, v22, vcc_lo
	v_cmp_lt_i32_e32 vcc_lo, v21, v18
	ds_bpermute_b32 v6, v4, v38
	ds_bpermute_b32 v4, v4, v37
	v_lshlrev_b32_e32 v7, 2, v7
	v_cndmask_b32_e32 v9, v5, v21, vcc_lo
	v_cmp_lt_i32_e32 vcc_lo, v20, v18
	v_lshlrev_b32_e32 v9, 2, v9
	s_waitcnt lgkmcnt(1)
	v_add_f32_e32 v6, v38, v6
	s_waitcnt lgkmcnt(0)
	v_add_f32_e32 v4, v37, v4
	ds_bpermute_b32 v8, v7, v6
	ds_bpermute_b32 v7, v7, v4
	s_waitcnt lgkmcnt(1)
	v_add_f32_e32 v6, v6, v8
	s_waitcnt lgkmcnt(0)
	v_add_f32_e32 v4, v4, v7
	ds_bpermute_b32 v7, v9, v6
	ds_bpermute_b32 v8, v9, v4
	v_cndmask_b32_e32 v9, v5, v20, vcc_lo
	v_cmp_lt_i32_e32 vcc_lo, v19, v18
	v_lshlrev_b32_e32 v9, 2, v9
	v_cndmask_b32_e32 v5, v5, v19, vcc_lo
	s_and_b32 vcc_lo, exec_lo, s1
	v_lshlrev_b32_e32 v5, 2, v5
	s_waitcnt lgkmcnt(1)
	v_add_f32_e32 v6, v6, v7
	s_waitcnt lgkmcnt(0)
	v_add_f32_e32 v4, v4, v8
	ds_bpermute_b32 v7, v9, v6
	ds_bpermute_b32 v8, v9, v4
	s_waitcnt lgkmcnt(1)
	v_add_f32_e32 v6, v6, v7
	s_waitcnt lgkmcnt(0)
	v_add_f32_e32 v7, v4, v8
	ds_bpermute_b32 v4, v5, v6
	ds_bpermute_b32 v5, v5, v7
	s_waitcnt lgkmcnt(1)
	v_add_f32_e32 v4, v6, v4
	s_waitcnt lgkmcnt(0)
	v_add_f32_e32 v5, v7, v5
	s_cbranch_vccz .LBB24_21
; %bb.19:
	v_add_nc_u32_e32 v6, s14, v15
	v_max_f32_e32 v8, v13, v13
	v_max_f32_e32 v10, v14, v14
	v_ashrrev_i32_e32 v7, 31, v6
	v_lshlrev_b64 v[6:7], 2, v[6:7]
	v_add_co_u32 v6, vcc_lo, s16, v6
	v_add_co_ci_u32_e64 v7, null, s17, v7, vcc_lo
	global_load_dwordx2 v[6:7], v[6:7], off
	s_waitcnt vmcnt(0)
	v_max_f32_e32 v9, v6, v6
	v_max_f32_e32 v11, v7, v7
	;; [unrolled: 1-line block ×4, first 2 shown]
	v_sub_f32_e32 v10, v13, v8
	v_sub_f32_e32 v11, v14, v9
	;; [unrolled: 1-line block ×4, first 2 shown]
	v_mul_f32_e32 v12, 0x3fb8aa3b, v10
	v_mul_f32_e32 v14, 0x3fb8aa3b, v11
	;; [unrolled: 1-line block ×4, first 2 shown]
	v_cmp_ngt_f32_e32 vcc_lo, 0xc2ce8ed0, v10
	v_fma_f32 v17, 0x3fb8aa3b, v10, -v12
	v_rndne_f32_e32 v18, v12
	v_fma_f32 v21, 0x3fb8aa3b, v11, -v14
	v_rndne_f32_e32 v22, v14
	v_fma_f32 v19, 0x3fb8aa3b, v6, -v13
	v_fmac_f32_e32 v17, 0x32a5705f, v10
	v_sub_f32_e32 v12, v12, v18
	v_rndne_f32_e32 v20, v13
	v_fmac_f32_e32 v21, 0x32a5705f, v11
	v_sub_f32_e32 v14, v14, v22
	v_fmac_f32_e32 v19, 0x32a5705f, v6
	v_add_f32_e32 v12, v12, v17
	v_sub_f32_e32 v13, v13, v20
	v_cvt_i32_f32_e32 v17, v18
	v_add_f32_e32 v14, v14, v21
	v_fma_f32 v23, 0x3fb8aa3b, v7, -v16
	v_exp_f32_e32 v12, v12
	v_add_f32_e32 v13, v13, v19
	v_rndne_f32_e32 v25, v16
	v_exp_f32_e32 v14, v14
	v_cvt_i32_f32_e32 v19, v22
	v_fmac_f32_e32 v23, 0x32a5705f, v7
	v_exp_f32_e32 v13, v13
	v_sub_f32_e32 v16, v16, v25
	v_cvt_i32_f32_e32 v18, v20
	v_cvt_i32_f32_e32 v20, v25
	v_ldexp_f32 v12, v12, v17
	v_mov_b32_e32 v21, 0x10001
	v_add_f32_e32 v16, v16, v23
	v_ldexp_f32 v14, v14, v19
	v_cndmask_b32_e32 v12, 0, v12, vcc_lo
	v_cmp_ngt_f32_e32 vcc_lo, 0xc2ce8ed0, v11
	v_ldexp_f32 v13, v13, v18
	v_exp_f32_e32 v16, v16
	v_cndmask_b32_e32 v14, 0, v14, vcc_lo
	v_cmp_ngt_f32_e32 vcc_lo, 0xc2ce8ed0, v6
	v_cndmask_b32_e32 v13, 0, v13, vcc_lo
	v_cmp_nlt_f32_e32 vcc_lo, 0x42b17218, v10
	v_ldexp_f32 v16, v16, v20
	v_cndmask_b32_e32 v10, 0x7f800000, v12, vcc_lo
	v_cmp_nlt_f32_e32 vcc_lo, 0x42b17218, v11
	v_cndmask_b32_e32 v11, 0x7f800000, v14, vcc_lo
	v_cmp_ngt_f32_e32 vcc_lo, 0xc2ce8ed0, v7
	v_cndmask_b32_e32 v12, 0, v16, vcc_lo
	v_cmp_nlt_f32_e32 vcc_lo, 0x42b17218, v6
	v_cvt_f16_f32_e32 v16, v11
	v_cndmask_b32_e32 v6, 0x7f800000, v13, vcc_lo
	v_cmp_nlt_f32_e32 vcc_lo, 0x42b17218, v7
	v_cvt_f16_f32_e32 v13, v10
	v_fmac_f32_e32 v6, v4, v10
	v_cndmask_b32_e32 v7, 0x7f800000, v12, vcc_lo
	v_mul_u32_u24_sdwa v10, v13, v21 dst_sel:DWORD dst_unused:UNUSED_PAD src0_sel:WORD_0 src1_sel:DWORD
	v_mov_b32_e32 v14, v9
	v_mov_b32_e32 v13, v8
	v_mul_u32_u24_sdwa v8, v16, v21 dst_sel:DWORD dst_unused:UNUSED_PAD src0_sel:WORD_0 src1_sel:DWORD
	v_fmac_f32_e32 v7, v5, v11
	v_mov_b32_e32 v4, v6
	v_pk_mul_f16 v24, v24, v10
	v_pk_mul_f16 v36, v36, v10
	v_pk_mul_f16 v1, v1, v8
	v_pk_mul_f16 v28, v28, v8
	v_mov_b32_e32 v5, v7
	s_mov_b32 s1, exec_lo
	v_cmpx_gt_i32_e64 s26, v3
	s_cbranch_execnz .LBB24_22
.LBB24_20:
	s_endpgm
.LBB24_21:
	v_mov_b32_e32 v7, v5
	v_mov_b32_e32 v6, v4
	s_mov_b32 s1, exec_lo
	v_cmpx_gt_i32_e64 s26, v3
	s_cbranch_execz .LBB24_20
.LBB24_22:
	s_load_dword s1, s[4:5], 0xd4
	v_mov_b32_e32 v9, 1.0
	s_waitcnt lgkmcnt(0)
	s_cmp_lg_u32 s1, 1
	s_cselect_b32 s3, -1, 0
	s_cmp_eq_u32 s1, 1
	s_cselect_b32 s2, -1, 0
	s_and_b32 vcc_lo, exec_lo, s3
	s_cbranch_vccnz .LBB24_24
; %bb.23:
	v_div_scale_f32 v8, null, v4, v4, 1.0
	v_rcp_f32_e32 v9, v8
	v_fma_f32 v10, -v8, v9, 1.0
	v_fmac_f32_e32 v9, v10, v9
	v_div_scale_f32 v10, vcc_lo, 1.0, v4, 1.0
	v_mul_f32_e32 v11, v10, v9
	v_fma_f32 v12, -v8, v11, v10
	v_fmac_f32_e32 v11, v12, v9
	v_fma_f32 v8, -v8, v11, v10
	v_div_fmas_f32 v8, v8, v9, v11
	v_div_fixup_f32 v9, v8, v4, 1.0
.LBB24_24:
	v_mad_u64_u32 v[3:4], null, s33, s26, v[3:4]
	v_mul_lo_u32 v3, v3, s27
	v_add3_u32 v3, s14, v15, v3
	v_mul_lo_u32 v8, s1, v3
	v_add_nc_u32_e32 v3, s7, v8
	s_and_saveexec_b32 s4, s0
	s_cbranch_execz .LBB24_26
; %bb.25:
	v_mad_u64_u32 v[10:11], null, 0x48, v3, v[2:3]
	v_mov_b32_e32 v11, 0
	v_cvt_f32_f16_sdwa v4, v36 dst_sel:DWORD dst_unused:UNUSED_PAD src0_sel:WORD_1
	v_cvt_f32_f16_e32 v17, v36
	v_cvt_f32_f16_sdwa v18, v24 dst_sel:DWORD dst_unused:UNUSED_PAD src0_sel:WORD_1
	v_cvt_f32_f16_e32 v19, v24
	v_mul_f32_e32 v12, v9, v4
	v_lshlrev_b64 v[15:16], 2, v[10:11]
	v_mul_f32_e32 v11, v9, v17
	v_mul_f32_e32 v10, v9, v18
	;; [unrolled: 1-line block ×3, first 2 shown]
	v_add_co_u32 v15, vcc_lo, s20, v15
	v_add_co_ci_u32_e64 v16, null, s21, v16, vcc_lo
	global_store_dwordx4 v[15:16], v[9:12], off
.LBB24_26:
	s_or_b32 exec_lo, exec_lo, s4
	v_cmp_eq_u32_e32 vcc_lo, 0, v0
	s_and_b32 s3, vcc_lo, s3
	s_and_saveexec_b32 s4, s3
	s_cbranch_execnz .LBB24_30
; %bb.27:
	s_or_b32 exec_lo, exec_lo, s4
	v_mov_b32_e32 v3, 1.0
	s_andn2_b32 vcc_lo, exec_lo, s2
	s_cbranch_vccz .LBB24_31
.LBB24_28:
	v_add3_u32 v0, s7, s1, v8
	s_and_saveexec_b32 s1, s0
	s_cbranch_execnz .LBB24_32
.LBB24_29:
	s_or_b32 exec_lo, exec_lo, s1
	s_and_b32 exec_lo, exec_lo, s3
	s_cbranch_execz .LBB24_20
	s_branch .LBB24_33
.LBB24_30:
	v_ashrrev_i32_e32 v4, 31, v3
	v_mov_b32_e32 v9, v13
	v_mov_b32_e32 v10, v6
	v_lshlrev_b64 v[3:4], 3, v[3:4]
	v_add_co_u32 v3, vcc_lo, s22, v3
	v_add_co_ci_u32_e64 v4, null, s23, v4, vcc_lo
	global_store_dwordx2 v[3:4], v[9:10], off
	s_or_b32 exec_lo, exec_lo, s4
	v_mov_b32_e32 v3, 1.0
	s_andn2_b32 vcc_lo, exec_lo, s2
	s_cbranch_vccnz .LBB24_28
.LBB24_31:
	v_div_scale_f32 v0, null, v5, v5, 1.0
	v_rcp_f32_e32 v3, v0
	v_fma_f32 v4, -v0, v3, 1.0
	v_fmac_f32_e32 v3, v4, v3
	v_div_scale_f32 v4, vcc_lo, 1.0, v5, 1.0
	v_mul_f32_e32 v6, v4, v3
	v_fma_f32 v9, -v0, v6, v4
	v_fmac_f32_e32 v6, v9, v3
	v_fma_f32 v0, -v0, v6, v4
	v_div_fmas_f32 v0, v0, v3, v6
	v_div_fixup_f32 v3, v0, v5, 1.0
	v_add3_u32 v0, s7, s1, v8
	s_and_saveexec_b32 s1, s0
	s_cbranch_execz .LBB24_29
.LBB24_32:
	v_mad_u64_u32 v[4:5], null, 0x48, v0, v[2:3]
	v_mov_b32_e32 v5, 0
	v_cvt_f32_f16_sdwa v2, v28 dst_sel:DWORD dst_unused:UNUSED_PAD src0_sel:WORD_1
	v_cvt_f32_f16_e32 v10, v28
	v_cvt_f32_f16_sdwa v11, v1 dst_sel:DWORD dst_unused:UNUSED_PAD src0_sel:WORD_1
	v_cvt_f32_f16_e32 v12, v1
	v_mul_f32_e32 v6, v3, v2
	v_lshlrev_b64 v[8:9], 2, v[4:5]
	v_mul_f32_e32 v5, v3, v10
	v_mul_f32_e32 v4, v3, v11
	;; [unrolled: 1-line block ×3, first 2 shown]
	v_add_co_u32 v1, vcc_lo, s20, v8
	v_add_co_ci_u32_e64 v2, null, s21, v9, vcc_lo
	global_store_dwordx4 v[1:2], v[3:6], off
	s_or_b32 exec_lo, exec_lo, s1
	s_and_b32 exec_lo, exec_lo, s3
	s_cbranch_execz .LBB24_20
.LBB24_33:
	v_ashrrev_i32_e32 v1, 31, v0
	v_mov_b32_e32 v6, v14
	v_lshlrev_b64 v[0:1], 3, v[0:1]
	v_add_co_u32 v0, vcc_lo, s22, v0
	v_add_co_ci_u32_e64 v1, null, s23, v1, vcc_lo
	global_store_dwordx2 v[0:1], v[6:7], off
	s_endpgm
	.section	.rodata,"a",@progbits
	.p2align	6, 0x0
	.amdhsa_kernel _ZL15flash_attn_tileILi72ELi72ELi4ELi4ELb0EEvPKcS1_S1_S1_S1_PKiPfP15HIP_vector_typeIfLj2EEffffjfiS5_IjLj3EEiiiiiiiiiiiliiliiiiil
		.amdhsa_group_segment_fixed_size 8672
		.amdhsa_private_segment_fixed_size 0
		.amdhsa_kernarg_size 464
		.amdhsa_user_sgpr_count 6
		.amdhsa_user_sgpr_private_segment_buffer 1
		.amdhsa_user_sgpr_dispatch_ptr 0
		.amdhsa_user_sgpr_queue_ptr 0
		.amdhsa_user_sgpr_kernarg_segment_ptr 1
		.amdhsa_user_sgpr_dispatch_id 0
		.amdhsa_user_sgpr_flat_scratch_init 0
		.amdhsa_user_sgpr_private_segment_size 0
		.amdhsa_wavefront_size32 1
		.amdhsa_uses_dynamic_stack 0
		.amdhsa_system_sgpr_private_segment_wavefront_offset 0
		.amdhsa_system_sgpr_workgroup_id_x 1
		.amdhsa_system_sgpr_workgroup_id_y 1
		.amdhsa_system_sgpr_workgroup_id_z 1
		.amdhsa_system_sgpr_workgroup_info 0
		.amdhsa_system_vgpr_workitem_id 1
		.amdhsa_next_free_vgpr 128
		.amdhsa_next_free_sgpr 41
		.amdhsa_reserve_vcc 1
		.amdhsa_reserve_flat_scratch 0
		.amdhsa_float_round_mode_32 0
		.amdhsa_float_round_mode_16_64 0
		.amdhsa_float_denorm_mode_32 3
		.amdhsa_float_denorm_mode_16_64 3
		.amdhsa_dx10_clamp 1
		.amdhsa_ieee_mode 1
		.amdhsa_fp16_overflow 0
		.amdhsa_workgroup_processor_mode 1
		.amdhsa_memory_ordered 1
		.amdhsa_forward_progress 1
		.amdhsa_shared_vgpr_count 0
		.amdhsa_exception_fp_ieee_invalid_op 0
		.amdhsa_exception_fp_denorm_src 0
		.amdhsa_exception_fp_ieee_div_zero 0
		.amdhsa_exception_fp_ieee_overflow 0
		.amdhsa_exception_fp_ieee_underflow 0
		.amdhsa_exception_fp_ieee_inexact 0
		.amdhsa_exception_int_div_zero 0
	.end_amdhsa_kernel
	.section	.text._ZL15flash_attn_tileILi72ELi72ELi4ELi4ELb0EEvPKcS1_S1_S1_S1_PKiPfP15HIP_vector_typeIfLj2EEffffjfiS5_IjLj3EEiiiiiiiiiiiliiliiiiil,"axG",@progbits,_ZL15flash_attn_tileILi72ELi72ELi4ELi4ELb0EEvPKcS1_S1_S1_S1_PKiPfP15HIP_vector_typeIfLj2EEffffjfiS5_IjLj3EEiiiiiiiiiiiliiliiiiil,comdat
.Lfunc_end24:
	.size	_ZL15flash_attn_tileILi72ELi72ELi4ELi4ELb0EEvPKcS1_S1_S1_S1_PKiPfP15HIP_vector_typeIfLj2EEffffjfiS5_IjLj3EEiiiiiiiiiiiliiliiiiil, .Lfunc_end24-_ZL15flash_attn_tileILi72ELi72ELi4ELi4ELb0EEvPKcS1_S1_S1_S1_PKiPfP15HIP_vector_typeIfLj2EEffffjfiS5_IjLj3EEiiiiiiiiiiiliiliiiiil
                                        ; -- End function
	.set _ZL15flash_attn_tileILi72ELi72ELi4ELi4ELb0EEvPKcS1_S1_S1_S1_PKiPfP15HIP_vector_typeIfLj2EEffffjfiS5_IjLj3EEiiiiiiiiiiiliiliiiiil.num_vgpr, 128
	.set _ZL15flash_attn_tileILi72ELi72ELi4ELi4ELb0EEvPKcS1_S1_S1_S1_PKiPfP15HIP_vector_typeIfLj2EEffffjfiS5_IjLj3EEiiiiiiiiiiiliiliiiiil.num_agpr, 0
	.set _ZL15flash_attn_tileILi72ELi72ELi4ELi4ELb0EEvPKcS1_S1_S1_S1_PKiPfP15HIP_vector_typeIfLj2EEffffjfiS5_IjLj3EEiiiiiiiiiiiliiliiiiil.numbered_sgpr, 41
	.set _ZL15flash_attn_tileILi72ELi72ELi4ELi4ELb0EEvPKcS1_S1_S1_S1_PKiPfP15HIP_vector_typeIfLj2EEffffjfiS5_IjLj3EEiiiiiiiiiiiliiliiiiil.num_named_barrier, 0
	.set _ZL15flash_attn_tileILi72ELi72ELi4ELi4ELb0EEvPKcS1_S1_S1_S1_PKiPfP15HIP_vector_typeIfLj2EEffffjfiS5_IjLj3EEiiiiiiiiiiiliiliiiiil.private_seg_size, 0
	.set _ZL15flash_attn_tileILi72ELi72ELi4ELi4ELb0EEvPKcS1_S1_S1_S1_PKiPfP15HIP_vector_typeIfLj2EEffffjfiS5_IjLj3EEiiiiiiiiiiiliiliiiiil.uses_vcc, 1
	.set _ZL15flash_attn_tileILi72ELi72ELi4ELi4ELb0EEvPKcS1_S1_S1_S1_PKiPfP15HIP_vector_typeIfLj2EEffffjfiS5_IjLj3EEiiiiiiiiiiiliiliiiiil.uses_flat_scratch, 0
	.set _ZL15flash_attn_tileILi72ELi72ELi4ELi4ELb0EEvPKcS1_S1_S1_S1_PKiPfP15HIP_vector_typeIfLj2EEffffjfiS5_IjLj3EEiiiiiiiiiiiliiliiiiil.has_dyn_sized_stack, 0
	.set _ZL15flash_attn_tileILi72ELi72ELi4ELi4ELb0EEvPKcS1_S1_S1_S1_PKiPfP15HIP_vector_typeIfLj2EEffffjfiS5_IjLj3EEiiiiiiiiiiiliiliiiiil.has_recursion, 0
	.set _ZL15flash_attn_tileILi72ELi72ELi4ELi4ELb0EEvPKcS1_S1_S1_S1_PKiPfP15HIP_vector_typeIfLj2EEffffjfiS5_IjLj3EEiiiiiiiiiiiliiliiiiil.has_indirect_call, 0
	.section	.AMDGPU.csdata,"",@progbits
; Kernel info:
; codeLenInByte = 7896
; TotalNumSgprs: 43
; NumVgprs: 128
; ScratchSize: 0
; MemoryBound: 0
; FloatMode: 240
; IeeeMode: 1
; LDSByteSize: 8672 bytes/workgroup (compile time only)
; SGPRBlocks: 0
; VGPRBlocks: 15
; NumSGPRsForWavesPerEU: 43
; NumVGPRsForWavesPerEU: 128
; Occupancy: 8
; WaveLimiterHint : 1
; COMPUTE_PGM_RSRC2:SCRATCH_EN: 0
; COMPUTE_PGM_RSRC2:USER_SGPR: 6
; COMPUTE_PGM_RSRC2:TRAP_HANDLER: 0
; COMPUTE_PGM_RSRC2:TGID_X_EN: 1
; COMPUTE_PGM_RSRC2:TGID_Y_EN: 1
; COMPUTE_PGM_RSRC2:TGID_Z_EN: 1
; COMPUTE_PGM_RSRC2:TIDIG_COMP_CNT: 1
	.section	.text._ZL33flash_attn_stream_k_fixup_uniformILi72ELi4ELi4EEvPfPK15HIP_vector_typeIfLj2EEiiiiiiS1_IjLj3EES5_S5_,"axG",@progbits,_ZL33flash_attn_stream_k_fixup_uniformILi72ELi4ELi4EEvPfPK15HIP_vector_typeIfLj2EEiiiiiiS1_IjLj3EES5_S5_,comdat
	.globl	_ZL33flash_attn_stream_k_fixup_uniformILi72ELi4ELi4EEvPfPK15HIP_vector_typeIfLj2EEiiiiiiS1_IjLj3EES5_S5_ ; -- Begin function _ZL33flash_attn_stream_k_fixup_uniformILi72ELi4ELi4EEvPfPK15HIP_vector_typeIfLj2EEiiiiiiS1_IjLj3EES5_S5_
	.p2align	8
	.type	_ZL33flash_attn_stream_k_fixup_uniformILi72ELi4ELi4EEvPfPK15HIP_vector_typeIfLj2EEiiiiiiS1_IjLj3EES5_S5_,@function
_ZL33flash_attn_stream_k_fixup_uniformILi72ELi4ELi4EEvPfPK15HIP_vector_typeIfLj2EEiiiiiiS1_IjLj3EES5_S5_: ; @_ZL33flash_attn_stream_k_fixup_uniformILi72ELi4ELi4EEvPfPK15HIP_vector_typeIfLj2EEiiiiiiS1_IjLj3EES5_S5_
; %bb.0:
	s_clause 0x2
	s_load_dwordx8 s[12:19], s[4:5], 0x1c
	s_load_dwordx4 s[20:23], s[4:5], 0x3c
	s_load_dwordx2 s[10:11], s[4:5], 0x10
	s_waitcnt lgkmcnt(0)
	s_mul_hi_u32 s0, s15, s6
	s_add_i32 s0, s6, s0
	s_lshr_b32 s0, s0, s16
	s_mul_i32 s1, s0, s17
	s_sub_i32 s1, s6, s1
	s_mul_hi_u32 s2, s1, s18
	s_add_i32 s2, s1, s2
	s_lshr_b32 s9, s2, s19
	s_mul_i32 s2, s9, s20
	s_sub_i32 s1, s1, s2
	s_mul_hi_u32 s2, s1, s21
	s_add_i32 s2, s1, s2
	s_lshr_b32 s2, s2, s22
	s_mul_i32 s3, s2, s23
	s_lshl_b32 s16, s2, 2
	s_sub_i32 s15, s1, s3
	s_lshl_b32 s1, s15, 2
	s_add_i32 s1, s1, s7
	s_cmp_lt_i32 s1, s10
	s_cselect_b32 s1, -1, 0
	s_add_i32 s16, s16, s8
	s_cmp_lt_i32 s16, s13
	s_cselect_b32 s2, -1, 0
	s_and_b32 s1, s1, s2
	s_andn2_b32 vcc_lo, exec_lo, s1
	s_cbranch_vccnz .LBB25_6
; %bb.1:
	s_mul_i32 s10, s0, s10
	s_load_dwordx4 s[0:3], s[4:5], 0x0
	s_add_i32 s4, s10, s7
	s_mul_i32 s9, s9, s13
	s_mul_i32 s4, s4, s11
	s_add_i32 s5, s16, s9
	s_mul_i32 s9, s11, s15
	s_add_i32 s4, s5, s4
	s_mulk_i32 s9, 0x120
	s_mulk_i32 s4, 0x48
	s_lshl_b32 s10, s7, 2
	v_add3_u32 v1, s4, s9, v0
	s_mul_i32 s4, s14, s6
	s_add_i32 s11, s4, s14
	v_ashrrev_i32_e32 v2, 31, v1
	v_lshlrev_b64 v[1:2], 2, v[1:2]
	s_waitcnt lgkmcnt(0)
	v_add_co_u32 v1, vcc_lo, s0, v1
	v_add_co_ci_u32_e64 v2, null, s1, v2, vcc_lo
	s_add_i32 s0, s10, s8
	s_lshl_b32 s1, s11, 4
	global_load_dword v5, v[1:2], off
	s_add_i32 s0, s0, s1
	s_add_i32 s0, s0, -16
	s_ashr_i32 s1, s0, 31
	s_lshl_b64 s[0:1], s[0:1], 3
	s_add_u32 s0, s2, s0
	s_addc_u32 s1, s3, s1
	s_add_i32 s5, s11, -2
	s_load_dword s13, s[0:1], 0x4
	s_cmp_lt_i32 s5, s4
	s_cbranch_scc1 .LBB25_4
; %bb.2:
	s_load_dword s15, s[0:1], 0x0
	s_lshl_b32 s16, s12, 6
	s_mulk_i32 s7, 0x120
	s_ashr_i32 s17, s16, 31
	s_waitcnt lgkmcnt(0)
	v_mov_b32_e32 v6, s13
	s_lshl_b64 s[0:1], s[16:17], 2
	s_add_u32 s5, s2, s0
	s_addc_u32 s9, s3, s1
	s_add_i32 s6, s6, 1
	s_mul_i32 s0, s14, s6
	s_mul_i32 s6, s8, 0x48
	s_lshl_b32 s1, s0, 4
	s_mulk_i32 s0, 0x480
	s_add_i32 s6, s6, s7
	s_add_i32 s1, s8, s1
	s_lshl_b32 s7, s12, 4
	s_add_i32 s6, s6, s0
	s_add_i32 s0, s1, s7
	v_add3_u32 v3, s6, v0, 0xfffff700
	v_mov_b32_e32 v0, s15
	s_add_i32 s0, s0, s10
	s_add_i32 s6, s11, -1
	s_sub_i32 s0, s0, 32
.LBB25_3:                               ; =>This Inner Loop Header: Depth=1
	v_ashrrev_i32_e32 v4, 31, v3
	s_ashr_i32 s1, s0, 31
	s_lshl_b64 s[10:11], s[0:1], 3
	s_add_u32 s10, s2, s10
	v_lshlrev_b64 v[7:8], 2, v[3:4]
	s_addc_u32 s11, s3, s11
	v_add_nc_u32_e32 v3, 0xfffffb80, v3
	s_add_i32 s6, s6, -1
	s_add_i32 s0, s0, -16
	s_cmp_le_i32 s6, s4
	v_add_co_u32 v7, vcc_lo, s5, v7
	v_add_co_ci_u32_e64 v8, null, s9, v8, vcc_lo
	s_load_dwordx2 s[10:11], s[10:11], 0x0
	global_load_dword v4, v[7:8], off
	v_max_f32_e32 v7, v0, v0
	s_waitcnt lgkmcnt(0)
	v_max_f32_e64 v8, s10, s10
	v_max_f32_e32 v7, v7, v8
	v_sub_f32_e32 v8, s10, v7
	v_sub_f32_e32 v0, v0, v7
	v_mul_f32_e32 v9, 0x3fb8aa3b, v8
	v_mul_f32_e32 v12, 0x3fb8aa3b, v0
	v_cmp_ngt_f32_e32 vcc_lo, 0xc2ce8ed0, v8
	v_fma_f32 v10, 0x3fb8aa3b, v8, -v9
	v_rndne_f32_e32 v11, v9
	v_fma_f32 v13, 0x3fb8aa3b, v0, -v12
	v_rndne_f32_e32 v14, v12
	v_fmac_f32_e32 v10, 0x32a5705f, v8
	v_sub_f32_e32 v9, v9, v11
	v_fmac_f32_e32 v13, 0x32a5705f, v0
	v_cvt_i32_f32_e32 v11, v11
	v_add_f32_e32 v9, v9, v10
	v_sub_f32_e32 v10, v12, v14
	v_exp_f32_e32 v9, v9
	v_add_f32_e32 v10, v10, v13
	v_exp_f32_e32 v10, v10
	v_ldexp_f32 v9, v9, v11
	v_cvt_i32_f32_e32 v11, v14
	v_cndmask_b32_e32 v9, 0, v9, vcc_lo
	v_cmp_nlt_f32_e32 vcc_lo, 0x42b17218, v8
	v_ldexp_f32 v10, v10, v11
	v_mov_b32_e32 v11, v6
	v_cndmask_b32_e32 v9, 0x7f800000, v9, vcc_lo
	v_cmp_ngt_f32_e32 vcc_lo, 0xc2ce8ed0, v0
	v_cndmask_b32_e32 v10, 0, v10, vcc_lo
	v_cmp_le_f32_e32 vcc_lo, 0xc1a00000, v8
	v_cndmask_b32_e32 v8, 0, v9, vcc_lo
	v_cmp_nlt_f32_e32 vcc_lo, 0x42b17218, v0
	s_waitcnt vmcnt(1)
	v_mov_b32_e32 v9, v5
	v_cndmask_b32_e32 v5, 0x7f800000, v10, vcc_lo
	v_mul_f32_e32 v10, s11, v8
	v_cmp_le_f32_e32 vcc_lo, 0xc1a00000, v0
	v_mov_b32_e32 v0, v7
	v_mov_b32_e32 v6, v10
	v_cndmask_b32_e32 v12, 0, v5, vcc_lo
	v_fmac_f32_e32 v6, v11, v12
	s_waitcnt vmcnt(0)
	v_mul_f32_e32 v5, v4, v8
	v_fmac_f32_e32 v5, v9, v12
	s_cbranch_scc0 .LBB25_3
	s_branch .LBB25_5
.LBB25_4:
	s_waitcnt lgkmcnt(0)
	v_mov_b32_e32 v6, s13
.LBB25_5:
	s_waitcnt vmcnt(0)
	v_div_scale_f32 v0, null, v6, v6, v5
	v_rcp_f32_e32 v3, v0
	v_fma_f32 v4, -v0, v3, 1.0
	v_fmac_f32_e32 v3, v4, v3
	v_div_scale_f32 v4, vcc_lo, v5, v6, v5
	v_mul_f32_e32 v7, v4, v3
	v_fma_f32 v8, -v0, v7, v4
	v_fmac_f32_e32 v7, v8, v3
	v_fma_f32 v0, -v0, v7, v4
	v_div_fmas_f32 v0, v0, v3, v7
	v_div_fixup_f32 v0, v0, v6, v5
	global_store_dword v[1:2], v0, off
.LBB25_6:
	s_endpgm
	.section	.rodata,"a",@progbits
	.p2align	6, 0x0
	.amdhsa_kernel _ZL33flash_attn_stream_k_fixup_uniformILi72ELi4ELi4EEvPfPK15HIP_vector_typeIfLj2EEiiiiiiS1_IjLj3EES5_S5_
		.amdhsa_group_segment_fixed_size 0
		.amdhsa_private_segment_fixed_size 0
		.amdhsa_kernarg_size 76
		.amdhsa_user_sgpr_count 6
		.amdhsa_user_sgpr_private_segment_buffer 1
		.amdhsa_user_sgpr_dispatch_ptr 0
		.amdhsa_user_sgpr_queue_ptr 0
		.amdhsa_user_sgpr_kernarg_segment_ptr 1
		.amdhsa_user_sgpr_dispatch_id 0
		.amdhsa_user_sgpr_flat_scratch_init 0
		.amdhsa_user_sgpr_private_segment_size 0
		.amdhsa_wavefront_size32 1
		.amdhsa_uses_dynamic_stack 0
		.amdhsa_system_sgpr_private_segment_wavefront_offset 0
		.amdhsa_system_sgpr_workgroup_id_x 1
		.amdhsa_system_sgpr_workgroup_id_y 1
		.amdhsa_system_sgpr_workgroup_id_z 1
		.amdhsa_system_sgpr_workgroup_info 0
		.amdhsa_system_vgpr_workitem_id 0
		.amdhsa_next_free_vgpr 15
		.amdhsa_next_free_sgpr 24
		.amdhsa_reserve_vcc 1
		.amdhsa_reserve_flat_scratch 0
		.amdhsa_float_round_mode_32 0
		.amdhsa_float_round_mode_16_64 0
		.amdhsa_float_denorm_mode_32 3
		.amdhsa_float_denorm_mode_16_64 3
		.amdhsa_dx10_clamp 1
		.amdhsa_ieee_mode 1
		.amdhsa_fp16_overflow 0
		.amdhsa_workgroup_processor_mode 1
		.amdhsa_memory_ordered 1
		.amdhsa_forward_progress 1
		.amdhsa_shared_vgpr_count 0
		.amdhsa_exception_fp_ieee_invalid_op 0
		.amdhsa_exception_fp_denorm_src 0
		.amdhsa_exception_fp_ieee_div_zero 0
		.amdhsa_exception_fp_ieee_overflow 0
		.amdhsa_exception_fp_ieee_underflow 0
		.amdhsa_exception_fp_ieee_inexact 0
		.amdhsa_exception_int_div_zero 0
	.end_amdhsa_kernel
	.section	.text._ZL33flash_attn_stream_k_fixup_uniformILi72ELi4ELi4EEvPfPK15HIP_vector_typeIfLj2EEiiiiiiS1_IjLj3EES5_S5_,"axG",@progbits,_ZL33flash_attn_stream_k_fixup_uniformILi72ELi4ELi4EEvPfPK15HIP_vector_typeIfLj2EEiiiiiiS1_IjLj3EES5_S5_,comdat
.Lfunc_end25:
	.size	_ZL33flash_attn_stream_k_fixup_uniformILi72ELi4ELi4EEvPfPK15HIP_vector_typeIfLj2EEiiiiiiS1_IjLj3EES5_S5_, .Lfunc_end25-_ZL33flash_attn_stream_k_fixup_uniformILi72ELi4ELi4EEvPfPK15HIP_vector_typeIfLj2EEiiiiiiS1_IjLj3EES5_S5_
                                        ; -- End function
	.set _ZL33flash_attn_stream_k_fixup_uniformILi72ELi4ELi4EEvPfPK15HIP_vector_typeIfLj2EEiiiiiiS1_IjLj3EES5_S5_.num_vgpr, 15
	.set _ZL33flash_attn_stream_k_fixup_uniformILi72ELi4ELi4EEvPfPK15HIP_vector_typeIfLj2EEiiiiiiS1_IjLj3EES5_S5_.num_agpr, 0
	.set _ZL33flash_attn_stream_k_fixup_uniformILi72ELi4ELi4EEvPfPK15HIP_vector_typeIfLj2EEiiiiiiS1_IjLj3EES5_S5_.numbered_sgpr, 24
	.set _ZL33flash_attn_stream_k_fixup_uniformILi72ELi4ELi4EEvPfPK15HIP_vector_typeIfLj2EEiiiiiiS1_IjLj3EES5_S5_.num_named_barrier, 0
	.set _ZL33flash_attn_stream_k_fixup_uniformILi72ELi4ELi4EEvPfPK15HIP_vector_typeIfLj2EEiiiiiiS1_IjLj3EES5_S5_.private_seg_size, 0
	.set _ZL33flash_attn_stream_k_fixup_uniformILi72ELi4ELi4EEvPfPK15HIP_vector_typeIfLj2EEiiiiiiS1_IjLj3EES5_S5_.uses_vcc, 1
	.set _ZL33flash_attn_stream_k_fixup_uniformILi72ELi4ELi4EEvPfPK15HIP_vector_typeIfLj2EEiiiiiiS1_IjLj3EES5_S5_.uses_flat_scratch, 0
	.set _ZL33flash_attn_stream_k_fixup_uniformILi72ELi4ELi4EEvPfPK15HIP_vector_typeIfLj2EEiiiiiiS1_IjLj3EES5_S5_.has_dyn_sized_stack, 0
	.set _ZL33flash_attn_stream_k_fixup_uniformILi72ELi4ELi4EEvPfPK15HIP_vector_typeIfLj2EEiiiiiiS1_IjLj3EES5_S5_.has_recursion, 0
	.set _ZL33flash_attn_stream_k_fixup_uniformILi72ELi4ELi4EEvPfPK15HIP_vector_typeIfLj2EEiiiiiiS1_IjLj3EES5_S5_.has_indirect_call, 0
	.section	.AMDGPU.csdata,"",@progbits
; Kernel info:
; codeLenInByte = 848
; TotalNumSgprs: 26
; NumVgprs: 15
; ScratchSize: 0
; MemoryBound: 0
; FloatMode: 240
; IeeeMode: 1
; LDSByteSize: 0 bytes/workgroup (compile time only)
; SGPRBlocks: 0
; VGPRBlocks: 1
; NumSGPRsForWavesPerEU: 26
; NumVGPRsForWavesPerEU: 15
; Occupancy: 16
; WaveLimiterHint : 0
; COMPUTE_PGM_RSRC2:SCRATCH_EN: 0
; COMPUTE_PGM_RSRC2:USER_SGPR: 6
; COMPUTE_PGM_RSRC2:TRAP_HANDLER: 0
; COMPUTE_PGM_RSRC2:TGID_X_EN: 1
; COMPUTE_PGM_RSRC2:TGID_Y_EN: 1
; COMPUTE_PGM_RSRC2:TGID_Z_EN: 1
; COMPUTE_PGM_RSRC2:TIDIG_COMP_CNT: 0
	.section	.text._ZL33flash_attn_stream_k_fixup_generalILi72ELi4ELi4EEvPfPK15HIP_vector_typeIfLj2EEiiiiS1_IjLj3EES5_S5_S5_,"axG",@progbits,_ZL33flash_attn_stream_k_fixup_generalILi72ELi4ELi4EEvPfPK15HIP_vector_typeIfLj2EEiiiiS1_IjLj3EES5_S5_S5_,comdat
	.globl	_ZL33flash_attn_stream_k_fixup_generalILi72ELi4ELi4EEvPfPK15HIP_vector_typeIfLj2EEiiiiS1_IjLj3EES5_S5_S5_ ; -- Begin function _ZL33flash_attn_stream_k_fixup_generalILi72ELi4ELi4EEvPfPK15HIP_vector_typeIfLj2EEiiiiS1_IjLj3EES5_S5_S5_
	.p2align	8
	.type	_ZL33flash_attn_stream_k_fixup_generalILi72ELi4ELi4EEvPfPK15HIP_vector_typeIfLj2EEiiiiS1_IjLj3EES5_S5_S5_,@function
_ZL33flash_attn_stream_k_fixup_generalILi72ELi4ELi4EEvPfPK15HIP_vector_typeIfLj2EEiiiiS1_IjLj3EES5_S5_S5_: ; @_ZL33flash_attn_stream_k_fixup_generalILi72ELi4ELi4EEvPfPK15HIP_vector_typeIfLj2EEiiiiS1_IjLj3EES5_S5_S5_
; %bb.0:
	s_clause 0x1
	s_load_dwordx4 s[0:3], s[4:5], 0x10
	s_load_dword s9, s[4:5], 0x50
	s_mov_b32 s16, 0
	s_waitcnt lgkmcnt(0)
	s_mul_hi_i32 s17, s3, s6
	s_mul_i32 s18, s3, s6
	s_cmp_lg_u64 s[16:17], 0
	s_cbranch_scc0 .LBB26_21
; %bb.1:
	s_add_u32 s10, s9, 0
	s_addc_u32 s11, 0, 0
	s_xor_b64 s[10:11], s[10:11], 0
	v_cvt_f32_u32_e32 v1, s10
	v_cvt_f32_u32_e32 v2, s11
	s_sub_u32 s14, 0, s10
	s_subb_u32 s15, 0, s11
	v_fmamk_f32 v1, v2, 0x4f800000, v1
	v_rcp_f32_e32 v1, v1
	v_mul_f32_e32 v1, 0x5f7ffffc, v1
	v_mul_f32_e32 v2, 0x2f800000, v1
	v_trunc_f32_e32 v2, v2
	v_fmamk_f32 v1, v2, 0xcf800000, v1
	v_cvt_u32_f32_e32 v2, v2
	v_cvt_u32_f32_e32 v1, v1
	v_readfirstlane_b32 s12, v2
	v_readfirstlane_b32 s13, v1
	s_mul_i32 s19, s14, s12
	s_mul_hi_u32 s21, s14, s13
	s_mul_i32 s20, s15, s13
	s_add_i32 s19, s21, s19
	s_mul_i32 s22, s14, s13
	s_add_i32 s19, s19, s20
	s_mul_hi_u32 s21, s13, s22
	s_mul_i32 s24, s13, s19
	s_mul_hi_u32 s23, s12, s22
	s_mul_i32 s20, s12, s22
	s_mul_hi_u32 s22, s13, s19
	s_add_u32 s21, s21, s24
	s_addc_u32 s22, 0, s22
	s_mul_hi_u32 s25, s12, s19
	s_add_u32 s20, s21, s20
	s_mul_i32 s19, s12, s19
	s_addc_u32 s20, s22, s23
	s_addc_u32 s21, s25, 0
	s_add_u32 s19, s20, s19
	s_addc_u32 s20, 0, s21
	s_add_u32 s13, s13, s19
	s_cselect_b32 s19, -1, 0
	s_mul_hi_u32 s21, s14, s13
	s_cmp_lg_u32 s19, 0
	s_mul_i32 s19, s14, s13
	s_addc_u32 s12, s12, s20
	s_mul_i32 s15, s15, s13
	s_mul_i32 s14, s14, s12
	s_mul_hi_u32 s20, s13, s19
	s_add_i32 s14, s21, s14
	s_mul_hi_u32 s21, s12, s19
	s_add_i32 s14, s14, s15
	s_mul_i32 s15, s12, s19
	s_mul_i32 s23, s13, s14
	s_mul_hi_u32 s22, s13, s14
	s_add_u32 s20, s20, s23
	s_addc_u32 s22, 0, s22
	s_mul_hi_u32 s19, s12, s14
	s_add_u32 s15, s20, s15
	s_mul_i32 s14, s12, s14
	s_addc_u32 s15, s22, s21
	s_addc_u32 s19, s19, 0
	s_add_u32 s14, s15, s14
	s_addc_u32 s15, 0, s19
	s_add_u32 s19, s13, s14
	s_cselect_b32 s13, -1, 0
	s_cmp_lg_u32 s13, 0
	s_addc_u32 s20, s12, s15
	s_ashr_i32 s12, s17, 31
	s_add_u32 s14, s18, s12
	s_mov_b32 s13, s12
	s_addc_u32 s15, s17, s12
	s_xor_b64 s[14:15], s[14:15], s[12:13]
	s_mul_i32 s21, s14, s20
	s_mul_hi_u32 s22, s14, s19
	s_mul_hi_u32 s17, s14, s20
	;; [unrolled: 1-line block ×3, first 2 shown]
	s_mul_i32 s19, s15, s19
	s_add_u32 s21, s22, s21
	s_addc_u32 s17, 0, s17
	s_mul_hi_u32 s23, s15, s20
	s_add_u32 s19, s21, s19
	s_mul_i32 s20, s15, s20
	s_addc_u32 s17, s17, s24
	s_addc_u32 s19, s23, 0
	s_add_u32 s17, s17, s20
	s_addc_u32 s19, 0, s19
	s_mul_hi_u32 s20, s10, s17
	s_mul_i32 s21, s10, s19
	s_mul_i32 s22, s11, s17
	s_add_i32 s20, s20, s21
	s_mul_i32 s21, s10, s17
	s_add_i32 s20, s20, s22
	s_sub_i32 s22, s15, s20
	s_sub_u32 s14, s14, s21
	s_cselect_b32 s21, -1, 0
	s_cmp_lg_u32 s21, 0
	s_subb_u32 s22, s22, s11
	s_sub_u32 s23, s14, s10
	s_cselect_b32 s24, -1, 0
	s_cmp_lg_u32 s24, 0
	s_subb_u32 s22, s22, 0
	s_cmp_ge_u32 s22, s11
	s_cselect_b32 s24, -1, 0
	s_cmp_ge_u32 s23, s10
	s_cselect_b32 s23, -1, 0
	s_cmp_eq_u32 s22, s11
	s_cselect_b32 s22, s23, s24
	s_add_u32 s23, s17, 1
	s_addc_u32 s24, s19, 0
	s_add_u32 s25, s17, 2
	s_addc_u32 s26, s19, 0
	s_cmp_lg_u32 s22, 0
	s_cselect_b32 s22, s25, s23
	s_cselect_b32 s23, s26, s24
	s_cmp_lg_u32 s21, 0
	s_subb_u32 s15, s15, s20
	s_cmp_ge_u32 s15, s11
	s_cselect_b32 s20, -1, 0
	s_cmp_ge_u32 s14, s10
	s_cselect_b32 s10, -1, 0
	s_cmp_eq_u32 s15, s11
	s_cselect_b32 s10, s10, s20
	s_cmp_lg_u32 s10, 0
	s_cselect_b32 s11, s23, s19
	s_cselect_b32 s10, s22, s17
	s_xor_b64 s[12:13], s[12:13], 0
	s_xor_b64 s[10:11], s[10:11], s[12:13]
	s_sub_u32 s10, s10, s12
	s_load_dwordx4 s[12:15], s[4:5], 0x44
	s_andn2_b32 vcc_lo, exec_lo, s16
	s_cbranch_vccnz .LBB26_3
.LBB26_2:
	v_cvt_f32_u32_e32 v1, s9
	s_sub_i32 s11, 0, s9
	v_rcp_iflag_f32_e32 v1, v1
	v_mul_f32_e32 v1, 0x4f7ffffe, v1
	v_cvt_u32_f32_e32 v1, v1
	v_readfirstlane_b32 s10, v1
	s_mul_i32 s11, s11, s10
	s_mul_hi_u32 s11, s10, s11
	s_add_i32 s10, s10, s11
	s_mul_hi_u32 s10, s18, s10
	s_mul_i32 s11, s10, s9
	s_waitcnt lgkmcnt(0)
	s_add_i32 s15, s10, 1
	s_sub_i32 s11, s18, s11
	s_sub_i32 s16, s11, s9
	s_cmp_ge_u32 s11, s9
	s_cselect_b32 s10, s15, s10
	s_cselect_b32 s11, s16, s11
	s_add_i32 s15, s10, 1
	s_cmp_ge_u32 s11, s9
	s_cselect_b32 s10, s15, s10
.LBB26_3:
	s_add_i32 s11, s6, 1
	s_mov_b32 s16, 0
	s_mul_hi_i32 s17, s3, s11
	s_mul_i32 s11, s3, s11
	s_cmp_lg_u64 s[16:17], 0
	s_cbranch_scc0 .LBB26_22
; %bb.4:
	s_add_u32 s18, s9, 0
	s_addc_u32 s19, 0, 0
	s_xor_b64 s[18:19], s[18:19], 0
	v_cvt_f32_u32_e32 v1, s18
	v_cvt_f32_u32_e32 v2, s19
	s_sub_u32 s21, 0, s18
	s_subb_u32 s22, 0, s19
	v_fmamk_f32 v1, v2, 0x4f800000, v1
	v_rcp_f32_e32 v1, v1
	v_mul_f32_e32 v1, 0x5f7ffffc, v1
	v_mul_f32_e32 v2, 0x2f800000, v1
	v_trunc_f32_e32 v2, v2
	v_fmamk_f32 v1, v2, 0xcf800000, v1
	v_cvt_u32_f32_e32 v2, v2
	v_cvt_u32_f32_e32 v1, v1
	s_waitcnt lgkmcnt(0)
	v_readfirstlane_b32 s15, v2
	v_readfirstlane_b32 s20, v1
	s_mul_i32 s23, s21, s15
	s_mul_hi_u32 s25, s21, s20
	s_mul_i32 s24, s22, s20
	s_add_i32 s23, s25, s23
	s_mul_i32 s26, s21, s20
	s_add_i32 s23, s23, s24
	s_mul_hi_u32 s25, s20, s26
	s_mul_i32 s28, s20, s23
	s_mul_hi_u32 s27, s15, s26
	s_mul_i32 s24, s15, s26
	s_mul_hi_u32 s26, s20, s23
	s_add_u32 s25, s25, s28
	s_addc_u32 s26, 0, s26
	s_mul_hi_u32 s29, s15, s23
	s_add_u32 s24, s25, s24
	s_mul_i32 s23, s15, s23
	s_addc_u32 s24, s26, s27
	s_addc_u32 s25, s29, 0
	s_add_u32 s23, s24, s23
	s_addc_u32 s24, 0, s25
	s_add_u32 s20, s20, s23
	s_cselect_b32 s23, -1, 0
	s_mul_hi_u32 s25, s21, s20
	s_cmp_lg_u32 s23, 0
	s_mul_i32 s23, s21, s20
	s_addc_u32 s15, s15, s24
	s_mul_i32 s22, s22, s20
	s_mul_i32 s21, s21, s15
	s_mul_hi_u32 s24, s20, s23
	s_add_i32 s21, s25, s21
	s_mul_hi_u32 s25, s15, s23
	s_add_i32 s21, s21, s22
	s_mul_i32 s22, s15, s23
	s_mul_i32 s27, s20, s21
	s_mul_hi_u32 s26, s20, s21
	s_add_u32 s24, s24, s27
	s_addc_u32 s26, 0, s26
	s_mul_hi_u32 s23, s15, s21
	s_add_u32 s22, s24, s22
	s_mul_i32 s21, s15, s21
	s_addc_u32 s22, s26, s25
	s_addc_u32 s23, s23, 0
	s_add_u32 s21, s22, s21
	s_addc_u32 s22, 0, s23
	s_add_u32 s24, s20, s21
	s_cselect_b32 s20, -1, 0
	s_cmp_lg_u32 s20, 0
	s_addc_u32 s15, s15, s22
	s_ashr_i32 s20, s17, 31
	s_add_u32 s22, s11, s20
	s_mov_b32 s21, s20
	s_addc_u32 s23, s17, s20
	s_xor_b64 s[22:23], s[22:23], s[20:21]
	s_mul_i32 s25, s22, s15
	s_mul_hi_u32 s26, s22, s24
	s_mul_hi_u32 s17, s22, s15
	;; [unrolled: 1-line block ×3, first 2 shown]
	s_mul_i32 s24, s23, s24
	s_add_u32 s25, s26, s25
	s_addc_u32 s17, 0, s17
	s_mul_hi_u32 s27, s23, s15
	s_add_u32 s24, s25, s24
	s_mul_i32 s15, s23, s15
	s_addc_u32 s17, s17, s28
	s_addc_u32 s24, s27, 0
	s_add_u32 s15, s17, s15
	s_addc_u32 s17, 0, s24
	s_mul_hi_u32 s24, s18, s15
	s_mul_i32 s25, s18, s17
	s_mul_i32 s26, s19, s15
	s_add_i32 s24, s24, s25
	s_mul_i32 s25, s18, s15
	s_add_i32 s24, s24, s26
	s_sub_i32 s26, s23, s24
	s_sub_u32 s22, s22, s25
	s_cselect_b32 s25, -1, 0
	s_cmp_lg_u32 s25, 0
	s_subb_u32 s26, s26, s19
	s_sub_u32 s27, s22, s18
	s_cselect_b32 s28, -1, 0
	s_cmp_lg_u32 s28, 0
	s_subb_u32 s26, s26, 0
	s_cmp_ge_u32 s26, s19
	s_cselect_b32 s28, -1, 0
	s_cmp_ge_u32 s27, s18
	s_cselect_b32 s27, -1, 0
	s_cmp_eq_u32 s26, s19
	s_cselect_b32 s26, s27, s28
	s_add_u32 s27, s15, 1
	s_addc_u32 s28, s17, 0
	s_add_u32 s29, s15, 2
	s_addc_u32 s30, s17, 0
	s_cmp_lg_u32 s26, 0
	s_cselect_b32 s26, s29, s27
	s_cselect_b32 s27, s30, s28
	s_cmp_lg_u32 s25, 0
	s_subb_u32 s23, s23, s24
	s_cmp_ge_u32 s23, s19
	s_cselect_b32 s24, -1, 0
	s_cmp_ge_u32 s22, s18
	s_cselect_b32 s18, -1, 0
	s_cmp_eq_u32 s23, s19
	s_cselect_b32 s18, s18, s24
	s_cmp_lg_u32 s18, 0
	s_cselect_b32 s19, s27, s17
	s_cselect_b32 s18, s26, s15
	s_xor_b64 s[20:21], s[20:21], 0
	s_xor_b64 s[18:19], s[18:19], s[20:21]
	s_sub_u32 s18, s18, s20
	s_andn2_b32 vcc_lo, exec_lo, s16
	s_cbranch_vccnz .LBB26_6
.LBB26_5:
	v_cvt_f32_u32_e32 v1, s9
	s_sub_i32 s16, 0, s9
	v_rcp_iflag_f32_e32 v1, v1
	v_mul_f32_e32 v1, 0x4f7ffffe, v1
	v_cvt_u32_f32_e32 v1, v1
	s_waitcnt lgkmcnt(0)
	v_readfirstlane_b32 s15, v1
	s_mul_i32 s16, s16, s15
	s_mul_hi_u32 s16, s15, s16
	s_add_i32 s15, s15, s16
	s_mul_hi_u32 s15, s11, s15
	s_mul_i32 s16, s15, s9
	s_sub_i32 s11, s11, s16
	s_add_i32 s16, s15, 1
	s_sub_i32 s17, s11, s9
	s_cmp_ge_u32 s11, s9
	s_cselect_b32 s15, s16, s15
	s_cselect_b32 s11, s17, s11
	s_add_i32 s16, s15, 1
	s_cmp_ge_u32 s11, s9
	s_cselect_b32 s18, s16, s15
.LBB26_6:
	s_cmp_eq_u32 s10, s18
	s_waitcnt lgkmcnt(0)
	s_mul_hi_u32 s11, s10, s12
	s_cselect_b32 s15, -1, 0
	s_add_i32 s11, s11, s10
	s_lshr_b32 s11, s11, s13
	s_mul_i32 s16, s11, s14
	s_cmp_eq_u32 s16, s10
	s_mul_hi_u32 s16, s18, s12
	s_cselect_b32 s17, -1, 0
	s_add_i32 s16, s16, s18
	s_lshr_b32 s16, s16, s13
	s_cmp_eq_u32 s11, s16
	s_mul_i32 s16, s16, s14
	s_cselect_b32 s19, -1, 0
	s_cmp_lg_u32 s16, s18
	s_cselect_b32 s16, -1, 0
	s_or_b32 s15, s15, s17
	s_and_b32 s16, s19, s16
	s_or_b32 s15, s15, s16
	s_and_b32 vcc_lo, exec_lo, s15
	s_cbranch_vccnz .LBB26_24
; %bb.7:
	s_clause 0x1
	s_load_dwordx8 s[20:27], s[4:5], 0x20
	s_load_dword s16, s[4:5], 0x40
	s_waitcnt lgkmcnt(0)
	s_mul_hi_u32 s15, s10, s20
	s_add_i32 s15, s15, s10
	s_lshr_b32 s15, s15, s21
	s_mul_i32 s17, s15, s22
	s_sub_i32 s17, s10, s17
	s_mul_hi_u32 s18, s17, s23
	s_add_i32 s18, s17, s18
	s_lshr_b32 s21, s18, s24
	s_mul_i32 s18, s21, s25
	s_sub_i32 s17, s17, s18
	s_mul_hi_u32 s18, s17, s26
	s_add_i32 s18, s17, s18
	s_lshr_b32 s18, s18, s27
	s_mul_i32 s16, s18, s16
	s_lshl_b32 s22, s18, 2
	s_sub_i32 s16, s17, s16
	s_mul_hi_u32 s17, s16, s12
	s_add_i32 s16, s16, s17
	s_lshr_b32 s20, s16, s13
	s_lshl_b32 s16, s20, 2
	s_add_i32 s16, s16, s7
	s_cmp_lt_i32 s16, s0
	s_cselect_b32 s16, -1, 0
	s_add_i32 s22, s22, s8
	s_cmp_lt_i32 s22, s2
	s_cselect_b32 s17, -1, 0
	s_and_b32 s16, s16, s17
	s_andn2_b32 vcc_lo, exec_lo, s16
	s_cbranch_vccnz .LBB26_24
; %bb.8:
	s_load_dwordx4 s[16:19], s[4:5], 0x0
	s_mov_b32 s4, 0
	s_lshl_b32 s24, s9, 6
	s_mov_b32 s25, s4
	s_lshl_b32 s5, s7, 2
	s_lshl_b64 s[24:25], s[24:25], 2
	s_mul_i32 s21, s21, s2
	s_mul_i32 s0, s15, s0
	s_add_i32 s2, s5, s8
	v_cvt_f32_u32_e32 v3, s9
	v_rcp_iflag_f32_e32 v3, v3
	s_waitcnt lgkmcnt(0)
	s_add_u32 s8, s18, s24
	s_addc_u32 s15, s19, s25
	s_add_i32 s0, s0, s7
	s_add_i32 s5, s22, s21
	s_mul_i32 s0, s0, s1
	s_mul_i32 s1, s1, s20
	s_add_i32 s0, s5, s0
	s_mulk_i32 s1, 0x120
	s_mulk_i32 s0, 0x48
	v_mul_f32_e32 v7, 0x4f7ffffe, v3
	v_add3_u32 v1, s1, s0, v0
	s_lshl_b32 s0, s6, 4
	s_add_i32 s0, s2, s0
	v_ashrrev_i32_e32 v2, 31, v1
	s_ashr_i32 s1, s0, 31
	s_lshl_b64 s[0:1], s[0:1], 3
	v_lshlrev_b64 v[1:2], 2, v[1:2]
	s_add_u32 s0, s18, s0
	s_addc_u32 s1, s19, s1
	s_load_dwordx2 s[0:1], s[0:1], 0x0
	v_add_co_u32 v1, vcc_lo, s16, v1
	v_add_co_ci_u32_e64 v2, null, s17, v2, vcc_lo
	s_add_i32 s17, s6, -1
	v_mad_u64_u32 v[3:4], null, 0x48, s2, v[0:1]
	global_load_dword v5, v[1:2], off
	v_cvt_u32_f32_e32 v0, v7
	s_sub_i32 s16, 0, s9
	s_waitcnt lgkmcnt(0)
	v_mov_b32_e32 v4, s1
	v_mov_b32_e32 v6, s0
.LBB26_9:                               ; =>This Inner Loop Header: Depth=1
	s_mul_hi_i32 s5, s17, s3
	s_mul_i32 s6, s17, s3
	s_cmp_lg_u64 s[4:5], 0
	s_mov_b32 s7, -1
                                        ; implicit-def: $sgpr0_sgpr1
	s_cbranch_scc0 .LBB26_11
; %bb.10:                               ;   in Loop: Header=BB26_9 Depth=1
	s_add_u32 s0, s9, 0
	s_addc_u32 s1, 0, 0
	s_xor_b64 s[0:1], s[0:1], 0
	v_cvt_f32_u32_e32 v7, s0
	v_cvt_f32_u32_e32 v8, s1
	s_sub_u32 s21, 0, s0
	s_subb_u32 s22, 0, s1
	v_fmac_f32_e32 v7, 0x4f800000, v8
	v_rcp_f32_e32 v7, v7
	v_mul_f32_e32 v7, 0x5f7ffffc, v7
	v_mul_f32_e32 v8, 0x2f800000, v7
	v_trunc_f32_e32 v8, v8
	v_fmac_f32_e32 v7, 0xcf800000, v8
	v_cvt_u32_f32_e32 v8, v8
	v_cvt_u32_f32_e32 v7, v7
	v_readfirstlane_b32 s7, v8
	v_readfirstlane_b32 s20, v7
	s_mul_i32 s23, s21, s7
	s_mul_hi_u32 s25, s21, s20
	s_mul_i32 s24, s22, s20
	s_add_i32 s23, s25, s23
	s_mul_i32 s26, s21, s20
	s_add_i32 s23, s23, s24
	s_mul_hi_u32 s25, s20, s26
	s_mul_i32 s28, s20, s23
	s_mul_hi_u32 s27, s7, s26
	s_mul_i32 s24, s7, s26
	s_mul_hi_u32 s26, s20, s23
	s_add_u32 s25, s25, s28
	s_addc_u32 s26, 0, s26
	s_mul_hi_u32 s29, s7, s23
	s_add_u32 s24, s25, s24
	s_mul_i32 s23, s7, s23
	s_addc_u32 s24, s26, s27
	s_addc_u32 s25, s29, 0
	s_add_u32 s23, s24, s23
	s_addc_u32 s24, 0, s25
	s_add_u32 s20, s20, s23
	s_cselect_b32 s23, -1, 0
	s_mul_hi_u32 s25, s21, s20
	s_cmp_lg_u32 s23, 0
	s_mul_i32 s23, s21, s20
	s_addc_u32 s7, s7, s24
	s_mul_i32 s22, s22, s20
	s_mul_i32 s21, s21, s7
	s_mul_hi_u32 s24, s20, s23
	s_add_i32 s21, s25, s21
	s_mul_hi_u32 s25, s7, s23
	s_add_i32 s21, s21, s22
	s_mul_i32 s22, s7, s23
	s_mul_i32 s27, s20, s21
	s_mul_hi_u32 s26, s20, s21
	s_add_u32 s24, s24, s27
	s_addc_u32 s26, 0, s26
	s_mul_hi_u32 s23, s7, s21
	s_add_u32 s22, s24, s22
	s_mul_i32 s21, s7, s21
	s_addc_u32 s22, s26, s25
	s_addc_u32 s23, s23, 0
	s_add_u32 s21, s22, s21
	s_addc_u32 s22, 0, s23
	s_add_u32 s24, s20, s21
	s_cselect_b32 s20, -1, 0
	s_cmp_lg_u32 s20, 0
	s_addc_u32 s7, s7, s22
	s_ashr_i32 s20, s5, 31
	s_add_u32 s22, s6, s20
	s_mov_b32 s21, s20
	s_addc_u32 s23, s5, s20
	s_xor_b64 s[22:23], s[22:23], s[20:21]
	s_mul_i32 s25, s22, s7
	s_mul_hi_u32 s26, s22, s24
	s_mul_hi_u32 s5, s22, s7
	s_mul_hi_u32 s28, s23, s24
	s_mul_i32 s24, s23, s24
	s_add_u32 s25, s26, s25
	s_addc_u32 s5, 0, s5
	s_mul_hi_u32 s27, s23, s7
	s_add_u32 s24, s25, s24
	s_mul_i32 s7, s23, s7
	s_addc_u32 s5, s5, s28
	s_addc_u32 s24, s27, 0
	s_add_u32 s5, s5, s7
	s_addc_u32 s7, 0, s24
	s_mul_hi_u32 s24, s0, s5
	s_mul_i32 s25, s0, s7
	s_mul_i32 s26, s1, s5
	s_add_i32 s24, s24, s25
	s_mul_i32 s25, s0, s5
	s_add_i32 s24, s24, s26
	s_sub_i32 s26, s23, s24
	s_sub_u32 s22, s22, s25
	s_cselect_b32 s25, -1, 0
	s_cmp_lg_u32 s25, 0
	s_subb_u32 s26, s26, s1
	s_sub_u32 s27, s22, s0
	s_cselect_b32 s28, -1, 0
	s_cmp_lg_u32 s28, 0
	s_subb_u32 s26, s26, 0
	s_cmp_ge_u32 s26, s1
	s_cselect_b32 s28, -1, 0
	s_cmp_ge_u32 s27, s0
	s_cselect_b32 s27, -1, 0
	s_cmp_eq_u32 s26, s1
	s_cselect_b32 s26, s27, s28
	s_add_u32 s27, s5, 1
	s_addc_u32 s28, s7, 0
	s_add_u32 s29, s5, 2
	s_addc_u32 s30, s7, 0
	s_cmp_lg_u32 s26, 0
	s_cselect_b32 s26, s29, s27
	s_cselect_b32 s27, s30, s28
	s_cmp_lg_u32 s25, 0
	s_subb_u32 s23, s23, s24
	s_cmp_ge_u32 s23, s1
	s_cselect_b32 s24, -1, 0
	s_cmp_ge_u32 s22, s0
	s_cselect_b32 s0, -1, 0
	s_cmp_eq_u32 s23, s1
	s_cselect_b32 s0, s0, s24
	s_cmp_lg_u32 s0, 0
	s_cselect_b32 s1, s27, s7
	s_cselect_b32 s0, s26, s5
	s_xor_b64 s[20:21], s[20:21], 0
	s_mov_b32 s7, 0
	s_xor_b64 s[0:1], s[0:1], s[20:21]
	s_sub_u32 s0, s0, s20
.LBB26_11:                              ;   in Loop: Header=BB26_9 Depth=1
	s_andn2_b32 vcc_lo, exec_lo, s7
	s_cbranch_vccnz .LBB26_13
; %bb.12:                               ;   in Loop: Header=BB26_9 Depth=1
	v_readfirstlane_b32 s0, v0
	s_mul_i32 s1, s16, s0
	s_mul_hi_u32 s1, s0, s1
	s_add_i32 s0, s0, s1
	s_mul_hi_u32 s0, s6, s0
	s_mul_i32 s1, s0, s9
	s_add_i32 s5, s0, 1
	s_sub_i32 s1, s6, s1
	s_sub_i32 s6, s1, s9
	s_cmp_ge_u32 s1, s9
	s_cselect_b32 s0, s5, s0
	s_cselect_b32 s1, s6, s1
	s_add_i32 s5, s0, 1
	s_cmp_ge_u32 s1, s9
	s_cselect_b32 s0, s5, s0
.LBB26_13:                              ;   in Loop: Header=BB26_9 Depth=1
	s_cmp_lg_u32 s10, s0
	s_mov_b32 s6, -1
                                        ; implicit-def: $sgpr5
                                        ; implicit-def: $vgpr8
                                        ; implicit-def: $vgpr7
                                        ; implicit-def: $vgpr9
                                        ; implicit-def: $sgpr1
                                        ; implicit-def: $sgpr20
	s_cbranch_scc0 .LBB26_18
; %bb.14:                               ;   in Loop: Header=BB26_9 Depth=1
	s_add_i32 s1, s17, s9
	s_mov_b32 s7, s4
	s_lshl_b32 s1, s1, 4
	s_mov_b32 s20, s10
	s_add_i32 s6, s1, s2
	s_mul_hi_u32 s1, s0, s12
	s_lshl_b64 s[6:7], s[6:7], 3
	s_add_u32 s6, s18, s6
	s_addc_u32 s7, s19, s7
	s_add_i32 s1, s1, s0
	s_lshr_b32 s1, s1, s13
	s_mul_i32 s5, s1, s14
	s_cmp_eq_u32 s5, s0
	s_cselect_b32 s5, -1, 0
	s_cmp_lt_u32 s1, s11
	s_cselect_b32 s1, -1, 0
	s_or_b32 s1, s1, s5
	s_mov_b32 s5, -1
	s_and_b32 vcc_lo, exec_lo, s1
	s_mov_b32 s1, s17
	s_cbranch_vccnz .LBB26_16
; %bb.15:                               ;   in Loop: Header=BB26_9 Depth=1
	s_add_i32 s1, s17, -1
	s_mov_b32 s5, 0
	s_mov_b32 s20, s0
.LBB26_16:                              ;   in Loop: Header=BB26_9 Depth=1
	v_mad_u64_u32 v[7:8], null, 0x480, s17, v[3:4]
	s_load_dwordx2 s[6:7], s[6:7], 0x0
	v_ashrrev_i32_e32 v8, 31, v7
	v_lshlrev_b64 v[7:8], 2, v[7:8]
	v_add_co_u32 v7, vcc_lo, s8, v7
	v_add_co_ci_u32_e64 v8, null, s15, v8, vcc_lo
	s_waitcnt lgkmcnt(0)
	v_max_f32_e64 v9, s6, s6
	global_load_dword v8, v[7:8], off
	v_max_f32_e32 v7, v6, v6
	v_max_f32_e32 v7, v7, v9
	v_sub_f32_e32 v9, s6, v7
	v_sub_f32_e32 v10, v6, v7
	v_mul_f32_e32 v11, 0x3fb8aa3b, v9
	v_mul_f32_e32 v12, 0x3fb8aa3b, v10
	v_cmp_ngt_f32_e32 vcc_lo, 0xc2ce8ed0, v9
	v_fma_f32 v13, 0x3fb8aa3b, v9, -v11
	v_rndne_f32_e32 v14, v11
	v_fma_f32 v15, 0x3fb8aa3b, v10, -v12
	v_rndne_f32_e32 v16, v12
	v_fmac_f32_e32 v13, 0x32a5705f, v9
	v_sub_f32_e32 v11, v11, v14
	v_fmac_f32_e32 v15, 0x32a5705f, v10
	v_sub_f32_e32 v12, v12, v16
	v_add_f32_e32 v11, v11, v13
	v_cvt_i32_f32_e32 v13, v14
	v_add_f32_e32 v12, v12, v15
	v_cvt_i32_f32_e32 v14, v16
	v_exp_f32_e32 v11, v11
	v_exp_f32_e32 v12, v12
	v_ldexp_f32 v11, v11, v13
	v_ldexp_f32 v12, v12, v14
	v_cndmask_b32_e32 v11, 0, v11, vcc_lo
	v_cmp_ngt_f32_e32 vcc_lo, 0xc2ce8ed0, v10
	v_cndmask_b32_e32 v12, 0, v12, vcc_lo
	v_cmp_nlt_f32_e32 vcc_lo, 0x42b17218, v9
	v_cndmask_b32_e32 v11, 0x7f800000, v11, vcc_lo
	v_cmp_nlt_f32_e32 vcc_lo, 0x42b17218, v10
	v_cndmask_b32_e32 v12, 0x7f800000, v12, vcc_lo
	v_cmp_le_f32_e32 vcc_lo, 0xc1a00000, v9
	v_cndmask_b32_e32 v9, 0, v11, vcc_lo
	v_cmp_le_f32_e32 vcc_lo, 0xc1a00000, v10
	v_cndmask_b32_e32 v10, 0, v12, vcc_lo
	s_waitcnt vmcnt(0)
	v_mul_f32_e32 v8, v8, v9
	v_mul_f32_e32 v9, s7, v9
	v_fmac_f32_e32 v8, v5, v10
	v_fmac_f32_e32 v9, v4, v10
	s_cbranch_execz .LBB26_19
.LBB26_17:                              ;   in Loop: Header=BB26_9 Depth=1
	s_andn2_b32 vcc_lo, exec_lo, s5
	s_cbranch_vccnz .LBB26_20
	s_branch .LBB26_23
.LBB26_18:                              ;   in Loop: Header=BB26_9 Depth=1
	s_andn2_b32 vcc_lo, exec_lo, s6
	s_cbranch_vccnz .LBB26_17
.LBB26_19:                              ;   in Loop: Header=BB26_9 Depth=1
	v_mov_b32_e32 v9, v4
	v_mov_b32_e32 v7, v6
	s_waitcnt vmcnt(0)
	v_mov_b32_e32 v8, v5
	s_add_i32 s1, s17, -1
	s_mov_b32 s20, s10
	s_cbranch_execz .LBB26_23
.LBB26_20:                              ;   in Loop: Header=BB26_9 Depth=1
	v_mov_b32_e32 v4, v9
	v_mov_b32_e32 v6, v7
	s_waitcnt vmcnt(0)
	v_mov_b32_e32 v5, v8
	s_mov_b32 s10, s20
	s_mov_b32 s17, s1
	s_branch .LBB26_9
.LBB26_21:
                                        ; implicit-def: $sgpr10_sgpr11
	s_load_dwordx4 s[12:15], s[4:5], 0x44
	s_branch .LBB26_2
.LBB26_22:
                                        ; implicit-def: $sgpr18_sgpr19
	s_branch .LBB26_5
.LBB26_23:
	v_div_scale_f32 v0, null, v9, v9, v8
	v_rcp_f32_e32 v3, v0
	v_fma_f32 v4, -v0, v3, 1.0
	v_fmac_f32_e32 v3, v4, v3
	v_div_scale_f32 v4, vcc_lo, v8, v9, v8
	s_waitcnt vmcnt(0)
	v_mul_f32_e32 v5, v4, v3
	v_fma_f32 v6, -v0, v5, v4
	v_fmac_f32_e32 v5, v6, v3
	v_fma_f32 v0, -v0, v5, v4
	v_div_fmas_f32 v0, v0, v3, v5
	v_div_fixup_f32 v0, v0, v9, v8
	global_store_dword v[1:2], v0, off
.LBB26_24:
	s_endpgm
	.section	.rodata,"a",@progbits
	.p2align	6, 0x0
	.amdhsa_kernel _ZL33flash_attn_stream_k_fixup_generalILi72ELi4ELi4EEvPfPK15HIP_vector_typeIfLj2EEiiiiS1_IjLj3EES5_S5_S5_
		.amdhsa_group_segment_fixed_size 0
		.amdhsa_private_segment_fixed_size 0
		.amdhsa_kernarg_size 336
		.amdhsa_user_sgpr_count 6
		.amdhsa_user_sgpr_private_segment_buffer 1
		.amdhsa_user_sgpr_dispatch_ptr 0
		.amdhsa_user_sgpr_queue_ptr 0
		.amdhsa_user_sgpr_kernarg_segment_ptr 1
		.amdhsa_user_sgpr_dispatch_id 0
		.amdhsa_user_sgpr_flat_scratch_init 0
		.amdhsa_user_sgpr_private_segment_size 0
		.amdhsa_wavefront_size32 1
		.amdhsa_uses_dynamic_stack 0
		.amdhsa_system_sgpr_private_segment_wavefront_offset 0
		.amdhsa_system_sgpr_workgroup_id_x 1
		.amdhsa_system_sgpr_workgroup_id_y 1
		.amdhsa_system_sgpr_workgroup_id_z 1
		.amdhsa_system_sgpr_workgroup_info 0
		.amdhsa_system_vgpr_workitem_id 0
		.amdhsa_next_free_vgpr 17
		.amdhsa_next_free_sgpr 31
		.amdhsa_reserve_vcc 1
		.amdhsa_reserve_flat_scratch 0
		.amdhsa_float_round_mode_32 0
		.amdhsa_float_round_mode_16_64 0
		.amdhsa_float_denorm_mode_32 3
		.amdhsa_float_denorm_mode_16_64 3
		.amdhsa_dx10_clamp 1
		.amdhsa_ieee_mode 1
		.amdhsa_fp16_overflow 0
		.amdhsa_workgroup_processor_mode 1
		.amdhsa_memory_ordered 1
		.amdhsa_forward_progress 1
		.amdhsa_shared_vgpr_count 0
		.amdhsa_exception_fp_ieee_invalid_op 0
		.amdhsa_exception_fp_denorm_src 0
		.amdhsa_exception_fp_ieee_div_zero 0
		.amdhsa_exception_fp_ieee_overflow 0
		.amdhsa_exception_fp_ieee_underflow 0
		.amdhsa_exception_fp_ieee_inexact 0
		.amdhsa_exception_int_div_zero 0
	.end_amdhsa_kernel
	.section	.text._ZL33flash_attn_stream_k_fixup_generalILi72ELi4ELi4EEvPfPK15HIP_vector_typeIfLj2EEiiiiS1_IjLj3EES5_S5_S5_,"axG",@progbits,_ZL33flash_attn_stream_k_fixup_generalILi72ELi4ELi4EEvPfPK15HIP_vector_typeIfLj2EEiiiiS1_IjLj3EES5_S5_S5_,comdat
.Lfunc_end26:
	.size	_ZL33flash_attn_stream_k_fixup_generalILi72ELi4ELi4EEvPfPK15HIP_vector_typeIfLj2EEiiiiS1_IjLj3EES5_S5_S5_, .Lfunc_end26-_ZL33flash_attn_stream_k_fixup_generalILi72ELi4ELi4EEvPfPK15HIP_vector_typeIfLj2EEiiiiS1_IjLj3EES5_S5_S5_
                                        ; -- End function
	.set _ZL33flash_attn_stream_k_fixup_generalILi72ELi4ELi4EEvPfPK15HIP_vector_typeIfLj2EEiiiiS1_IjLj3EES5_S5_S5_.num_vgpr, 17
	.set _ZL33flash_attn_stream_k_fixup_generalILi72ELi4ELi4EEvPfPK15HIP_vector_typeIfLj2EEiiiiS1_IjLj3EES5_S5_S5_.num_agpr, 0
	.set _ZL33flash_attn_stream_k_fixup_generalILi72ELi4ELi4EEvPfPK15HIP_vector_typeIfLj2EEiiiiS1_IjLj3EES5_S5_S5_.numbered_sgpr, 31
	.set _ZL33flash_attn_stream_k_fixup_generalILi72ELi4ELi4EEvPfPK15HIP_vector_typeIfLj2EEiiiiS1_IjLj3EES5_S5_S5_.num_named_barrier, 0
	.set _ZL33flash_attn_stream_k_fixup_generalILi72ELi4ELi4EEvPfPK15HIP_vector_typeIfLj2EEiiiiS1_IjLj3EES5_S5_S5_.private_seg_size, 0
	.set _ZL33flash_attn_stream_k_fixup_generalILi72ELi4ELi4EEvPfPK15HIP_vector_typeIfLj2EEiiiiS1_IjLj3EES5_S5_S5_.uses_vcc, 1
	.set _ZL33flash_attn_stream_k_fixup_generalILi72ELi4ELi4EEvPfPK15HIP_vector_typeIfLj2EEiiiiS1_IjLj3EES5_S5_S5_.uses_flat_scratch, 0
	.set _ZL33flash_attn_stream_k_fixup_generalILi72ELi4ELi4EEvPfPK15HIP_vector_typeIfLj2EEiiiiS1_IjLj3EES5_S5_S5_.has_dyn_sized_stack, 0
	.set _ZL33flash_attn_stream_k_fixup_generalILi72ELi4ELi4EEvPfPK15HIP_vector_typeIfLj2EEiiiiS1_IjLj3EES5_S5_S5_.has_recursion, 0
	.set _ZL33flash_attn_stream_k_fixup_generalILi72ELi4ELi4EEvPfPK15HIP_vector_typeIfLj2EEiiiiS1_IjLj3EES5_S5_S5_.has_indirect_call, 0
	.section	.AMDGPU.csdata,"",@progbits
; Kernel info:
; codeLenInByte = 2948
; TotalNumSgprs: 33
; NumVgprs: 17
; ScratchSize: 0
; MemoryBound: 0
; FloatMode: 240
; IeeeMode: 1
; LDSByteSize: 0 bytes/workgroup (compile time only)
; SGPRBlocks: 0
; VGPRBlocks: 2
; NumSGPRsForWavesPerEU: 33
; NumVGPRsForWavesPerEU: 17
; Occupancy: 16
; WaveLimiterHint : 0
; COMPUTE_PGM_RSRC2:SCRATCH_EN: 0
; COMPUTE_PGM_RSRC2:USER_SGPR: 6
; COMPUTE_PGM_RSRC2:TRAP_HANDLER: 0
; COMPUTE_PGM_RSRC2:TGID_X_EN: 1
; COMPUTE_PGM_RSRC2:TGID_Y_EN: 1
; COMPUTE_PGM_RSRC2:TGID_Z_EN: 1
; COMPUTE_PGM_RSRC2:TIDIG_COMP_CNT: 0
	.section	.text._ZL15flash_attn_tileILi72ELi72ELi2ELi4ELb0EEvPKcS1_S1_S1_S1_PKiPfP15HIP_vector_typeIfLj2EEffffjfiS5_IjLj3EEiiiiiiiiiiiliiliiiiil,"axG",@progbits,_ZL15flash_attn_tileILi72ELi72ELi2ELi4ELb0EEvPKcS1_S1_S1_S1_PKiPfP15HIP_vector_typeIfLj2EEffffjfiS5_IjLj3EEiiiiiiiiiiiliiliiiiil,comdat
	.globl	_ZL15flash_attn_tileILi72ELi72ELi2ELi4ELb0EEvPKcS1_S1_S1_S1_PKiPfP15HIP_vector_typeIfLj2EEffffjfiS5_IjLj3EEiiiiiiiiiiiliiliiiiil ; -- Begin function _ZL15flash_attn_tileILi72ELi72ELi2ELi4ELb0EEvPKcS1_S1_S1_S1_PKiPfP15HIP_vector_typeIfLj2EEffffjfiS5_IjLj3EEiiiiiiiiiiiliiliiiiil
	.p2align	8
	.type	_ZL15flash_attn_tileILi72ELi72ELi2ELi4ELb0EEvPKcS1_S1_S1_S1_PKiPfP15HIP_vector_typeIfLj2EEffffjfiS5_IjLj3EEiiiiiiiiiiiliiliiiiil,@function
_ZL15flash_attn_tileILi72ELi72ELi2ELi4ELb0EEvPKcS1_S1_S1_S1_PKiPfP15HIP_vector_typeIfLj2EEffffjfiS5_IjLj3EEiiiiiiiiiiiliiliiiiil: ; @_ZL15flash_attn_tileILi72ELi72ELi2ELi4ELb0EEvPKcS1_S1_S1_S1_PKiPfP15HIP_vector_typeIfLj2EEffffjfiS5_IjLj3EEiiiiiiiiiiiliiliiiiil
; %bb.0:
	s_clause 0x1
	s_load_dwordx4 s[24:27], s[4:5], 0x5c
	s_load_dwordx2 s[34:35], s[4:5], 0x80
	s_mov_b32 s2, s7
	s_mov_b64 s[36:37], 0
	s_waitcnt lgkmcnt(0)
	s_ashr_i32 s0, s27, 31
	s_lshr_b32 s0, s0, 30
	s_add_i32 s0, s27, s0
	s_ashr_i32 s0, s0, 2
	v_cvt_f32_u32_e32 v2, s0
	s_sub_i32 s3, 0, s0
	v_rcp_iflag_f32_e32 v2, v2
	v_mul_f32_e32 v2, 0x4f7ffffe, v2
	v_cvt_u32_f32_e32 v2, v2
	v_readfirstlane_b32 s1, v2
	s_mul_i32 s3, s3, s1
	s_mul_hi_u32 s3, s1, s3
	s_add_i32 s1, s1, s3
	s_mul_hi_u32 s1, s8, s1
	s_mul_i32 s3, s1, s0
	s_add_i32 s7, s1, 1
	s_sub_i32 s3, s8, s3
	s_sub_i32 s9, s3, s0
	s_cmp_ge_u32 s3, s0
	s_cselect_b32 s1, s7, s1
	s_cselect_b32 s3, s9, s3
	s_add_i32 s7, s1, 1
	s_cmp_ge_u32 s3, s0
	s_cselect_b32 s3, s7, s1
	s_abs_i32 s0, s35
	s_abs_i32 s9, s27
	v_cvt_f32_u32_e32 v2, s0
	s_sub_i32 s7, 0, s0
	s_lshl_b32 s28, s8, 2
	s_mul_i32 s29, s3, s27
	v_rcp_iflag_f32_e32 v2, v2
	v_mul_f32_e32 v2, 0x4f7ffffe, v2
	v_cvt_u32_f32_e32 v2, v2
	v_readfirstlane_b32 s1, v2
	s_mul_i32 s7, s7, s1
	s_mul_hi_u32 s7, s1, s7
	s_add_i32 s1, s1, s7
	s_xor_b32 s7, s27, s35
	s_mul_hi_u32 s1, s9, s1
	s_ashr_i32 s7, s7, 31
	s_mul_i32 s8, s1, s0
	s_sub_i32 s8, s9, s8
	s_add_i32 s9, s1, 1
	s_sub_i32 s10, s8, s0
	s_cmp_ge_u32 s8, s0
	s_cselect_b32 s1, s9, s1
	s_cselect_b32 s8, s10, s8
	s_add_i32 s9, s1, 1
	s_cmp_ge_u32 s8, s0
	s_cselect_b32 s0, s9, s1
	s_xor_b32 s0, s0, s7
	s_sub_i32 s33, s0, s7
	s_clause 0x1
	s_load_dwordx16 s[8:23], s[4:5], 0x0
	s_load_dwordx2 s[0:1], s[4:5], 0xb8
	s_abs_i32 s7, s33
	v_cvt_f32_u32_e32 v2, s7
	v_rcp_iflag_f32_e32 v2, v2
	v_mul_f32_e32 v2, 0x4f7ffffe, v2
	s_waitcnt lgkmcnt(0)
	s_cmp_eq_u64 s[14:15], 0
	v_cvt_u32_f32_e32 v2, v2
	v_readfirstlane_b32 s35, v2
	s_cbranch_scc1 .LBB27_2
; %bb.1:
	s_abs_i32 s0, s0
	s_abs_i32 s36, s3
	v_cvt_f32_u32_e32 v2, s0
	s_sub_i32 s31, 0, s0
	v_rcp_iflag_f32_e32 v2, v2
	v_mul_f32_e32 v2, 0x4f7ffffe, v2
	v_cvt_u32_f32_e32 v2, v2
	v_readfirstlane_b32 s30, v2
	s_mul_i32 s31, s31, s30
	s_mul_hi_u32 s31, s30, s31
	s_add_i32 s30, s30, s31
	s_mul_hi_u32 s37, s36, s30
	s_load_dwordx2 s[30:31], s[4:5], 0xc8
	s_mul_i32 s37, s37, s0
	s_sub_i32 s36, s36, s37
	s_ashr_i32 s37, s3, 31
	s_sub_i32 s38, s36, s0
	s_cmp_ge_u32 s36, s0
	s_cselect_b32 s36, s38, s36
	s_sub_i32 s38, s36, s0
	s_cmp_ge_u32 s36, s0
	s_cselect_b32 s0, s38, s36
	s_xor_b32 s0, s0, s37
	s_sub_i32 s0, s0, s37
	s_ashr_i32 s36, s0, 31
	s_waitcnt lgkmcnt(0)
	s_mul_hi_u32 s37, s30, s0
	s_mul_i32 s36, s30, s36
	s_mul_i32 s31, s31, s0
	s_add_i32 s36, s37, s36
	s_mul_i32 s0, s30, s0
	s_add_i32 s30, s36, s31
	s_add_u32 s36, s14, s0
	s_addc_u32 s37, s15, s30
.LBB27_2:
	s_movk_i32 s14, 0x90
	v_cmp_gt_u32_e64 s0, 18, v0
	v_mad_u32_u24 v11, v1, s14, 0x14e0
	v_lshlrev_b32_e32 v14, 3, v0
	v_and_b32_e32 v12, 3, v1
	v_lshrrev_b32_e32 v13, 2, v1
	s_sub_i32 s14, s28, s29
	s_lshl_b32 s15, s6, 1
	s_and_saveexec_b32 s38, s0
	s_cbranch_execz .LBB27_4
; %bb.3:
	v_add_nc_u32_e32 v2, s15, v13
	s_load_dwordx4 s[28:31], s[4:5], 0x70
	v_mul_hi_u32 v3, s24, v2
	v_add_nc_u32_e32 v3, v2, v3
	v_lshrrev_b32_e32 v3, s25, v3
	s_waitcnt lgkmcnt(0)
	s_mul_i32 s31, s3, s30
	s_mul_i32 s39, s14, s29
	v_mul_lo_u32 v3, v3, s26
	s_ashr_i32 s40, s31, 31
	s_add_u32 s8, s8, s31
	s_addc_u32 s9, s9, s40
	s_ashr_i32 s31, s39, 31
	s_add_u32 s39, s8, s39
	s_mov_b32 s30, s29
	s_addc_u32 s40, s9, s31
	s_ashr_i32 s31, s29, 31
	v_sub_nc_u32_e32 v8, v2, v3
	s_ashr_i32 s29, s28, 31
	s_lshr_b64 s[8:9], s[30:31], 2
	v_mad_u64_u32 v[2:3], null, s8, v12, 0
	s_lshr_b64 s[8:9], s[28:29], 2
	v_mad_u64_u32 v[4:5], null, s8, v8, 0
	s_lshr_b32 s8, s31, 2
	v_mad_u64_u32 v[6:7], null, s8, v12, v[3:4]
	s_lshr_b32 s8, s29, 2
	v_mad_u64_u32 v[7:8], null, s8, v8, v[5:6]
	v_mov_b32_e32 v3, v6
	v_lshlrev_b32_e32 v6, 4, v0
	s_load_dword s8, s[4:5], 0x40
	v_lshlrev_b64 v[2:3], 2, v[2:3]
	v_mov_b32_e32 v5, v7
	v_lshlrev_b64 v[4:5], 2, v[4:5]
	v_add_co_u32 v2, vcc_lo, s39, v2
	v_add_co_ci_u32_e64 v3, null, s40, v3, vcc_lo
	v_add_co_u32 v2, vcc_lo, v2, v4
	v_add_co_ci_u32_e64 v3, null, v3, v5, vcc_lo
	;; [unrolled: 2-line block ×3, first 2 shown]
	v_add_nc_u32_e32 v6, v11, v14
	global_load_dwordx4 v[2:5], v[2:3], off
	s_waitcnt vmcnt(0) lgkmcnt(0)
	v_fma_mixlo_f16 v3, s8, v3, 0
	v_fma_mixlo_f16 v2, s8, v2, 0
	;; [unrolled: 1-line block ×4, first 2 shown]
	v_lshlrev_b32_e32 v3, 16, v3
	v_and_b32_e32 v2, 0xffff, v2
	v_and_b32_e32 v4, 0xffff, v4
	v_lshlrev_b32_e32 v5, 16, v5
	v_or_b32_e32 v2, v3, v2
	v_or3_b32 v3, v5, v4, 0
	v_or3_b32 v2, 0, 0, v2
	ds_write_b64 v6, v[2:3]
.LBB27_4:
	s_or_b32 exec_lo, exec_lo, s38
	s_cmp_eq_u64 s[18:19], 0
	s_waitcnt lgkmcnt(0)
	s_barrier
	buffer_gl0_inv
	s_cbranch_scc1 .LBB27_6
; %bb.5:
	s_load_dword s8, s[4:5], 0xd0
	s_mov_b32 s9, 0
	s_waitcnt lgkmcnt(0)
	s_mul_i32 s8, s8, s3
	s_add_i32 s8, s8, s6
	s_lshl_b64 s[8:9], s[8:9], 2
	s_add_u32 s8, s18, s8
	s_addc_u32 s9, s19, s9
	s_load_dword s34, s[8:9], 0x0
.LBB27_6:
	v_mbcnt_lo_u32_b32 v15, -1, 0
	s_lshl_b32 s8, s2, 5
	s_waitcnt lgkmcnt(0)
	s_cmp_lt_i32 s8, s34
	s_cbranch_scc1 .LBB27_9
; %bb.7:
	v_mbcnt_lo_u32_b32 v2, -1, 0
	v_mov_b32_e32 v16, 32
	v_xor_b32_e32 v21, 16, v2
	v_xor_b32_e32 v20, 8, v2
	;; [unrolled: 1-line block ×5, first 2 shown]
	s_cbranch_execz .LBB27_10
; %bb.8:
	v_mov_b32_e32 v31, 0
	v_mov_b32_e32 v38, 0
	;; [unrolled: 1-line block ×4, first 2 shown]
	s_branch .LBB27_18
.LBB27_9:
                                        ; implicit-def: $vgpr2
                                        ; implicit-def: $vgpr16
                                        ; implicit-def: $vgpr21
                                        ; implicit-def: $vgpr20
                                        ; implicit-def: $vgpr19
                                        ; implicit-def: $vgpr18
                                        ; implicit-def: $vgpr17
.LBB27_10:
	s_clause 0x1
	s_load_dwordx4 s[28:31], s[4:5], 0x98
	s_load_dwordx2 s[18:19], s[4:5], 0x8c
	v_add_nc_u32_e32 v2, s15, v13
	s_sub_i32 s6, 0, s7
	s_abs_i32 s40, s14
	s_mul_i32 s6, s6, s35
	v_lshlrev_b32_e32 v5, 2, v0
	v_mul_hi_u32 v4, s24, v2
	s_mul_hi_u32 s6, s35, s6
	s_ashr_i32 s41, s14, 31
	s_add_i32 s35, s35, s6
	s_ashr_i32 s33, s33, 31
	s_mul_hi_u32 s6, s40, s35
	s_ashr_i32 s35, s3, 31
	s_load_dwordx2 s[38:39], s[4:5], 0xa8
	v_add_nc_u32_e32 v4, v2, v4
	s_ashr_i32 s1, s1, 1
	s_mul_i32 s42, s6, s7
	v_and_b32_e32 v10, 28, v5
	v_lshrrev_b32_e32 v3, 3, v0
	s_waitcnt lgkmcnt(0)
	s_ashr_i32 s9, s30, 2
	s_mul_hi_u32 s30, s28, s3
	s_mul_i32 s43, s28, s35
	s_mul_i32 s29, s29, s3
	s_add_i32 s30, s30, s43
	s_mul_i32 s28, s28, s3
	s_ashr_i32 s18, s18, 2
	s_add_i32 s30, s30, s29
	s_add_u32 s10, s10, s28
	s_addc_u32 s11, s11, s30
	s_sub_i32 s29, s40, s42
	v_lshrrev_b32_e32 v5, s25, v4
	s_xor_b32 s28, s41, s33
	s_add_i32 s30, s6, 1
	s_sub_i32 s33, s29, s7
	s_cmp_ge_u32 s29, s7
	v_mul_lo_u32 v8, v5, s26
	s_cselect_b32 s6, s30, s6
	s_cselect_b32 s29, s33, s29
	s_add_i32 s30, s6, 1
	s_cmp_ge_u32 s29, s7
	v_lshl_add_u32 v3, v1, 2, v3
	v_lshl_add_u32 v16, v1, 5, v0
	s_cselect_b32 s6, s30, s6
	v_sub_nc_u32_e32 v2, v2, v8
	s_xor_b32 s6, s6, s28
	v_mul_lo_u32 v4, s18, v3
	v_mul_lo_u32 v6, s18, v16
	;; [unrolled: 1-line block ×4, first 2 shown]
	s_sub_i32 s6, s6, s28
	s_mul_hi_u32 s7, s38, s3
	s_mul_i32 s19, s6, s19
	s_mul_i32 s24, s38, s35
	s_ashr_i32 s29, s19, 31
	s_add_u32 s10, s10, s19
	s_mul_i32 s28, s39, s3
	s_addc_u32 s11, s11, s29
	s_add_i32 s7, s7, s24
	s_mul_i32 s19, s38, s3
	v_lshlrev_b32_e32 v17, 2, v10
	v_ashrrev_i32_e32 v5, 31, v4
	v_ashrrev_i32_e32 v7, 31, v6
	;; [unrolled: 1-line block ×4, first 2 shown]
	s_add_i32 s7, s7, s28
	s_mul_i32 s6, s6, s31
	v_lshl_add_u32 v25, v1, 6, 0x1960
	s_add_u32 s12, s12, s19
	s_addc_u32 s7, s13, s7
	s_ashr_i32 s13, s6, 31
	v_mad_u64_u32 v[1:2], null, v2, s1, v[0:1]
	s_add_u32 s12, s12, s6
	s_movk_i32 s6, 0x80
	s_movk_i32 s1, 0x90
	v_mad_u32_u24 v23, 0xa0, v3, v17
	v_mad_u32_u24 v29, 0x90, v3, v17
	v_lshlrev_b64 v[2:3], 2, v[6:7]
	v_lshlrev_b64 v[4:5], 2, v[4:5]
	;; [unrolled: 1-line block ×4, first 2 shown]
	v_cmp_gt_u32_e32 vcc_lo, 32, v16
	v_mov_b32_e32 v22, 0
	v_mul_u32_u24_e32 v24, 0xa0, v0
	v_mad_u32_u24 v26, 0xa0, v16, s6
	v_lshl_add_u32 v27, v0, 1, v25
	v_mad_u32_u24 v28, v16, s1, 0x80
	v_mov_b32_e32 v39, 0xfeffffff
	v_lshlrev_b32_e32 v30, 2, v10
	v_mov_b32_e32 v16, 32
	v_xor_b32_e32 v21, 16, v15
	v_xor_b32_e32 v20, 8, v15
	;; [unrolled: 1-line block ×5, first 2 shown]
	v_mov_b32_e32 v32, 0x10001
	v_add_nc_u32_e32 v33, 0x400, v14
	v_add_nc_u32_e32 v34, 0x800, v14
	;; [unrolled: 1-line block ×4, first 2 shown]
	v_mov_b32_e32 v31, 0
	v_mov_b32_e32 v37, 0
	s_addc_u32 s13, s7, s13
	s_add_u32 s6, s4, 0xd0
	s_addc_u32 s7, s5, 0
.LBB27_11:                              ; =>This Inner Loop Header: Depth=1
	s_mul_hi_i32 s25, s8, s18
	s_mul_i32 s24, s8, s18
	s_lshl_b64 s[24:25], s[24:25], 2
	s_add_u32 s19, s10, s24
	s_addc_u32 s24, s11, s25
	s_and_saveexec_b32 s25, vcc_lo
	s_cbranch_execz .LBB27_13
; %bb.12:                               ;   in Loop: Header=BB27_11 Depth=1
	v_add_co_u32 v40, s1, s19, v2
	v_add_co_ci_u32_e64 v41, null, s24, v3, s1
	global_load_dwordx4 v[40:43], v[40:41], off offset:128
	s_waitcnt vmcnt(0)
	ds_write_b128 v26, v[40:43]
.LBB27_13:                              ;   in Loop: Header=BB27_11 Depth=1
	s_or_b32 exec_lo, exec_lo, s25
	v_add_co_u32 v10, s1, s19, v4
	v_add_co_ci_u32_e64 v38, null, s24, v5, s1
	v_add_nc_u32_e32 v48, s8, v1
	v_add_co_u32 v40, s1, v10, v30
	v_add_co_ci_u32_e64 v41, null, 0, v38, s1
	v_mov_b32_e32 v10, 0
	v_ashrrev_i32_e32 v49, 31, v48
	s_mul_hi_i32 s25, s8, s9
	global_load_dwordx4 v[40:43], v[40:41], off
	s_mul_i32 s24, s8, s9
	v_lshlrev_b64 v[48:49], 1, v[48:49]
	s_lshl_b64 s[24:25], s[24:25], 2
	s_add_u32 s19, s12, s24
	s_addc_u32 s24, s13, s25
	v_add_co_u32 v48, s1, s36, v48
	v_add_co_ci_u32_e64 v49, null, s37, v49, s1
	v_cmp_gt_i32_e64 s1, 32, v21
	s_waitcnt vmcnt(0)
	ds_write_b128 v23, v[40:43]
	s_waitcnt lgkmcnt(0)
	s_barrier
	buffer_gl0_inv
	ds_read_b128 v[40:43], v24
	ds_read_b128 v[44:47], v11
	s_waitcnt lgkmcnt(0)
	;;#ASMSTART
	v_dot2_f32_f16 v10, v40, v44, v10
	;;#ASMEND
	;;#ASMSTART
	v_dot2_f32_f16 v10, v41, v45, v10
	;;#ASMEND
	;;#ASMSTART
	v_dot2_f32_f16 v10, v42, v46, v10
	;;#ASMEND
	;;#ASMSTART
	v_dot2_f32_f16 v10, v43, v47, v10
	;;#ASMEND
	ds_read_b128 v[40:43], v24 offset:16
	ds_read_b128 v[44:47], v11 offset:16
	s_waitcnt lgkmcnt(0)
	;;#ASMSTART
	v_dot2_f32_f16 v10, v40, v44, v10
	;;#ASMEND
	;;#ASMSTART
	v_dot2_f32_f16 v10, v41, v45, v10
	;;#ASMEND
	;;#ASMSTART
	v_dot2_f32_f16 v10, v42, v46, v10
	;;#ASMEND
	;;#ASMSTART
	v_dot2_f32_f16 v10, v43, v47, v10
	;;#ASMEND
	ds_read_b128 v[40:43], v24 offset:32
	ds_read_b128 v[44:47], v11 offset:32
	;; [unrolled: 15-line block ×8, first 2 shown]
	s_waitcnt lgkmcnt(0)
	;;#ASMSTART
	v_dot2_f32_f16 v10, v40, v44, v10
	;;#ASMEND
	;;#ASMSTART
	v_dot2_f32_f16 v10, v41, v45, v10
	;;#ASMEND
	;; [unrolled: 3-line block ×4, first 2 shown]
	global_load_ushort v38, v[48:49], off
	v_max_f32_e32 v40, v39, v39
	s_waitcnt vmcnt(0)
	s_barrier
	buffer_gl0_inv
	v_cvt_f32_f16_e32 v38, v38
	v_add_f32_e32 v38, v10, v38
	v_cndmask_b32_e64 v10, v15, v21, s1
	v_cmp_gt_i32_e64 s1, 32, v20
	v_add_f32_e32 v41, 0x40051340, v38
	v_lshlrev_b32_e32 v10, 2, v10
	v_max_f32_e32 v40, v40, v41
	v_cndmask_b32_e64 v41, v15, v20, s1
	v_cmp_gt_i32_e64 s1, 32, v19
	ds_bpermute_b32 v10, v10, v40
	v_lshlrev_b32_e32 v41, 2, v41
	s_waitcnt lgkmcnt(0)
	v_max_f32_e32 v10, v10, v10
	v_max_f32_e32 v10, v40, v10
	ds_bpermute_b32 v40, v41, v10
	v_cndmask_b32_e64 v41, v15, v19, s1
	v_cmp_gt_i32_e64 s1, 32, v18
	v_lshlrev_b32_e32 v41, 2, v41
	s_waitcnt lgkmcnt(0)
	v_max_f32_e32 v40, v40, v40
	v_max_f32_e32 v10, v10, v40
	ds_bpermute_b32 v40, v41, v10
	v_cndmask_b32_e64 v41, v15, v18, s1
	v_cmp_gt_i32_e64 s1, 32, v17
	v_lshlrev_b32_e32 v41, 2, v41
	s_waitcnt lgkmcnt(0)
	v_max_f32_e32 v40, v40, v40
	v_max_f32_e32 v10, v10, v40
	ds_bpermute_b32 v40, v41, v10
	v_cndmask_b32_e64 v41, v15, v17, s1
	v_lshlrev_b32_e32 v41, 2, v41
	s_waitcnt lgkmcnt(0)
	v_max_f32_e32 v40, v40, v40
	v_max_f32_e32 v10, v10, v40
	ds_bpermute_b32 v40, v41, v10
	s_waitcnt lgkmcnt(0)
	v_max_f32_e32 v40, v40, v40
	v_max_f32_e32 v10, v10, v40
	v_sub_f32_e32 v38, v38, v10
	v_mul_f32_e32 v40, 0x3fb8aa3b, v38
	v_cmp_ngt_f32_e64 s1, 0xc2ce8ed0, v38
	v_fma_f32 v41, 0x3fb8aa3b, v38, -v40
	v_rndne_f32_e32 v42, v40
	v_fmac_f32_e32 v41, 0x32a5705f, v38
	v_sub_f32_e32 v40, v40, v42
	v_add_f32_e32 v40, v40, v41
	v_cvt_i32_f32_e32 v41, v42
	v_exp_f32_e32 v40, v40
	v_ldexp_f32 v40, v40, v41
	v_cndmask_b32_e64 v40, 0, v40, s1
	v_cmp_nlt_f32_e64 s1, 0x42b17218, v38
	v_cndmask_b32_e64 v38, 0x7f800000, v40, s1
	v_cvt_f16_f32_e32 v40, v38
	ds_write_b16 v27, v40
	s_and_saveexec_b32 s25, vcc_lo
	s_cbranch_execz .LBB27_15
; %bb.14:                               ;   in Loop: Header=BB27_11 Depth=1
	v_add_co_u32 v40, s1, s19, v6
	v_add_co_ci_u32_e64 v41, null, s24, v7, s1
	global_load_dwordx4 v[40:43], v[40:41], off offset:128
	s_waitcnt vmcnt(0)
	ds_write_b128 v28, v[40:43]
.LBB27_15:                              ;   in Loop: Header=BB27_11 Depth=1
	s_or_b32 exec_lo, exec_lo, s25
	v_add_co_u32 v40, s1, s19, v8
	v_add_co_ci_u32_e64 v41, null, s24, v9, s1
	v_sub_f32_e32 v47, v39, v10
	v_add_co_u32 v40, s1, v40, v30
	v_add_co_ci_u32_e64 v41, null, 0, v41, s1
	v_mul_f32_e32 v39, 0x3fb8aa3b, v47
	v_cmp_ngt_f32_e64 s1, 0xc2ce8ed0, v47
	global_load_dwordx4 v[40:43], v[40:41], off
	v_fma_f32 v44, 0x3fb8aa3b, v47, -v39
	v_rndne_f32_e32 v45, v39
	v_fmac_f32_e32 v44, 0x32a5705f, v47
	v_sub_f32_e32 v39, v39, v45
	v_cvt_i32_f32_e32 v45, v45
	v_add_f32_e32 v39, v39, v44
	v_exp_f32_e32 v44, v39
	v_ldexp_f32 v48, v44, v45
	v_cndmask_b32_e64 v48, 0, v48, s1
	v_cmp_nlt_f32_e64 s1, 0x42b17218, v47
	v_cndmask_b32_e64 v59, 0x7f800000, v48, s1
	v_cvt_f16_f32_e32 v55, v59
	v_fmac_f32_e32 v38, v37, v59
	v_mul_u32_u24_sdwa v60, v55, v32 dst_sel:DWORD dst_unused:UNUSED_PAD src0_sel:WORD_0 src1_sel:DWORD
	s_waitcnt vmcnt(0)
	ds_write_b128 v29, v[40:43]
	s_waitcnt lgkmcnt(0)
	s_barrier
	buffer_gl0_inv
	ds_read_b128 v[39:42], v25
	ds_read2_b64 v[43:46], v14 offset1:18
	ds_read_b128 v[47:50], v25 offset:16
	ds_read2_b64 v[51:54], v14 offset0:36 offset1:54
	s_waitcnt lgkmcnt(3)
	v_mul_u32_u24_sdwa v56, v39, v32 dst_sel:DWORD dst_unused:UNUSED_PAD src0_sel:WORD_0 src1_sel:DWORD
	v_mul_u32_u24_sdwa v39, v39, v32 dst_sel:DWORD dst_unused:UNUSED_PAD src0_sel:WORD_1 src1_sel:DWORD
	s_waitcnt lgkmcnt(2)
	v_pk_mul_f16 v43, v43, v56
	v_pk_mul_f16 v44, v44, v56
	ds_read2_b64 v[55:58], v14 offset0:72 offset1:90
	v_pk_fma_f16 v22, v22, v60, v43
	v_pk_fma_f16 v31, v31, v60, v44
	v_mul_u32_u24_sdwa v60, v40, v32 dst_sel:DWORD dst_unused:UNUSED_PAD src0_sel:WORD_0 src1_sel:DWORD
	v_pk_fma_f16 v22, v45, v39, v22
	v_pk_fma_f16 v31, v46, v39, v31
	ds_read2_b64 v[43:46], v14 offset0:108 offset1:126
	v_mul_u32_u24_sdwa v39, v40, v32 dst_sel:DWORD dst_unused:UNUSED_PAD src0_sel:WORD_1 src1_sel:DWORD
	v_mul_u32_u24_sdwa v40, v41, v32 dst_sel:DWORD dst_unused:UNUSED_PAD src0_sel:WORD_0 src1_sel:DWORD
	s_waitcnt lgkmcnt(2)
	v_pk_fma_f16 v22, v51, v60, v22
	v_pk_fma_f16 v31, v52, v60, v31
	v_mul_u32_u24_sdwa v60, v50, v32 dst_sel:DWORD dst_unused:UNUSED_PAD src0_sel:WORD_1 src1_sel:DWORD
	v_pk_fma_f16 v22, v53, v39, v22
	v_pk_fma_f16 v31, v54, v39, v31
	ds_read2_b64 v[51:54], v14 offset0:144 offset1:162
	v_mul_u32_u24_sdwa v39, v41, v32 dst_sel:DWORD dst_unused:UNUSED_PAD src0_sel:WORD_1 src1_sel:DWORD
	s_waitcnt lgkmcnt(2)
	v_pk_fma_f16 v22, v55, v40, v22
	v_pk_fma_f16 v31, v56, v40, v31
	v_mul_u32_u24_sdwa v40, v42, v32 dst_sel:DWORD dst_unused:UNUSED_PAD src0_sel:WORD_0 src1_sel:DWORD
	v_pk_fma_f16 v22, v57, v39, v22
	v_pk_fma_f16 v31, v58, v39, v31
	ds_read2_b64 v[55:58], v14 offset0:180 offset1:198
	v_mul_u32_u24_sdwa v39, v42, v32 dst_sel:DWORD dst_unused:UNUSED_PAD src0_sel:WORD_1 src1_sel:DWORD
	s_waitcnt lgkmcnt(2)
	v_pk_fma_f16 v22, v43, v40, v22
	v_pk_fma_f16 v31, v44, v40, v31
	v_mul_u32_u24_sdwa v43, v47, v32 dst_sel:DWORD dst_unused:UNUSED_PAD src0_sel:WORD_0 src1_sel:DWORD
	v_mul_u32_u24_sdwa v44, v47, v32 dst_sel:DWORD dst_unused:UNUSED_PAD src0_sel:WORD_1 src1_sel:DWORD
	v_mul_u32_u24_sdwa v47, v48, v32 dst_sel:DWORD dst_unused:UNUSED_PAD src0_sel:WORD_0 src1_sel:DWORD
	v_pk_fma_f16 v22, v45, v39, v22
	v_pk_fma_f16 v31, v46, v39, v31
	ds_read2_b64 v[39:42], v14 offset0:216 offset1:234
	v_mul_u32_u24_sdwa v48, v48, v32 dst_sel:DWORD dst_unused:UNUSED_PAD src0_sel:WORD_1 src1_sel:DWORD
	s_waitcnt lgkmcnt(2)
	v_pk_fma_f16 v22, v51, v43, v22
	v_pk_fma_f16 v31, v52, v43, v31
	;; [unrolled: 1-line block ×4, first 2 shown]
	ds_read2_b64 v[43:46], v33 offset0:124 offset1:142
	ds_read_b128 v[51:54], v25 offset:32
	s_waitcnt lgkmcnt(3)
	v_pk_fma_f16 v22, v55, v47, v22
	v_pk_fma_f16 v31, v56, v47, v31
	v_mul_u32_u24_sdwa v47, v49, v32 dst_sel:DWORD dst_unused:UNUSED_PAD src0_sel:WORD_0 src1_sel:DWORD
	v_pk_fma_f16 v22, v57, v48, v22
	v_pk_fma_f16 v31, v58, v48, v31
	ds_read2_b64 v[55:58], v34 offset0:32 offset1:50
	v_mul_u32_u24_sdwa v48, v49, v32 dst_sel:DWORD dst_unused:UNUSED_PAD src0_sel:WORD_1 src1_sel:DWORD
	s_waitcnt lgkmcnt(3)
	v_pk_fma_f16 v22, v39, v47, v22
	v_pk_fma_f16 v31, v40, v47, v31
	v_mul_u32_u24_sdwa v47, v50, v32 dst_sel:DWORD dst_unused:UNUSED_PAD src0_sel:WORD_0 src1_sel:DWORD
	v_pk_fma_f16 v22, v41, v48, v22
	v_pk_fma_f16 v31, v42, v48, v31
	ds_read2_b64 v[39:42], v34 offset0:68 offset1:86
	s_waitcnt lgkmcnt(3)
	v_pk_fma_f16 v22, v43, v47, v22
	v_pk_fma_f16 v31, v44, v47, v31
	ds_read_b128 v[47:50], v25 offset:48
	s_waitcnt lgkmcnt(3)
	v_mul_u32_u24_sdwa v61, v51, v32 dst_sel:DWORD dst_unused:UNUSED_PAD src0_sel:WORD_0 src1_sel:DWORD
	v_mul_u32_u24_sdwa v51, v51, v32 dst_sel:DWORD dst_unused:UNUSED_PAD src0_sel:WORD_1 src1_sel:DWORD
	v_pk_fma_f16 v22, v45, v60, v22
	v_pk_fma_f16 v31, v46, v60, v31
	ds_read2_b64 v[43:46], v34 offset0:104 offset1:122
	v_mul_u32_u24_sdwa v60, v52, v32 dst_sel:DWORD dst_unused:UNUSED_PAD src0_sel:WORD_0 src1_sel:DWORD
	s_waitcnt lgkmcnt(3)
	v_pk_fma_f16 v22, v55, v61, v22
	v_pk_fma_f16 v31, v56, v61, v31
	;; [unrolled: 1-line block ×4, first 2 shown]
	ds_read2_b64 v[55:58], v34 offset0:140 offset1:158
	v_mul_u32_u24_sdwa v51, v52, v32 dst_sel:DWORD dst_unused:UNUSED_PAD src0_sel:WORD_1 src1_sel:DWORD
	v_mul_u32_u24_sdwa v52, v53, v32 dst_sel:DWORD dst_unused:UNUSED_PAD src0_sel:WORD_0 src1_sel:DWORD
	s_waitcnt lgkmcnt(3)
	v_pk_fma_f16 v22, v39, v60, v22
	v_pk_fma_f16 v31, v40, v60, v31
	;; [unrolled: 1-line block ×4, first 2 shown]
	ds_read2_b64 v[39:42], v34 offset0:176 offset1:194
	v_mul_u32_u24_sdwa v51, v53, v32 dst_sel:DWORD dst_unused:UNUSED_PAD src0_sel:WORD_1 src1_sel:DWORD
	s_waitcnt lgkmcnt(2)
	v_pk_fma_f16 v22, v43, v52, v22
	v_pk_fma_f16 v31, v44, v52, v31
	v_mul_u32_u24_sdwa v52, v54, v32 dst_sel:DWORD dst_unused:UNUSED_PAD src0_sel:WORD_0 src1_sel:DWORD
	v_pk_fma_f16 v22, v45, v51, v22
	v_pk_fma_f16 v31, v46, v51, v31
	ds_read2_b64 v[43:46], v34 offset0:212 offset1:230
	v_mul_u32_u24_sdwa v51, v54, v32 dst_sel:DWORD dst_unused:UNUSED_PAD src0_sel:WORD_1 src1_sel:DWORD
	s_waitcnt lgkmcnt(2)
	v_pk_fma_f16 v22, v55, v52, v22
	v_pk_fma_f16 v31, v56, v52, v31
	v_mul_u32_u24_sdwa v55, v47, v32 dst_sel:DWORD dst_unused:UNUSED_PAD src0_sel:WORD_0 src1_sel:DWORD
	v_mul_u32_u24_sdwa v47, v47, v32 dst_sel:DWORD dst_unused:UNUSED_PAD src0_sel:WORD_1 src1_sel:DWORD
	v_pk_fma_f16 v22, v57, v51, v22
	v_pk_fma_f16 v31, v58, v51, v31
	ds_read2_b64 v[51:54], v35 offset0:120 offset1:138
	s_waitcnt lgkmcnt(2)
	v_pk_fma_f16 v22, v39, v55, v22
	v_pk_fma_f16 v31, v40, v55, v31
	v_mul_u32_u24_sdwa v39, v48, v32 dst_sel:DWORD dst_unused:UNUSED_PAD src0_sel:WORD_0 src1_sel:DWORD
	ds_read2_b64 v[55:58], v36 offset0:28 offset1:46
	v_mul_u32_u24_sdwa v40, v48, v32 dst_sel:DWORD dst_unused:UNUSED_PAD src0_sel:WORD_1 src1_sel:DWORD
	v_pk_fma_f16 v22, v41, v47, v22
	v_pk_fma_f16 v31, v42, v47, v31
	s_waitcnt lgkmcnt(0)
	s_barrier
	buffer_gl0_inv
	v_pk_fma_f16 v22, v43, v39, v22
	v_pk_fma_f16 v31, v44, v39, v31
	s_load_dword s1, s[6:7], 0x4
	v_mul_u32_u24_sdwa v39, v49, v32 dst_sel:DWORD dst_unused:UNUSED_PAD src0_sel:WORD_0 src1_sel:DWORD
	v_pk_fma_f16 v22, v45, v40, v22
	v_pk_fma_f16 v31, v46, v40, v31
	v_mul_u32_u24_sdwa v40, v49, v32 dst_sel:DWORD dst_unused:UNUSED_PAD src0_sel:WORD_1 src1_sel:DWORD
	v_pk_fma_f16 v22, v51, v39, v22
	v_pk_fma_f16 v31, v52, v39, v31
	v_mul_u32_u24_sdwa v39, v50, v32 dst_sel:DWORD dst_unused:UNUSED_PAD src0_sel:WORD_0 src1_sel:DWORD
	v_pk_fma_f16 v22, v53, v40, v22
	v_pk_fma_f16 v31, v54, v40, v31
	v_mul_u32_u24_sdwa v40, v50, v32 dst_sel:DWORD dst_unused:UNUSED_PAD src0_sel:WORD_1 src1_sel:DWORD
	v_pk_fma_f16 v22, v55, v39, v22
	v_pk_fma_f16 v31, v56, v39, v31
	s_waitcnt lgkmcnt(0)
	s_lshl_b32 s1, s1, 5
	s_add_i32 s8, s1, s8
	v_pk_fma_f16 v22, v57, v40, v22
	v_pk_fma_f16 v31, v58, v40, v31
	s_cmp_ge_i32 s8, s34
	s_cbranch_scc1 .LBB27_17
; %bb.16:                               ;   in Loop: Header=BB27_11 Depth=1
	v_mov_b32_e32 v39, v10
	v_mov_b32_e32 v37, v38
	s_branch .LBB27_11
.LBB27_17:
	v_mov_b32_e32 v2, v15
.LBB27_18:
	v_cmp_lt_i32_e32 vcc_lo, v21, v16
	s_cmp_lg_u64 s[16:17], 0
	s_cselect_b32 s1, -1, 0
	s_cmp_eq_u32 s2, 0
	v_cndmask_b32_e32 v1, v2, v21, vcc_lo
	v_cmp_lt_i32_e32 vcc_lo, v20, v16
	s_cselect_b32 s6, -1, 0
	s_and_b32 s1, s6, s1
	v_lshlrev_b32_e32 v1, 2, v1
	v_cndmask_b32_e32 v3, v2, v20, vcc_lo
	v_cmp_lt_i32_e32 vcc_lo, v19, v16
	ds_bpermute_b32 v1, v1, v38
	v_lshlrev_b32_e32 v3, 2, v3
	v_cndmask_b32_e32 v4, v2, v19, vcc_lo
	v_cmp_lt_i32_e32 vcc_lo, v18, v16
	v_lshlrev_b32_e32 v4, 2, v4
	s_waitcnt lgkmcnt(0)
	v_add_f32_e32 v1, v38, v1
	ds_bpermute_b32 v3, v3, v1
	s_waitcnt lgkmcnt(0)
	v_add_f32_e32 v1, v1, v3
	ds_bpermute_b32 v3, v4, v1
	v_cndmask_b32_e32 v4, v2, v18, vcc_lo
	v_cmp_lt_i32_e32 vcc_lo, v17, v16
	v_lshlrev_b32_e32 v4, 2, v4
	v_cndmask_b32_e32 v2, v2, v17, vcc_lo
	s_and_b32 vcc_lo, exec_lo, s1
	v_lshlrev_b32_e32 v2, 2, v2
	s_waitcnt lgkmcnt(0)
	v_add_f32_e32 v1, v1, v3
	ds_bpermute_b32 v3, v4, v1
	s_waitcnt lgkmcnt(0)
	v_add_f32_e32 v1, v1, v3
	ds_bpermute_b32 v2, v2, v1
	s_waitcnt lgkmcnt(0)
	v_add_f32_e32 v11, v1, v2
	s_cbranch_vccz .LBB27_20
; %bb.19:
	v_add_nc_u32_e32 v1, s14, v12
	v_ashrrev_i32_e32 v2, 31, v1
	v_lshlrev_b64 v[1:2], 2, v[1:2]
	v_add_co_u32 v1, vcc_lo, s16, v1
	v_add_co_ci_u32_e64 v2, null, s17, v2, vcc_lo
	global_load_dword v1, v[1:2], off
	v_max_f32_e32 v2, v10, v10
	s_waitcnt vmcnt(0)
	v_max_f32_e32 v3, v1, v1
	v_max_f32_e32 v2, v2, v3
	v_sub_f32_e32 v3, v10, v2
	v_sub_f32_e32 v1, v1, v2
	v_mov_b32_e32 v10, v2
	v_mul_f32_e32 v4, 0x3fb8aa3b, v3
	v_mul_f32_e32 v5, 0x3fb8aa3b, v1
	v_cmp_ngt_f32_e32 vcc_lo, 0xc2ce8ed0, v3
	v_fma_f32 v6, 0x3fb8aa3b, v3, -v4
	v_rndne_f32_e32 v7, v4
	v_fma_f32 v8, 0x3fb8aa3b, v1, -v5
	v_rndne_f32_e32 v9, v5
	v_fmac_f32_e32 v6, 0x32a5705f, v3
	v_sub_f32_e32 v4, v4, v7
	v_fmac_f32_e32 v8, 0x32a5705f, v1
	v_sub_f32_e32 v5, v5, v9
	v_add_f32_e32 v4, v4, v6
	v_cvt_i32_f32_e32 v6, v7
	v_add_f32_e32 v5, v5, v8
	v_cvt_i32_f32_e32 v7, v9
	v_exp_f32_e32 v4, v4
	v_exp_f32_e32 v5, v5
	v_ldexp_f32 v4, v4, v6
	v_ldexp_f32 v5, v5, v7
	v_cndmask_b32_e32 v4, 0, v4, vcc_lo
	v_cmp_ngt_f32_e32 vcc_lo, 0xc2ce8ed0, v1
	v_cndmask_b32_e32 v5, 0, v5, vcc_lo
	v_cmp_nlt_f32_e32 vcc_lo, 0x42b17218, v3
	v_cndmask_b32_e32 v3, 0x7f800000, v4, vcc_lo
	v_cmp_nlt_f32_e32 vcc_lo, 0x42b17218, v1
	v_mov_b32_e32 v4, 0x10001
	v_cndmask_b32_e32 v1, 0x7f800000, v5, vcc_lo
	v_cvt_f16_f32_e32 v5, v3
	v_fmac_f32_e32 v1, v11, v3
	v_mul_u32_u24_sdwa v3, v5, v4 dst_sel:DWORD dst_unused:UNUSED_PAD src0_sel:WORD_0 src1_sel:DWORD
	v_mov_b32_e32 v11, v1
	v_pk_mul_f16 v22, v22, v3
	v_pk_mul_f16 v31, v31, v3
.LBB27_20:
	v_add_nc_u32_e32 v1, s15, v13
	s_mov_b32 s1, exec_lo
	v_cmpx_gt_i32_e64 s26, v1
	s_cbranch_execz .LBB27_25
; %bb.21:
	v_mad_u64_u32 v[1:2], null, s3, s26, v[1:2]
	s_load_dword s1, s[4:5], 0xd4
	v_mul_lo_u32 v1, v1, s27
	v_add3_u32 v1, s14, v12, v1
	s_waitcnt lgkmcnt(0)
	s_cmp_lg_u32 s1, 1
	v_mad_u64_u32 v[1:2], null, s1, v1, s[2:3]
	s_cselect_b32 s1, -1, 0
	s_and_saveexec_b32 s2, s0
	s_cbranch_execz .LBB27_23
; %bb.22:
	v_div_scale_f32 v2, null, v11, v11, 1.0
	v_div_scale_f32 v5, vcc_lo, 1.0, v11, 1.0
	v_cvt_f32_f16_sdwa v8, v31 dst_sel:DWORD dst_unused:UNUSED_PAD src0_sel:WORD_1
	v_rcp_f32_e32 v3, v2
	v_cvt_f32_f16_sdwa v12, v22 dst_sel:DWORD dst_unused:UNUSED_PAD src0_sel:WORD_1
	v_cvt_f32_f16_e32 v13, v22
	v_fma_f32 v4, -v2, v3, 1.0
	v_fmac_f32_e32 v3, v4, v3
	v_mul_f32_e32 v4, v5, v3
	v_fma_f32 v6, -v2, v4, v5
	v_fmac_f32_e32 v4, v6, v3
	v_fma_f32 v2, -v2, v4, v5
	v_div_fmas_f32 v2, v2, v3, v4
	v_mul_lo_u32 v4, 0x48, v1
	v_mov_b32_e32 v3, 0
	v_div_fixup_f32 v5, v2, v11, 1.0
	v_lshl_add_u32 v2, v0, 2, v4
	v_cndmask_b32_e64 v9, v5, 1.0, s1
	v_cvt_f32_f16_e32 v4, v31
	v_lshlrev_b64 v[6:7], 2, v[2:3]
	v_mul_f32_e32 v5, v9, v8
	v_mul_f32_e32 v4, v9, v4
	;; [unrolled: 1-line block ×4, first 2 shown]
	v_add_co_u32 v6, vcc_lo, s20, v6
	v_add_co_ci_u32_e64 v7, null, s21, v7, vcc_lo
	global_store_dwordx4 v[6:7], v[2:5], off
.LBB27_23:
	s_or_b32 exec_lo, exec_lo, s2
	v_cmp_eq_u32_e32 vcc_lo, 0, v0
	s_and_b32 s0, vcc_lo, s1
	s_and_b32 exec_lo, exec_lo, s0
	s_cbranch_execz .LBB27_25
; %bb.24:
	v_ashrrev_i32_e32 v2, 31, v1
	v_lshlrev_b64 v[0:1], 3, v[1:2]
	v_add_co_u32 v0, vcc_lo, s22, v0
	v_add_co_ci_u32_e64 v1, null, s23, v1, vcc_lo
	global_store_dwordx2 v[0:1], v[10:11], off
.LBB27_25:
	s_endpgm
	.section	.rodata,"a",@progbits
	.p2align	6, 0x0
	.amdhsa_kernel _ZL15flash_attn_tileILi72ELi72ELi2ELi4ELb0EEvPKcS1_S1_S1_S1_PKiPfP15HIP_vector_typeIfLj2EEffffjfiS5_IjLj3EEiiiiiiiiiiiliiliiiiil
		.amdhsa_group_segment_fixed_size 7008
		.amdhsa_private_segment_fixed_size 0
		.amdhsa_kernarg_size 464
		.amdhsa_user_sgpr_count 6
		.amdhsa_user_sgpr_private_segment_buffer 1
		.amdhsa_user_sgpr_dispatch_ptr 0
		.amdhsa_user_sgpr_queue_ptr 0
		.amdhsa_user_sgpr_kernarg_segment_ptr 1
		.amdhsa_user_sgpr_dispatch_id 0
		.amdhsa_user_sgpr_flat_scratch_init 0
		.amdhsa_user_sgpr_private_segment_size 0
		.amdhsa_wavefront_size32 1
		.amdhsa_uses_dynamic_stack 0
		.amdhsa_system_sgpr_private_segment_wavefront_offset 0
		.amdhsa_system_sgpr_workgroup_id_x 1
		.amdhsa_system_sgpr_workgroup_id_y 1
		.amdhsa_system_sgpr_workgroup_id_z 1
		.amdhsa_system_sgpr_workgroup_info 0
		.amdhsa_system_vgpr_workitem_id 1
		.amdhsa_next_free_vgpr 62
		.amdhsa_next_free_sgpr 44
		.amdhsa_reserve_vcc 1
		.amdhsa_reserve_flat_scratch 0
		.amdhsa_float_round_mode_32 0
		.amdhsa_float_round_mode_16_64 0
		.amdhsa_float_denorm_mode_32 3
		.amdhsa_float_denorm_mode_16_64 3
		.amdhsa_dx10_clamp 1
		.amdhsa_ieee_mode 1
		.amdhsa_fp16_overflow 0
		.amdhsa_workgroup_processor_mode 1
		.amdhsa_memory_ordered 1
		.amdhsa_forward_progress 1
		.amdhsa_shared_vgpr_count 0
		.amdhsa_exception_fp_ieee_invalid_op 0
		.amdhsa_exception_fp_denorm_src 0
		.amdhsa_exception_fp_ieee_div_zero 0
		.amdhsa_exception_fp_ieee_overflow 0
		.amdhsa_exception_fp_ieee_underflow 0
		.amdhsa_exception_fp_ieee_inexact 0
		.amdhsa_exception_int_div_zero 0
	.end_amdhsa_kernel
	.section	.text._ZL15flash_attn_tileILi72ELi72ELi2ELi4ELb0EEvPKcS1_S1_S1_S1_PKiPfP15HIP_vector_typeIfLj2EEffffjfiS5_IjLj3EEiiiiiiiiiiiliiliiiiil,"axG",@progbits,_ZL15flash_attn_tileILi72ELi72ELi2ELi4ELb0EEvPKcS1_S1_S1_S1_PKiPfP15HIP_vector_typeIfLj2EEffffjfiS5_IjLj3EEiiiiiiiiiiiliiliiiiil,comdat
.Lfunc_end27:
	.size	_ZL15flash_attn_tileILi72ELi72ELi2ELi4ELb0EEvPKcS1_S1_S1_S1_PKiPfP15HIP_vector_typeIfLj2EEffffjfiS5_IjLj3EEiiiiiiiiiiiliiliiiiil, .Lfunc_end27-_ZL15flash_attn_tileILi72ELi72ELi2ELi4ELb0EEvPKcS1_S1_S1_S1_PKiPfP15HIP_vector_typeIfLj2EEffffjfiS5_IjLj3EEiiiiiiiiiiiliiliiiiil
                                        ; -- End function
	.set _ZL15flash_attn_tileILi72ELi72ELi2ELi4ELb0EEvPKcS1_S1_S1_S1_PKiPfP15HIP_vector_typeIfLj2EEffffjfiS5_IjLj3EEiiiiiiiiiiiliiliiiiil.num_vgpr, 62
	.set _ZL15flash_attn_tileILi72ELi72ELi2ELi4ELb0EEvPKcS1_S1_S1_S1_PKiPfP15HIP_vector_typeIfLj2EEffffjfiS5_IjLj3EEiiiiiiiiiiiliiliiiiil.num_agpr, 0
	.set _ZL15flash_attn_tileILi72ELi72ELi2ELi4ELb0EEvPKcS1_S1_S1_S1_PKiPfP15HIP_vector_typeIfLj2EEffffjfiS5_IjLj3EEiiiiiiiiiiiliiliiiiil.numbered_sgpr, 44
	.set _ZL15flash_attn_tileILi72ELi72ELi2ELi4ELb0EEvPKcS1_S1_S1_S1_PKiPfP15HIP_vector_typeIfLj2EEffffjfiS5_IjLj3EEiiiiiiiiiiiliiliiiiil.num_named_barrier, 0
	.set _ZL15flash_attn_tileILi72ELi72ELi2ELi4ELb0EEvPKcS1_S1_S1_S1_PKiPfP15HIP_vector_typeIfLj2EEffffjfiS5_IjLj3EEiiiiiiiiiiiliiliiiiil.private_seg_size, 0
	.set _ZL15flash_attn_tileILi72ELi72ELi2ELi4ELb0EEvPKcS1_S1_S1_S1_PKiPfP15HIP_vector_typeIfLj2EEffffjfiS5_IjLj3EEiiiiiiiiiiiliiliiiiil.uses_vcc, 1
	.set _ZL15flash_attn_tileILi72ELi72ELi2ELi4ELb0EEvPKcS1_S1_S1_S1_PKiPfP15HIP_vector_typeIfLj2EEffffjfiS5_IjLj3EEiiiiiiiiiiiliiliiiiil.uses_flat_scratch, 0
	.set _ZL15flash_attn_tileILi72ELi72ELi2ELi4ELb0EEvPKcS1_S1_S1_S1_PKiPfP15HIP_vector_typeIfLj2EEffffjfiS5_IjLj3EEiiiiiiiiiiiliiliiiiil.has_dyn_sized_stack, 0
	.set _ZL15flash_attn_tileILi72ELi72ELi2ELi4ELb0EEvPKcS1_S1_S1_S1_PKiPfP15HIP_vector_typeIfLj2EEffffjfiS5_IjLj3EEiiiiiiiiiiiliiliiiiil.has_recursion, 0
	.set _ZL15flash_attn_tileILi72ELi72ELi2ELi4ELb0EEvPKcS1_S1_S1_S1_PKiPfP15HIP_vector_typeIfLj2EEffffjfiS5_IjLj3EEiiiiiiiiiiiliiliiiiil.has_indirect_call, 0
	.section	.AMDGPU.csdata,"",@progbits
; Kernel info:
; codeLenInByte = 5068
; TotalNumSgprs: 46
; NumVgprs: 62
; ScratchSize: 0
; MemoryBound: 0
; FloatMode: 240
; IeeeMode: 1
; LDSByteSize: 7008 bytes/workgroup (compile time only)
; SGPRBlocks: 0
; VGPRBlocks: 7
; NumSGPRsForWavesPerEU: 46
; NumVGPRsForWavesPerEU: 62
; Occupancy: 16
; WaveLimiterHint : 1
; COMPUTE_PGM_RSRC2:SCRATCH_EN: 0
; COMPUTE_PGM_RSRC2:USER_SGPR: 6
; COMPUTE_PGM_RSRC2:TRAP_HANDLER: 0
; COMPUTE_PGM_RSRC2:TGID_X_EN: 1
; COMPUTE_PGM_RSRC2:TGID_Y_EN: 1
; COMPUTE_PGM_RSRC2:TGID_Z_EN: 1
; COMPUTE_PGM_RSRC2:TIDIG_COMP_CNT: 1
	.section	.text._ZL33flash_attn_stream_k_fixup_uniformILi72ELi2ELi4EEvPfPK15HIP_vector_typeIfLj2EEiiiiiiS1_IjLj3EES5_S5_,"axG",@progbits,_ZL33flash_attn_stream_k_fixup_uniformILi72ELi2ELi4EEvPfPK15HIP_vector_typeIfLj2EEiiiiiiS1_IjLj3EES5_S5_,comdat
	.globl	_ZL33flash_attn_stream_k_fixup_uniformILi72ELi2ELi4EEvPfPK15HIP_vector_typeIfLj2EEiiiiiiS1_IjLj3EES5_S5_ ; -- Begin function _ZL33flash_attn_stream_k_fixup_uniformILi72ELi2ELi4EEvPfPK15HIP_vector_typeIfLj2EEiiiiiiS1_IjLj3EES5_S5_
	.p2align	8
	.type	_ZL33flash_attn_stream_k_fixup_uniformILi72ELi2ELi4EEvPfPK15HIP_vector_typeIfLj2EEiiiiiiS1_IjLj3EES5_S5_,@function
_ZL33flash_attn_stream_k_fixup_uniformILi72ELi2ELi4EEvPfPK15HIP_vector_typeIfLj2EEiiiiiiS1_IjLj3EES5_S5_: ; @_ZL33flash_attn_stream_k_fixup_uniformILi72ELi2ELi4EEvPfPK15HIP_vector_typeIfLj2EEiiiiiiS1_IjLj3EES5_S5_
; %bb.0:
	s_clause 0x2
	s_load_dwordx8 s[12:19], s[4:5], 0x1c
	s_load_dwordx4 s[20:23], s[4:5], 0x3c
	s_load_dwordx2 s[10:11], s[4:5], 0x10
	s_waitcnt lgkmcnt(0)
	s_mul_hi_u32 s0, s15, s6
	s_add_i32 s0, s6, s0
	s_lshr_b32 s0, s0, s16
	s_mul_i32 s1, s0, s17
	s_sub_i32 s1, s6, s1
	s_mul_hi_u32 s2, s1, s18
	s_add_i32 s2, s1, s2
	s_lshr_b32 s9, s2, s19
	s_mul_i32 s2, s9, s20
	s_sub_i32 s1, s1, s2
	s_mul_hi_u32 s2, s1, s21
	s_add_i32 s2, s1, s2
	s_lshr_b32 s2, s2, s22
	s_mul_i32 s3, s2, s23
	s_lshl_b32 s16, s2, 2
	s_sub_i32 s15, s1, s3
	s_lshl_b32 s1, s15, 1
	s_add_i32 s1, s1, s7
	s_cmp_lt_i32 s1, s10
	s_cselect_b32 s1, -1, 0
	s_add_i32 s16, s16, s8
	s_cmp_lt_i32 s16, s13
	s_cselect_b32 s2, -1, 0
	s_and_b32 s1, s1, s2
	s_andn2_b32 vcc_lo, exec_lo, s1
	s_cbranch_vccnz .LBB28_6
; %bb.1:
	s_mul_i32 s10, s0, s10
	s_load_dwordx4 s[0:3], s[4:5], 0x0
	s_add_i32 s4, s10, s7
	s_mul_i32 s9, s9, s13
	s_mul_i32 s4, s4, s11
	s_add_i32 s5, s16, s9
	s_mul_i32 s9, s11, s15
	s_add_i32 s4, s5, s4
	s_mulk_i32 s9, 0x90
	s_mulk_i32 s4, 0x48
	s_lshl_b32 s10, s7, 2
	v_add3_u32 v1, s4, s9, v0
	s_mul_i32 s4, s14, s6
	s_add_i32 s11, s4, s14
	v_ashrrev_i32_e32 v2, 31, v1
	v_lshlrev_b64 v[1:2], 2, v[1:2]
	s_waitcnt lgkmcnt(0)
	v_add_co_u32 v1, vcc_lo, s0, v1
	v_add_co_ci_u32_e64 v2, null, s1, v2, vcc_lo
	s_add_i32 s0, s10, s8
	s_lshl_b32 s1, s11, 3
	global_load_dword v5, v[1:2], off
	s_add_i32 s0, s0, s1
	s_add_i32 s0, s0, -8
	s_ashr_i32 s1, s0, 31
	s_lshl_b64 s[0:1], s[0:1], 3
	s_add_u32 s0, s2, s0
	s_addc_u32 s1, s3, s1
	s_add_i32 s5, s11, -2
	s_load_dword s13, s[0:1], 0x4
	s_cmp_lt_i32 s5, s4
	s_cbranch_scc1 .LBB28_4
; %bb.2:
	s_load_dword s15, s[0:1], 0x0
	s_lshl_b32 s16, s12, 5
	s_mulk_i32 s7, 0x120
	s_ashr_i32 s17, s16, 31
	s_waitcnt lgkmcnt(0)
	v_mov_b32_e32 v6, s13
	s_lshl_b64 s[0:1], s[16:17], 2
	s_add_u32 s5, s2, s0
	s_addc_u32 s9, s3, s1
	s_add_i32 s6, s6, 1
	s_mul_i32 s0, s14, s6
	s_mul_i32 s6, s8, 0x48
	s_lshl_b32 s1, s0, 3
	s_mulk_i32 s0, 0x240
	s_add_i32 s6, s6, s7
	s_add_i32 s1, s8, s1
	s_lshl_b32 s7, s12, 3
	s_add_i32 s6, s6, s0
	s_add_i32 s0, s1, s7
	v_add3_u32 v3, s6, v0, 0xfffffb80
	v_mov_b32_e32 v0, s15
	s_add_i32 s0, s0, s10
	s_add_i32 s6, s11, -1
	s_add_i32 s0, s0, -16
.LBB28_3:                               ; =>This Inner Loop Header: Depth=1
	v_ashrrev_i32_e32 v4, 31, v3
	s_ashr_i32 s1, s0, 31
	s_lshl_b64 s[10:11], s[0:1], 3
	s_add_u32 s10, s2, s10
	v_lshlrev_b64 v[7:8], 2, v[3:4]
	s_addc_u32 s11, s3, s11
	v_add_nc_u32_e32 v3, 0xfffffdc0, v3
	s_add_i32 s6, s6, -1
	s_add_i32 s0, s0, -8
	s_cmp_le_i32 s6, s4
	v_add_co_u32 v7, vcc_lo, s5, v7
	v_add_co_ci_u32_e64 v8, null, s9, v8, vcc_lo
	s_load_dwordx2 s[10:11], s[10:11], 0x0
	global_load_dword v4, v[7:8], off
	v_max_f32_e32 v7, v0, v0
	s_waitcnt lgkmcnt(0)
	v_max_f32_e64 v8, s10, s10
	v_max_f32_e32 v7, v7, v8
	v_sub_f32_e32 v8, s10, v7
	v_sub_f32_e32 v0, v0, v7
	v_mul_f32_e32 v9, 0x3fb8aa3b, v8
	v_mul_f32_e32 v12, 0x3fb8aa3b, v0
	v_cmp_ngt_f32_e32 vcc_lo, 0xc2ce8ed0, v8
	v_fma_f32 v10, 0x3fb8aa3b, v8, -v9
	v_rndne_f32_e32 v11, v9
	v_fma_f32 v13, 0x3fb8aa3b, v0, -v12
	v_rndne_f32_e32 v14, v12
	v_fmac_f32_e32 v10, 0x32a5705f, v8
	v_sub_f32_e32 v9, v9, v11
	v_fmac_f32_e32 v13, 0x32a5705f, v0
	v_cvt_i32_f32_e32 v11, v11
	v_add_f32_e32 v9, v9, v10
	v_sub_f32_e32 v10, v12, v14
	v_exp_f32_e32 v9, v9
	v_add_f32_e32 v10, v10, v13
	v_exp_f32_e32 v10, v10
	v_ldexp_f32 v9, v9, v11
	v_cvt_i32_f32_e32 v11, v14
	v_cndmask_b32_e32 v9, 0, v9, vcc_lo
	v_cmp_nlt_f32_e32 vcc_lo, 0x42b17218, v8
	v_ldexp_f32 v10, v10, v11
	v_mov_b32_e32 v11, v6
	v_cndmask_b32_e32 v9, 0x7f800000, v9, vcc_lo
	v_cmp_ngt_f32_e32 vcc_lo, 0xc2ce8ed0, v0
	v_cndmask_b32_e32 v10, 0, v10, vcc_lo
	v_cmp_le_f32_e32 vcc_lo, 0xc1a00000, v8
	v_cndmask_b32_e32 v8, 0, v9, vcc_lo
	v_cmp_nlt_f32_e32 vcc_lo, 0x42b17218, v0
	s_waitcnt vmcnt(1)
	v_mov_b32_e32 v9, v5
	v_cndmask_b32_e32 v5, 0x7f800000, v10, vcc_lo
	v_mul_f32_e32 v10, s11, v8
	v_cmp_le_f32_e32 vcc_lo, 0xc1a00000, v0
	v_mov_b32_e32 v0, v7
	v_mov_b32_e32 v6, v10
	v_cndmask_b32_e32 v12, 0, v5, vcc_lo
	v_fmac_f32_e32 v6, v11, v12
	s_waitcnt vmcnt(0)
	v_mul_f32_e32 v5, v4, v8
	v_fmac_f32_e32 v5, v9, v12
	s_cbranch_scc0 .LBB28_3
	s_branch .LBB28_5
.LBB28_4:
	s_waitcnt lgkmcnt(0)
	v_mov_b32_e32 v6, s13
.LBB28_5:
	s_waitcnt vmcnt(0)
	v_div_scale_f32 v0, null, v6, v6, v5
	v_rcp_f32_e32 v3, v0
	v_fma_f32 v4, -v0, v3, 1.0
	v_fmac_f32_e32 v3, v4, v3
	v_div_scale_f32 v4, vcc_lo, v5, v6, v5
	v_mul_f32_e32 v7, v4, v3
	v_fma_f32 v8, -v0, v7, v4
	v_fmac_f32_e32 v7, v8, v3
	v_fma_f32 v0, -v0, v7, v4
	v_div_fmas_f32 v0, v0, v3, v7
	v_div_fixup_f32 v0, v0, v6, v5
	global_store_dword v[1:2], v0, off
.LBB28_6:
	s_endpgm
	.section	.rodata,"a",@progbits
	.p2align	6, 0x0
	.amdhsa_kernel _ZL33flash_attn_stream_k_fixup_uniformILi72ELi2ELi4EEvPfPK15HIP_vector_typeIfLj2EEiiiiiiS1_IjLj3EES5_S5_
		.amdhsa_group_segment_fixed_size 0
		.amdhsa_private_segment_fixed_size 0
		.amdhsa_kernarg_size 76
		.amdhsa_user_sgpr_count 6
		.amdhsa_user_sgpr_private_segment_buffer 1
		.amdhsa_user_sgpr_dispatch_ptr 0
		.amdhsa_user_sgpr_queue_ptr 0
		.amdhsa_user_sgpr_kernarg_segment_ptr 1
		.amdhsa_user_sgpr_dispatch_id 0
		.amdhsa_user_sgpr_flat_scratch_init 0
		.amdhsa_user_sgpr_private_segment_size 0
		.amdhsa_wavefront_size32 1
		.amdhsa_uses_dynamic_stack 0
		.amdhsa_system_sgpr_private_segment_wavefront_offset 0
		.amdhsa_system_sgpr_workgroup_id_x 1
		.amdhsa_system_sgpr_workgroup_id_y 1
		.amdhsa_system_sgpr_workgroup_id_z 1
		.amdhsa_system_sgpr_workgroup_info 0
		.amdhsa_system_vgpr_workitem_id 0
		.amdhsa_next_free_vgpr 15
		.amdhsa_next_free_sgpr 24
		.amdhsa_reserve_vcc 1
		.amdhsa_reserve_flat_scratch 0
		.amdhsa_float_round_mode_32 0
		.amdhsa_float_round_mode_16_64 0
		.amdhsa_float_denorm_mode_32 3
		.amdhsa_float_denorm_mode_16_64 3
		.amdhsa_dx10_clamp 1
		.amdhsa_ieee_mode 1
		.amdhsa_fp16_overflow 0
		.amdhsa_workgroup_processor_mode 1
		.amdhsa_memory_ordered 1
		.amdhsa_forward_progress 1
		.amdhsa_shared_vgpr_count 0
		.amdhsa_exception_fp_ieee_invalid_op 0
		.amdhsa_exception_fp_denorm_src 0
		.amdhsa_exception_fp_ieee_div_zero 0
		.amdhsa_exception_fp_ieee_overflow 0
		.amdhsa_exception_fp_ieee_underflow 0
		.amdhsa_exception_fp_ieee_inexact 0
		.amdhsa_exception_int_div_zero 0
	.end_amdhsa_kernel
	.section	.text._ZL33flash_attn_stream_k_fixup_uniformILi72ELi2ELi4EEvPfPK15HIP_vector_typeIfLj2EEiiiiiiS1_IjLj3EES5_S5_,"axG",@progbits,_ZL33flash_attn_stream_k_fixup_uniformILi72ELi2ELi4EEvPfPK15HIP_vector_typeIfLj2EEiiiiiiS1_IjLj3EES5_S5_,comdat
.Lfunc_end28:
	.size	_ZL33flash_attn_stream_k_fixup_uniformILi72ELi2ELi4EEvPfPK15HIP_vector_typeIfLj2EEiiiiiiS1_IjLj3EES5_S5_, .Lfunc_end28-_ZL33flash_attn_stream_k_fixup_uniformILi72ELi2ELi4EEvPfPK15HIP_vector_typeIfLj2EEiiiiiiS1_IjLj3EES5_S5_
                                        ; -- End function
	.set _ZL33flash_attn_stream_k_fixup_uniformILi72ELi2ELi4EEvPfPK15HIP_vector_typeIfLj2EEiiiiiiS1_IjLj3EES5_S5_.num_vgpr, 15
	.set _ZL33flash_attn_stream_k_fixup_uniformILi72ELi2ELi4EEvPfPK15HIP_vector_typeIfLj2EEiiiiiiS1_IjLj3EES5_S5_.num_agpr, 0
	.set _ZL33flash_attn_stream_k_fixup_uniformILi72ELi2ELi4EEvPfPK15HIP_vector_typeIfLj2EEiiiiiiS1_IjLj3EES5_S5_.numbered_sgpr, 24
	.set _ZL33flash_attn_stream_k_fixup_uniformILi72ELi2ELi4EEvPfPK15HIP_vector_typeIfLj2EEiiiiiiS1_IjLj3EES5_S5_.num_named_barrier, 0
	.set _ZL33flash_attn_stream_k_fixup_uniformILi72ELi2ELi4EEvPfPK15HIP_vector_typeIfLj2EEiiiiiiS1_IjLj3EES5_S5_.private_seg_size, 0
	.set _ZL33flash_attn_stream_k_fixup_uniformILi72ELi2ELi4EEvPfPK15HIP_vector_typeIfLj2EEiiiiiiS1_IjLj3EES5_S5_.uses_vcc, 1
	.set _ZL33flash_attn_stream_k_fixup_uniformILi72ELi2ELi4EEvPfPK15HIP_vector_typeIfLj2EEiiiiiiS1_IjLj3EES5_S5_.uses_flat_scratch, 0
	.set _ZL33flash_attn_stream_k_fixup_uniformILi72ELi2ELi4EEvPfPK15HIP_vector_typeIfLj2EEiiiiiiS1_IjLj3EES5_S5_.has_dyn_sized_stack, 0
	.set _ZL33flash_attn_stream_k_fixup_uniformILi72ELi2ELi4EEvPfPK15HIP_vector_typeIfLj2EEiiiiiiS1_IjLj3EES5_S5_.has_recursion, 0
	.set _ZL33flash_attn_stream_k_fixup_uniformILi72ELi2ELi4EEvPfPK15HIP_vector_typeIfLj2EEiiiiiiS1_IjLj3EES5_S5_.has_indirect_call, 0
	.section	.AMDGPU.csdata,"",@progbits
; Kernel info:
; codeLenInByte = 848
; TotalNumSgprs: 26
; NumVgprs: 15
; ScratchSize: 0
; MemoryBound: 0
; FloatMode: 240
; IeeeMode: 1
; LDSByteSize: 0 bytes/workgroup (compile time only)
; SGPRBlocks: 0
; VGPRBlocks: 1
; NumSGPRsForWavesPerEU: 26
; NumVGPRsForWavesPerEU: 15
; Occupancy: 16
; WaveLimiterHint : 0
; COMPUTE_PGM_RSRC2:SCRATCH_EN: 0
; COMPUTE_PGM_RSRC2:USER_SGPR: 6
; COMPUTE_PGM_RSRC2:TRAP_HANDLER: 0
; COMPUTE_PGM_RSRC2:TGID_X_EN: 1
; COMPUTE_PGM_RSRC2:TGID_Y_EN: 1
; COMPUTE_PGM_RSRC2:TGID_Z_EN: 1
; COMPUTE_PGM_RSRC2:TIDIG_COMP_CNT: 0
	.section	.text._ZL33flash_attn_stream_k_fixup_generalILi72ELi2ELi4EEvPfPK15HIP_vector_typeIfLj2EEiiiiS1_IjLj3EES5_S5_S5_,"axG",@progbits,_ZL33flash_attn_stream_k_fixup_generalILi72ELi2ELi4EEvPfPK15HIP_vector_typeIfLj2EEiiiiS1_IjLj3EES5_S5_S5_,comdat
	.globl	_ZL33flash_attn_stream_k_fixup_generalILi72ELi2ELi4EEvPfPK15HIP_vector_typeIfLj2EEiiiiS1_IjLj3EES5_S5_S5_ ; -- Begin function _ZL33flash_attn_stream_k_fixup_generalILi72ELi2ELi4EEvPfPK15HIP_vector_typeIfLj2EEiiiiS1_IjLj3EES5_S5_S5_
	.p2align	8
	.type	_ZL33flash_attn_stream_k_fixup_generalILi72ELi2ELi4EEvPfPK15HIP_vector_typeIfLj2EEiiiiS1_IjLj3EES5_S5_S5_,@function
_ZL33flash_attn_stream_k_fixup_generalILi72ELi2ELi4EEvPfPK15HIP_vector_typeIfLj2EEiiiiS1_IjLj3EES5_S5_S5_: ; @_ZL33flash_attn_stream_k_fixup_generalILi72ELi2ELi4EEvPfPK15HIP_vector_typeIfLj2EEiiiiS1_IjLj3EES5_S5_S5_
; %bb.0:
	s_clause 0x1
	s_load_dwordx4 s[0:3], s[4:5], 0x10
	s_load_dword s9, s[4:5], 0x50
	s_mov_b32 s16, 0
	s_waitcnt lgkmcnt(0)
	s_mul_hi_i32 s17, s3, s6
	s_mul_i32 s18, s3, s6
	s_cmp_lg_u64 s[16:17], 0
	s_cbranch_scc0 .LBB29_21
; %bb.1:
	s_add_u32 s10, s9, 0
	s_addc_u32 s11, 0, 0
	s_xor_b64 s[10:11], s[10:11], 0
	v_cvt_f32_u32_e32 v1, s10
	v_cvt_f32_u32_e32 v2, s11
	s_sub_u32 s14, 0, s10
	s_subb_u32 s15, 0, s11
	v_fmamk_f32 v1, v2, 0x4f800000, v1
	v_rcp_f32_e32 v1, v1
	v_mul_f32_e32 v1, 0x5f7ffffc, v1
	v_mul_f32_e32 v2, 0x2f800000, v1
	v_trunc_f32_e32 v2, v2
	v_fmamk_f32 v1, v2, 0xcf800000, v1
	v_cvt_u32_f32_e32 v2, v2
	v_cvt_u32_f32_e32 v1, v1
	v_readfirstlane_b32 s12, v2
	v_readfirstlane_b32 s13, v1
	s_mul_i32 s19, s14, s12
	s_mul_hi_u32 s21, s14, s13
	s_mul_i32 s20, s15, s13
	s_add_i32 s19, s21, s19
	s_mul_i32 s22, s14, s13
	s_add_i32 s19, s19, s20
	s_mul_hi_u32 s21, s13, s22
	s_mul_i32 s24, s13, s19
	s_mul_hi_u32 s23, s12, s22
	s_mul_i32 s20, s12, s22
	s_mul_hi_u32 s22, s13, s19
	s_add_u32 s21, s21, s24
	s_addc_u32 s22, 0, s22
	s_mul_hi_u32 s25, s12, s19
	s_add_u32 s20, s21, s20
	s_mul_i32 s19, s12, s19
	s_addc_u32 s20, s22, s23
	s_addc_u32 s21, s25, 0
	s_add_u32 s19, s20, s19
	s_addc_u32 s20, 0, s21
	s_add_u32 s13, s13, s19
	s_cselect_b32 s19, -1, 0
	s_mul_hi_u32 s21, s14, s13
	s_cmp_lg_u32 s19, 0
	s_mul_i32 s19, s14, s13
	s_addc_u32 s12, s12, s20
	s_mul_i32 s15, s15, s13
	s_mul_i32 s14, s14, s12
	s_mul_hi_u32 s20, s13, s19
	s_add_i32 s14, s21, s14
	s_mul_hi_u32 s21, s12, s19
	s_add_i32 s14, s14, s15
	s_mul_i32 s15, s12, s19
	s_mul_i32 s23, s13, s14
	s_mul_hi_u32 s22, s13, s14
	s_add_u32 s20, s20, s23
	s_addc_u32 s22, 0, s22
	s_mul_hi_u32 s19, s12, s14
	s_add_u32 s15, s20, s15
	s_mul_i32 s14, s12, s14
	s_addc_u32 s15, s22, s21
	s_addc_u32 s19, s19, 0
	s_add_u32 s14, s15, s14
	s_addc_u32 s15, 0, s19
	s_add_u32 s19, s13, s14
	s_cselect_b32 s13, -1, 0
	s_cmp_lg_u32 s13, 0
	s_addc_u32 s20, s12, s15
	s_ashr_i32 s12, s17, 31
	s_add_u32 s14, s18, s12
	s_mov_b32 s13, s12
	s_addc_u32 s15, s17, s12
	s_xor_b64 s[14:15], s[14:15], s[12:13]
	s_mul_i32 s21, s14, s20
	s_mul_hi_u32 s22, s14, s19
	s_mul_hi_u32 s17, s14, s20
	;; [unrolled: 1-line block ×3, first 2 shown]
	s_mul_i32 s19, s15, s19
	s_add_u32 s21, s22, s21
	s_addc_u32 s17, 0, s17
	s_mul_hi_u32 s23, s15, s20
	s_add_u32 s19, s21, s19
	s_mul_i32 s20, s15, s20
	s_addc_u32 s17, s17, s24
	s_addc_u32 s19, s23, 0
	s_add_u32 s17, s17, s20
	s_addc_u32 s19, 0, s19
	s_mul_hi_u32 s20, s10, s17
	s_mul_i32 s21, s10, s19
	s_mul_i32 s22, s11, s17
	s_add_i32 s20, s20, s21
	s_mul_i32 s21, s10, s17
	s_add_i32 s20, s20, s22
	s_sub_i32 s22, s15, s20
	s_sub_u32 s14, s14, s21
	s_cselect_b32 s21, -1, 0
	s_cmp_lg_u32 s21, 0
	s_subb_u32 s22, s22, s11
	s_sub_u32 s23, s14, s10
	s_cselect_b32 s24, -1, 0
	s_cmp_lg_u32 s24, 0
	s_subb_u32 s22, s22, 0
	s_cmp_ge_u32 s22, s11
	s_cselect_b32 s24, -1, 0
	s_cmp_ge_u32 s23, s10
	s_cselect_b32 s23, -1, 0
	s_cmp_eq_u32 s22, s11
	s_cselect_b32 s22, s23, s24
	s_add_u32 s23, s17, 1
	s_addc_u32 s24, s19, 0
	s_add_u32 s25, s17, 2
	s_addc_u32 s26, s19, 0
	s_cmp_lg_u32 s22, 0
	s_cselect_b32 s22, s25, s23
	s_cselect_b32 s23, s26, s24
	s_cmp_lg_u32 s21, 0
	s_subb_u32 s15, s15, s20
	s_cmp_ge_u32 s15, s11
	s_cselect_b32 s20, -1, 0
	s_cmp_ge_u32 s14, s10
	s_cselect_b32 s10, -1, 0
	s_cmp_eq_u32 s15, s11
	s_cselect_b32 s10, s10, s20
	s_cmp_lg_u32 s10, 0
	s_cselect_b32 s11, s23, s19
	s_cselect_b32 s10, s22, s17
	s_xor_b64 s[12:13], s[12:13], 0
	s_xor_b64 s[10:11], s[10:11], s[12:13]
	s_sub_u32 s10, s10, s12
	s_load_dwordx4 s[12:15], s[4:5], 0x44
	s_andn2_b32 vcc_lo, exec_lo, s16
	s_cbranch_vccnz .LBB29_3
.LBB29_2:
	v_cvt_f32_u32_e32 v1, s9
	s_sub_i32 s11, 0, s9
	v_rcp_iflag_f32_e32 v1, v1
	v_mul_f32_e32 v1, 0x4f7ffffe, v1
	v_cvt_u32_f32_e32 v1, v1
	v_readfirstlane_b32 s10, v1
	s_mul_i32 s11, s11, s10
	s_mul_hi_u32 s11, s10, s11
	s_add_i32 s10, s10, s11
	s_mul_hi_u32 s10, s18, s10
	s_mul_i32 s11, s10, s9
	s_waitcnt lgkmcnt(0)
	s_add_i32 s15, s10, 1
	s_sub_i32 s11, s18, s11
	s_sub_i32 s16, s11, s9
	s_cmp_ge_u32 s11, s9
	s_cselect_b32 s10, s15, s10
	s_cselect_b32 s11, s16, s11
	s_add_i32 s15, s10, 1
	s_cmp_ge_u32 s11, s9
	s_cselect_b32 s10, s15, s10
.LBB29_3:
	s_add_i32 s11, s6, 1
	s_mov_b32 s16, 0
	s_mul_hi_i32 s17, s3, s11
	s_mul_i32 s11, s3, s11
	s_cmp_lg_u64 s[16:17], 0
	s_cbranch_scc0 .LBB29_22
; %bb.4:
	s_add_u32 s18, s9, 0
	s_addc_u32 s19, 0, 0
	s_xor_b64 s[18:19], s[18:19], 0
	v_cvt_f32_u32_e32 v1, s18
	v_cvt_f32_u32_e32 v2, s19
	s_sub_u32 s21, 0, s18
	s_subb_u32 s22, 0, s19
	v_fmamk_f32 v1, v2, 0x4f800000, v1
	v_rcp_f32_e32 v1, v1
	v_mul_f32_e32 v1, 0x5f7ffffc, v1
	v_mul_f32_e32 v2, 0x2f800000, v1
	v_trunc_f32_e32 v2, v2
	v_fmamk_f32 v1, v2, 0xcf800000, v1
	v_cvt_u32_f32_e32 v2, v2
	v_cvt_u32_f32_e32 v1, v1
	s_waitcnt lgkmcnt(0)
	v_readfirstlane_b32 s15, v2
	v_readfirstlane_b32 s20, v1
	s_mul_i32 s23, s21, s15
	s_mul_hi_u32 s25, s21, s20
	s_mul_i32 s24, s22, s20
	s_add_i32 s23, s25, s23
	s_mul_i32 s26, s21, s20
	s_add_i32 s23, s23, s24
	s_mul_hi_u32 s25, s20, s26
	s_mul_i32 s28, s20, s23
	s_mul_hi_u32 s27, s15, s26
	s_mul_i32 s24, s15, s26
	s_mul_hi_u32 s26, s20, s23
	s_add_u32 s25, s25, s28
	s_addc_u32 s26, 0, s26
	s_mul_hi_u32 s29, s15, s23
	s_add_u32 s24, s25, s24
	s_mul_i32 s23, s15, s23
	s_addc_u32 s24, s26, s27
	s_addc_u32 s25, s29, 0
	s_add_u32 s23, s24, s23
	s_addc_u32 s24, 0, s25
	s_add_u32 s20, s20, s23
	s_cselect_b32 s23, -1, 0
	s_mul_hi_u32 s25, s21, s20
	s_cmp_lg_u32 s23, 0
	s_mul_i32 s23, s21, s20
	s_addc_u32 s15, s15, s24
	s_mul_i32 s22, s22, s20
	s_mul_i32 s21, s21, s15
	s_mul_hi_u32 s24, s20, s23
	s_add_i32 s21, s25, s21
	s_mul_hi_u32 s25, s15, s23
	s_add_i32 s21, s21, s22
	s_mul_i32 s22, s15, s23
	s_mul_i32 s27, s20, s21
	s_mul_hi_u32 s26, s20, s21
	s_add_u32 s24, s24, s27
	s_addc_u32 s26, 0, s26
	s_mul_hi_u32 s23, s15, s21
	s_add_u32 s22, s24, s22
	s_mul_i32 s21, s15, s21
	s_addc_u32 s22, s26, s25
	s_addc_u32 s23, s23, 0
	s_add_u32 s21, s22, s21
	s_addc_u32 s22, 0, s23
	s_add_u32 s24, s20, s21
	s_cselect_b32 s20, -1, 0
	s_cmp_lg_u32 s20, 0
	s_addc_u32 s15, s15, s22
	s_ashr_i32 s20, s17, 31
	s_add_u32 s22, s11, s20
	s_mov_b32 s21, s20
	s_addc_u32 s23, s17, s20
	s_xor_b64 s[22:23], s[22:23], s[20:21]
	s_mul_i32 s25, s22, s15
	s_mul_hi_u32 s26, s22, s24
	s_mul_hi_u32 s17, s22, s15
	s_mul_hi_u32 s28, s23, s24
	s_mul_i32 s24, s23, s24
	s_add_u32 s25, s26, s25
	s_addc_u32 s17, 0, s17
	s_mul_hi_u32 s27, s23, s15
	s_add_u32 s24, s25, s24
	s_mul_i32 s15, s23, s15
	s_addc_u32 s17, s17, s28
	s_addc_u32 s24, s27, 0
	s_add_u32 s15, s17, s15
	s_addc_u32 s17, 0, s24
	s_mul_hi_u32 s24, s18, s15
	s_mul_i32 s25, s18, s17
	s_mul_i32 s26, s19, s15
	s_add_i32 s24, s24, s25
	s_mul_i32 s25, s18, s15
	s_add_i32 s24, s24, s26
	s_sub_i32 s26, s23, s24
	s_sub_u32 s22, s22, s25
	s_cselect_b32 s25, -1, 0
	s_cmp_lg_u32 s25, 0
	s_subb_u32 s26, s26, s19
	s_sub_u32 s27, s22, s18
	s_cselect_b32 s28, -1, 0
	s_cmp_lg_u32 s28, 0
	s_subb_u32 s26, s26, 0
	s_cmp_ge_u32 s26, s19
	s_cselect_b32 s28, -1, 0
	s_cmp_ge_u32 s27, s18
	s_cselect_b32 s27, -1, 0
	s_cmp_eq_u32 s26, s19
	s_cselect_b32 s26, s27, s28
	s_add_u32 s27, s15, 1
	s_addc_u32 s28, s17, 0
	s_add_u32 s29, s15, 2
	s_addc_u32 s30, s17, 0
	s_cmp_lg_u32 s26, 0
	s_cselect_b32 s26, s29, s27
	s_cselect_b32 s27, s30, s28
	s_cmp_lg_u32 s25, 0
	s_subb_u32 s23, s23, s24
	s_cmp_ge_u32 s23, s19
	s_cselect_b32 s24, -1, 0
	s_cmp_ge_u32 s22, s18
	s_cselect_b32 s18, -1, 0
	s_cmp_eq_u32 s23, s19
	s_cselect_b32 s18, s18, s24
	s_cmp_lg_u32 s18, 0
	s_cselect_b32 s19, s27, s17
	s_cselect_b32 s18, s26, s15
	s_xor_b64 s[20:21], s[20:21], 0
	s_xor_b64 s[18:19], s[18:19], s[20:21]
	s_sub_u32 s18, s18, s20
	s_andn2_b32 vcc_lo, exec_lo, s16
	s_cbranch_vccnz .LBB29_6
.LBB29_5:
	v_cvt_f32_u32_e32 v1, s9
	s_sub_i32 s16, 0, s9
	v_rcp_iflag_f32_e32 v1, v1
	v_mul_f32_e32 v1, 0x4f7ffffe, v1
	v_cvt_u32_f32_e32 v1, v1
	s_waitcnt lgkmcnt(0)
	v_readfirstlane_b32 s15, v1
	s_mul_i32 s16, s16, s15
	s_mul_hi_u32 s16, s15, s16
	s_add_i32 s15, s15, s16
	s_mul_hi_u32 s15, s11, s15
	s_mul_i32 s16, s15, s9
	s_sub_i32 s11, s11, s16
	s_add_i32 s16, s15, 1
	s_sub_i32 s17, s11, s9
	s_cmp_ge_u32 s11, s9
	s_cselect_b32 s15, s16, s15
	s_cselect_b32 s11, s17, s11
	s_add_i32 s16, s15, 1
	s_cmp_ge_u32 s11, s9
	s_cselect_b32 s18, s16, s15
.LBB29_6:
	s_cmp_eq_u32 s10, s18
	s_waitcnt lgkmcnt(0)
	s_mul_hi_u32 s11, s10, s12
	s_cselect_b32 s15, -1, 0
	s_add_i32 s11, s11, s10
	s_lshr_b32 s11, s11, s13
	s_mul_i32 s16, s11, s14
	s_cmp_eq_u32 s16, s10
	s_mul_hi_u32 s16, s18, s12
	s_cselect_b32 s17, -1, 0
	s_add_i32 s16, s16, s18
	s_lshr_b32 s16, s16, s13
	s_cmp_eq_u32 s11, s16
	s_mul_i32 s16, s16, s14
	s_cselect_b32 s19, -1, 0
	s_cmp_lg_u32 s16, s18
	s_cselect_b32 s16, -1, 0
	s_or_b32 s15, s15, s17
	s_and_b32 s16, s19, s16
	s_or_b32 s15, s15, s16
	s_and_b32 vcc_lo, exec_lo, s15
	s_cbranch_vccnz .LBB29_24
; %bb.7:
	s_clause 0x1
	s_load_dwordx8 s[20:27], s[4:5], 0x20
	s_load_dword s16, s[4:5], 0x40
	s_waitcnt lgkmcnt(0)
	s_mul_hi_u32 s15, s10, s20
	s_add_i32 s15, s15, s10
	s_lshr_b32 s15, s15, s21
	s_mul_i32 s17, s15, s22
	s_sub_i32 s17, s10, s17
	s_mul_hi_u32 s18, s17, s23
	s_add_i32 s18, s17, s18
	s_lshr_b32 s21, s18, s24
	s_mul_i32 s18, s21, s25
	s_sub_i32 s17, s17, s18
	s_mul_hi_u32 s18, s17, s26
	s_add_i32 s18, s17, s18
	s_lshr_b32 s18, s18, s27
	s_mul_i32 s16, s18, s16
	s_lshl_b32 s22, s18, 2
	s_sub_i32 s16, s17, s16
	s_mul_hi_u32 s17, s16, s12
	s_add_i32 s16, s16, s17
	s_lshr_b32 s20, s16, s13
	s_lshl_b32 s16, s20, 1
	s_add_i32 s16, s16, s7
	s_cmp_lt_i32 s16, s0
	s_cselect_b32 s16, -1, 0
	s_add_i32 s22, s22, s8
	s_cmp_lt_i32 s22, s2
	s_cselect_b32 s17, -1, 0
	s_and_b32 s16, s16, s17
	s_andn2_b32 vcc_lo, exec_lo, s16
	s_cbranch_vccnz .LBB29_24
; %bb.8:
	s_load_dwordx4 s[16:19], s[4:5], 0x0
	s_mov_b32 s4, 0
	s_lshl_b32 s24, s9, 5
	s_mov_b32 s25, s4
	s_lshl_b32 s5, s7, 2
	s_lshl_b64 s[24:25], s[24:25], 2
	s_mul_i32 s21, s21, s2
	s_mul_i32 s0, s15, s0
	s_add_i32 s2, s5, s8
	v_cvt_f32_u32_e32 v3, s9
	v_rcp_iflag_f32_e32 v3, v3
	s_waitcnt lgkmcnt(0)
	s_add_u32 s8, s18, s24
	s_addc_u32 s15, s19, s25
	s_add_i32 s0, s0, s7
	s_add_i32 s5, s22, s21
	s_mul_i32 s0, s0, s1
	s_mul_i32 s1, s1, s20
	s_add_i32 s0, s5, s0
	s_mulk_i32 s1, 0x90
	s_mulk_i32 s0, 0x48
	v_mul_f32_e32 v7, 0x4f7ffffe, v3
	v_add3_u32 v1, s1, s0, v0
	s_lshl_b32 s0, s6, 3
	s_add_i32 s0, s2, s0
	v_ashrrev_i32_e32 v2, 31, v1
	s_ashr_i32 s1, s0, 31
	s_lshl_b64 s[0:1], s[0:1], 3
	v_lshlrev_b64 v[1:2], 2, v[1:2]
	s_add_u32 s0, s18, s0
	s_addc_u32 s1, s19, s1
	s_load_dwordx2 s[0:1], s[0:1], 0x0
	v_add_co_u32 v1, vcc_lo, s16, v1
	v_add_co_ci_u32_e64 v2, null, s17, v2, vcc_lo
	s_add_i32 s17, s6, -1
	v_mad_u64_u32 v[3:4], null, 0x48, s2, v[0:1]
	global_load_dword v5, v[1:2], off
	v_cvt_u32_f32_e32 v0, v7
	s_sub_i32 s16, 0, s9
	s_waitcnt lgkmcnt(0)
	v_mov_b32_e32 v4, s1
	v_mov_b32_e32 v6, s0
.LBB29_9:                               ; =>This Inner Loop Header: Depth=1
	s_mul_hi_i32 s5, s17, s3
	s_mul_i32 s6, s17, s3
	s_cmp_lg_u64 s[4:5], 0
	s_mov_b32 s7, -1
                                        ; implicit-def: $sgpr0_sgpr1
	s_cbranch_scc0 .LBB29_11
; %bb.10:                               ;   in Loop: Header=BB29_9 Depth=1
	s_add_u32 s0, s9, 0
	s_addc_u32 s1, 0, 0
	s_xor_b64 s[0:1], s[0:1], 0
	v_cvt_f32_u32_e32 v7, s0
	v_cvt_f32_u32_e32 v8, s1
	s_sub_u32 s21, 0, s0
	s_subb_u32 s22, 0, s1
	v_fmac_f32_e32 v7, 0x4f800000, v8
	v_rcp_f32_e32 v7, v7
	v_mul_f32_e32 v7, 0x5f7ffffc, v7
	v_mul_f32_e32 v8, 0x2f800000, v7
	v_trunc_f32_e32 v8, v8
	v_fmac_f32_e32 v7, 0xcf800000, v8
	v_cvt_u32_f32_e32 v8, v8
	v_cvt_u32_f32_e32 v7, v7
	v_readfirstlane_b32 s7, v8
	v_readfirstlane_b32 s20, v7
	s_mul_i32 s23, s21, s7
	s_mul_hi_u32 s25, s21, s20
	s_mul_i32 s24, s22, s20
	s_add_i32 s23, s25, s23
	s_mul_i32 s26, s21, s20
	s_add_i32 s23, s23, s24
	s_mul_hi_u32 s25, s20, s26
	s_mul_i32 s28, s20, s23
	s_mul_hi_u32 s27, s7, s26
	s_mul_i32 s24, s7, s26
	s_mul_hi_u32 s26, s20, s23
	s_add_u32 s25, s25, s28
	s_addc_u32 s26, 0, s26
	s_mul_hi_u32 s29, s7, s23
	s_add_u32 s24, s25, s24
	s_mul_i32 s23, s7, s23
	s_addc_u32 s24, s26, s27
	s_addc_u32 s25, s29, 0
	s_add_u32 s23, s24, s23
	s_addc_u32 s24, 0, s25
	s_add_u32 s20, s20, s23
	s_cselect_b32 s23, -1, 0
	s_mul_hi_u32 s25, s21, s20
	s_cmp_lg_u32 s23, 0
	s_mul_i32 s23, s21, s20
	s_addc_u32 s7, s7, s24
	s_mul_i32 s22, s22, s20
	s_mul_i32 s21, s21, s7
	s_mul_hi_u32 s24, s20, s23
	s_add_i32 s21, s25, s21
	s_mul_hi_u32 s25, s7, s23
	s_add_i32 s21, s21, s22
	s_mul_i32 s22, s7, s23
	s_mul_i32 s27, s20, s21
	s_mul_hi_u32 s26, s20, s21
	s_add_u32 s24, s24, s27
	s_addc_u32 s26, 0, s26
	s_mul_hi_u32 s23, s7, s21
	s_add_u32 s22, s24, s22
	s_mul_i32 s21, s7, s21
	s_addc_u32 s22, s26, s25
	s_addc_u32 s23, s23, 0
	s_add_u32 s21, s22, s21
	s_addc_u32 s22, 0, s23
	s_add_u32 s24, s20, s21
	s_cselect_b32 s20, -1, 0
	s_cmp_lg_u32 s20, 0
	s_addc_u32 s7, s7, s22
	s_ashr_i32 s20, s5, 31
	s_add_u32 s22, s6, s20
	s_mov_b32 s21, s20
	s_addc_u32 s23, s5, s20
	s_xor_b64 s[22:23], s[22:23], s[20:21]
	s_mul_i32 s25, s22, s7
	s_mul_hi_u32 s26, s22, s24
	s_mul_hi_u32 s5, s22, s7
	;; [unrolled: 1-line block ×3, first 2 shown]
	s_mul_i32 s24, s23, s24
	s_add_u32 s25, s26, s25
	s_addc_u32 s5, 0, s5
	s_mul_hi_u32 s27, s23, s7
	s_add_u32 s24, s25, s24
	s_mul_i32 s7, s23, s7
	s_addc_u32 s5, s5, s28
	s_addc_u32 s24, s27, 0
	s_add_u32 s5, s5, s7
	s_addc_u32 s7, 0, s24
	s_mul_hi_u32 s24, s0, s5
	s_mul_i32 s25, s0, s7
	s_mul_i32 s26, s1, s5
	s_add_i32 s24, s24, s25
	s_mul_i32 s25, s0, s5
	s_add_i32 s24, s24, s26
	s_sub_i32 s26, s23, s24
	s_sub_u32 s22, s22, s25
	s_cselect_b32 s25, -1, 0
	s_cmp_lg_u32 s25, 0
	s_subb_u32 s26, s26, s1
	s_sub_u32 s27, s22, s0
	s_cselect_b32 s28, -1, 0
	s_cmp_lg_u32 s28, 0
	s_subb_u32 s26, s26, 0
	s_cmp_ge_u32 s26, s1
	s_cselect_b32 s28, -1, 0
	s_cmp_ge_u32 s27, s0
	s_cselect_b32 s27, -1, 0
	s_cmp_eq_u32 s26, s1
	s_cselect_b32 s26, s27, s28
	s_add_u32 s27, s5, 1
	s_addc_u32 s28, s7, 0
	s_add_u32 s29, s5, 2
	s_addc_u32 s30, s7, 0
	s_cmp_lg_u32 s26, 0
	s_cselect_b32 s26, s29, s27
	s_cselect_b32 s27, s30, s28
	s_cmp_lg_u32 s25, 0
	s_subb_u32 s23, s23, s24
	s_cmp_ge_u32 s23, s1
	s_cselect_b32 s24, -1, 0
	s_cmp_ge_u32 s22, s0
	s_cselect_b32 s0, -1, 0
	s_cmp_eq_u32 s23, s1
	s_cselect_b32 s0, s0, s24
	s_cmp_lg_u32 s0, 0
	s_cselect_b32 s1, s27, s7
	s_cselect_b32 s0, s26, s5
	s_xor_b64 s[20:21], s[20:21], 0
	s_mov_b32 s7, 0
	s_xor_b64 s[0:1], s[0:1], s[20:21]
	s_sub_u32 s0, s0, s20
.LBB29_11:                              ;   in Loop: Header=BB29_9 Depth=1
	s_andn2_b32 vcc_lo, exec_lo, s7
	s_cbranch_vccnz .LBB29_13
; %bb.12:                               ;   in Loop: Header=BB29_9 Depth=1
	v_readfirstlane_b32 s0, v0
	s_mul_i32 s1, s16, s0
	s_mul_hi_u32 s1, s0, s1
	s_add_i32 s0, s0, s1
	s_mul_hi_u32 s0, s6, s0
	s_mul_i32 s1, s0, s9
	s_add_i32 s5, s0, 1
	s_sub_i32 s1, s6, s1
	s_sub_i32 s6, s1, s9
	s_cmp_ge_u32 s1, s9
	s_cselect_b32 s0, s5, s0
	s_cselect_b32 s1, s6, s1
	s_add_i32 s5, s0, 1
	s_cmp_ge_u32 s1, s9
	s_cselect_b32 s0, s5, s0
.LBB29_13:                              ;   in Loop: Header=BB29_9 Depth=1
	s_cmp_lg_u32 s10, s0
	s_mov_b32 s6, -1
                                        ; implicit-def: $sgpr5
                                        ; implicit-def: $vgpr8
                                        ; implicit-def: $vgpr7
                                        ; implicit-def: $vgpr9
                                        ; implicit-def: $sgpr1
                                        ; implicit-def: $sgpr20
	s_cbranch_scc0 .LBB29_18
; %bb.14:                               ;   in Loop: Header=BB29_9 Depth=1
	s_add_i32 s1, s17, s9
	s_mov_b32 s7, s4
	s_lshl_b32 s1, s1, 3
	s_mov_b32 s20, s10
	s_add_i32 s6, s1, s2
	s_mul_hi_u32 s1, s0, s12
	s_lshl_b64 s[6:7], s[6:7], 3
	s_add_u32 s6, s18, s6
	s_addc_u32 s7, s19, s7
	s_add_i32 s1, s1, s0
	s_lshr_b32 s1, s1, s13
	s_mul_i32 s5, s1, s14
	s_cmp_eq_u32 s5, s0
	s_cselect_b32 s5, -1, 0
	s_cmp_lt_u32 s1, s11
	s_cselect_b32 s1, -1, 0
	s_or_b32 s1, s1, s5
	s_mov_b32 s5, -1
	s_and_b32 vcc_lo, exec_lo, s1
	s_mov_b32 s1, s17
	s_cbranch_vccnz .LBB29_16
; %bb.15:                               ;   in Loop: Header=BB29_9 Depth=1
	s_add_i32 s1, s17, -1
	s_mov_b32 s5, 0
	s_mov_b32 s20, s0
.LBB29_16:                              ;   in Loop: Header=BB29_9 Depth=1
	v_mad_u64_u32 v[7:8], null, 0x240, s17, v[3:4]
	s_load_dwordx2 s[6:7], s[6:7], 0x0
	v_ashrrev_i32_e32 v8, 31, v7
	v_lshlrev_b64 v[7:8], 2, v[7:8]
	v_add_co_u32 v7, vcc_lo, s8, v7
	v_add_co_ci_u32_e64 v8, null, s15, v8, vcc_lo
	s_waitcnt lgkmcnt(0)
	v_max_f32_e64 v9, s6, s6
	global_load_dword v8, v[7:8], off
	v_max_f32_e32 v7, v6, v6
	v_max_f32_e32 v7, v7, v9
	v_sub_f32_e32 v9, s6, v7
	v_sub_f32_e32 v10, v6, v7
	v_mul_f32_e32 v11, 0x3fb8aa3b, v9
	v_mul_f32_e32 v12, 0x3fb8aa3b, v10
	v_cmp_ngt_f32_e32 vcc_lo, 0xc2ce8ed0, v9
	v_fma_f32 v13, 0x3fb8aa3b, v9, -v11
	v_rndne_f32_e32 v14, v11
	v_fma_f32 v15, 0x3fb8aa3b, v10, -v12
	v_rndne_f32_e32 v16, v12
	v_fmac_f32_e32 v13, 0x32a5705f, v9
	v_sub_f32_e32 v11, v11, v14
	v_fmac_f32_e32 v15, 0x32a5705f, v10
	v_sub_f32_e32 v12, v12, v16
	v_add_f32_e32 v11, v11, v13
	v_cvt_i32_f32_e32 v13, v14
	v_add_f32_e32 v12, v12, v15
	v_cvt_i32_f32_e32 v14, v16
	v_exp_f32_e32 v11, v11
	v_exp_f32_e32 v12, v12
	v_ldexp_f32 v11, v11, v13
	v_ldexp_f32 v12, v12, v14
	v_cndmask_b32_e32 v11, 0, v11, vcc_lo
	v_cmp_ngt_f32_e32 vcc_lo, 0xc2ce8ed0, v10
	v_cndmask_b32_e32 v12, 0, v12, vcc_lo
	v_cmp_nlt_f32_e32 vcc_lo, 0x42b17218, v9
	v_cndmask_b32_e32 v11, 0x7f800000, v11, vcc_lo
	v_cmp_nlt_f32_e32 vcc_lo, 0x42b17218, v10
	v_cndmask_b32_e32 v12, 0x7f800000, v12, vcc_lo
	v_cmp_le_f32_e32 vcc_lo, 0xc1a00000, v9
	v_cndmask_b32_e32 v9, 0, v11, vcc_lo
	v_cmp_le_f32_e32 vcc_lo, 0xc1a00000, v10
	v_cndmask_b32_e32 v10, 0, v12, vcc_lo
	s_waitcnt vmcnt(0)
	v_mul_f32_e32 v8, v8, v9
	v_mul_f32_e32 v9, s7, v9
	v_fmac_f32_e32 v8, v5, v10
	v_fmac_f32_e32 v9, v4, v10
	s_cbranch_execz .LBB29_19
.LBB29_17:                              ;   in Loop: Header=BB29_9 Depth=1
	s_andn2_b32 vcc_lo, exec_lo, s5
	s_cbranch_vccnz .LBB29_20
	s_branch .LBB29_23
.LBB29_18:                              ;   in Loop: Header=BB29_9 Depth=1
	s_andn2_b32 vcc_lo, exec_lo, s6
	s_cbranch_vccnz .LBB29_17
.LBB29_19:                              ;   in Loop: Header=BB29_9 Depth=1
	v_mov_b32_e32 v9, v4
	v_mov_b32_e32 v7, v6
	s_waitcnt vmcnt(0)
	v_mov_b32_e32 v8, v5
	s_add_i32 s1, s17, -1
	s_mov_b32 s20, s10
	s_cbranch_execz .LBB29_23
.LBB29_20:                              ;   in Loop: Header=BB29_9 Depth=1
	v_mov_b32_e32 v4, v9
	v_mov_b32_e32 v6, v7
	s_waitcnt vmcnt(0)
	v_mov_b32_e32 v5, v8
	s_mov_b32 s10, s20
	s_mov_b32 s17, s1
	s_branch .LBB29_9
.LBB29_21:
                                        ; implicit-def: $sgpr10_sgpr11
	s_load_dwordx4 s[12:15], s[4:5], 0x44
	s_branch .LBB29_2
.LBB29_22:
                                        ; implicit-def: $sgpr18_sgpr19
	s_branch .LBB29_5
.LBB29_23:
	v_div_scale_f32 v0, null, v9, v9, v8
	v_rcp_f32_e32 v3, v0
	v_fma_f32 v4, -v0, v3, 1.0
	v_fmac_f32_e32 v3, v4, v3
	v_div_scale_f32 v4, vcc_lo, v8, v9, v8
	s_waitcnt vmcnt(0)
	v_mul_f32_e32 v5, v4, v3
	v_fma_f32 v6, -v0, v5, v4
	v_fmac_f32_e32 v5, v6, v3
	v_fma_f32 v0, -v0, v5, v4
	v_div_fmas_f32 v0, v0, v3, v5
	v_div_fixup_f32 v0, v0, v9, v8
	global_store_dword v[1:2], v0, off
.LBB29_24:
	s_endpgm
	.section	.rodata,"a",@progbits
	.p2align	6, 0x0
	.amdhsa_kernel _ZL33flash_attn_stream_k_fixup_generalILi72ELi2ELi4EEvPfPK15HIP_vector_typeIfLj2EEiiiiS1_IjLj3EES5_S5_S5_
		.amdhsa_group_segment_fixed_size 0
		.amdhsa_private_segment_fixed_size 0
		.amdhsa_kernarg_size 336
		.amdhsa_user_sgpr_count 6
		.amdhsa_user_sgpr_private_segment_buffer 1
		.amdhsa_user_sgpr_dispatch_ptr 0
		.amdhsa_user_sgpr_queue_ptr 0
		.amdhsa_user_sgpr_kernarg_segment_ptr 1
		.amdhsa_user_sgpr_dispatch_id 0
		.amdhsa_user_sgpr_flat_scratch_init 0
		.amdhsa_user_sgpr_private_segment_size 0
		.amdhsa_wavefront_size32 1
		.amdhsa_uses_dynamic_stack 0
		.amdhsa_system_sgpr_private_segment_wavefront_offset 0
		.amdhsa_system_sgpr_workgroup_id_x 1
		.amdhsa_system_sgpr_workgroup_id_y 1
		.amdhsa_system_sgpr_workgroup_id_z 1
		.amdhsa_system_sgpr_workgroup_info 0
		.amdhsa_system_vgpr_workitem_id 0
		.amdhsa_next_free_vgpr 17
		.amdhsa_next_free_sgpr 31
		.amdhsa_reserve_vcc 1
		.amdhsa_reserve_flat_scratch 0
		.amdhsa_float_round_mode_32 0
		.amdhsa_float_round_mode_16_64 0
		.amdhsa_float_denorm_mode_32 3
		.amdhsa_float_denorm_mode_16_64 3
		.amdhsa_dx10_clamp 1
		.amdhsa_ieee_mode 1
		.amdhsa_fp16_overflow 0
		.amdhsa_workgroup_processor_mode 1
		.amdhsa_memory_ordered 1
		.amdhsa_forward_progress 1
		.amdhsa_shared_vgpr_count 0
		.amdhsa_exception_fp_ieee_invalid_op 0
		.amdhsa_exception_fp_denorm_src 0
		.amdhsa_exception_fp_ieee_div_zero 0
		.amdhsa_exception_fp_ieee_overflow 0
		.amdhsa_exception_fp_ieee_underflow 0
		.amdhsa_exception_fp_ieee_inexact 0
		.amdhsa_exception_int_div_zero 0
	.end_amdhsa_kernel
	.section	.text._ZL33flash_attn_stream_k_fixup_generalILi72ELi2ELi4EEvPfPK15HIP_vector_typeIfLj2EEiiiiS1_IjLj3EES5_S5_S5_,"axG",@progbits,_ZL33flash_attn_stream_k_fixup_generalILi72ELi2ELi4EEvPfPK15HIP_vector_typeIfLj2EEiiiiS1_IjLj3EES5_S5_S5_,comdat
.Lfunc_end29:
	.size	_ZL33flash_attn_stream_k_fixup_generalILi72ELi2ELi4EEvPfPK15HIP_vector_typeIfLj2EEiiiiS1_IjLj3EES5_S5_S5_, .Lfunc_end29-_ZL33flash_attn_stream_k_fixup_generalILi72ELi2ELi4EEvPfPK15HIP_vector_typeIfLj2EEiiiiS1_IjLj3EES5_S5_S5_
                                        ; -- End function
	.set _ZL33flash_attn_stream_k_fixup_generalILi72ELi2ELi4EEvPfPK15HIP_vector_typeIfLj2EEiiiiS1_IjLj3EES5_S5_S5_.num_vgpr, 17
	.set _ZL33flash_attn_stream_k_fixup_generalILi72ELi2ELi4EEvPfPK15HIP_vector_typeIfLj2EEiiiiS1_IjLj3EES5_S5_S5_.num_agpr, 0
	.set _ZL33flash_attn_stream_k_fixup_generalILi72ELi2ELi4EEvPfPK15HIP_vector_typeIfLj2EEiiiiS1_IjLj3EES5_S5_S5_.numbered_sgpr, 31
	.set _ZL33flash_attn_stream_k_fixup_generalILi72ELi2ELi4EEvPfPK15HIP_vector_typeIfLj2EEiiiiS1_IjLj3EES5_S5_S5_.num_named_barrier, 0
	.set _ZL33flash_attn_stream_k_fixup_generalILi72ELi2ELi4EEvPfPK15HIP_vector_typeIfLj2EEiiiiS1_IjLj3EES5_S5_S5_.private_seg_size, 0
	.set _ZL33flash_attn_stream_k_fixup_generalILi72ELi2ELi4EEvPfPK15HIP_vector_typeIfLj2EEiiiiS1_IjLj3EES5_S5_S5_.uses_vcc, 1
	.set _ZL33flash_attn_stream_k_fixup_generalILi72ELi2ELi4EEvPfPK15HIP_vector_typeIfLj2EEiiiiS1_IjLj3EES5_S5_S5_.uses_flat_scratch, 0
	.set _ZL33flash_attn_stream_k_fixup_generalILi72ELi2ELi4EEvPfPK15HIP_vector_typeIfLj2EEiiiiS1_IjLj3EES5_S5_S5_.has_dyn_sized_stack, 0
	.set _ZL33flash_attn_stream_k_fixup_generalILi72ELi2ELi4EEvPfPK15HIP_vector_typeIfLj2EEiiiiS1_IjLj3EES5_S5_S5_.has_recursion, 0
	.set _ZL33flash_attn_stream_k_fixup_generalILi72ELi2ELi4EEvPfPK15HIP_vector_typeIfLj2EEiiiiS1_IjLj3EES5_S5_S5_.has_indirect_call, 0
	.section	.AMDGPU.csdata,"",@progbits
; Kernel info:
; codeLenInByte = 2948
; TotalNumSgprs: 33
; NumVgprs: 17
; ScratchSize: 0
; MemoryBound: 0
; FloatMode: 240
; IeeeMode: 1
; LDSByteSize: 0 bytes/workgroup (compile time only)
; SGPRBlocks: 0
; VGPRBlocks: 2
; NumSGPRsForWavesPerEU: 33
; NumVGPRsForWavesPerEU: 17
; Occupancy: 16
; WaveLimiterHint : 0
; COMPUTE_PGM_RSRC2:SCRATCH_EN: 0
; COMPUTE_PGM_RSRC2:USER_SGPR: 6
; COMPUTE_PGM_RSRC2:TRAP_HANDLER: 0
; COMPUTE_PGM_RSRC2:TGID_X_EN: 1
; COMPUTE_PGM_RSRC2:TGID_Y_EN: 1
; COMPUTE_PGM_RSRC2:TGID_Z_EN: 1
; COMPUTE_PGM_RSRC2:TIDIG_COMP_CNT: 0
	.section	.text._ZL15flash_attn_tileILi72ELi72ELi1ELi4ELb0EEvPKcS1_S1_S1_S1_PKiPfP15HIP_vector_typeIfLj2EEffffjfiS5_IjLj3EEiiiiiiiiiiiliiliiiiil,"axG",@progbits,_ZL15flash_attn_tileILi72ELi72ELi1ELi4ELb0EEvPKcS1_S1_S1_S1_PKiPfP15HIP_vector_typeIfLj2EEffffjfiS5_IjLj3EEiiiiiiiiiiiliiliiiiil,comdat
	.globl	_ZL15flash_attn_tileILi72ELi72ELi1ELi4ELb0EEvPKcS1_S1_S1_S1_PKiPfP15HIP_vector_typeIfLj2EEffffjfiS5_IjLj3EEiiiiiiiiiiiliiliiiiil ; -- Begin function _ZL15flash_attn_tileILi72ELi72ELi1ELi4ELb0EEvPKcS1_S1_S1_S1_PKiPfP15HIP_vector_typeIfLj2EEffffjfiS5_IjLj3EEiiiiiiiiiiiliiliiiiil
	.p2align	8
	.type	_ZL15flash_attn_tileILi72ELi72ELi1ELi4ELb0EEvPKcS1_S1_S1_S1_PKiPfP15HIP_vector_typeIfLj2EEffffjfiS5_IjLj3EEiiiiiiiiiiiliiliiiiil,@function
_ZL15flash_attn_tileILi72ELi72ELi1ELi4ELb0EEvPKcS1_S1_S1_S1_PKiPfP15HIP_vector_typeIfLj2EEffffjfiS5_IjLj3EEiiiiiiiiiiiliiliiiiil: ; @_ZL15flash_attn_tileILi72ELi72ELi1ELi4ELb0EEvPKcS1_S1_S1_S1_PKiPfP15HIP_vector_typeIfLj2EEffffjfiS5_IjLj3EEiiiiiiiiiiiliiliiiiil
; %bb.0:
	s_clause 0x1
	s_load_dwordx4 s[24:27], s[4:5], 0x5c
	s_load_dwordx2 s[34:35], s[4:5], 0x80
	s_mov_b32 s2, s7
	s_mov_b64 s[36:37], 0
	s_waitcnt lgkmcnt(0)
	s_ashr_i32 s0, s27, 31
	s_lshr_b32 s0, s0, 30
	s_add_i32 s0, s27, s0
	s_ashr_i32 s0, s0, 2
	v_cvt_f32_u32_e32 v2, s0
	s_sub_i32 s3, 0, s0
	v_rcp_iflag_f32_e32 v2, v2
	v_mul_f32_e32 v2, 0x4f7ffffe, v2
	v_cvt_u32_f32_e32 v2, v2
	v_readfirstlane_b32 s1, v2
	s_mul_i32 s3, s3, s1
	s_mul_hi_u32 s3, s1, s3
	s_add_i32 s1, s1, s3
	s_mul_hi_u32 s1, s8, s1
	s_mul_i32 s3, s1, s0
	s_add_i32 s7, s1, 1
	s_sub_i32 s3, s8, s3
	s_sub_i32 s9, s3, s0
	s_cmp_ge_u32 s3, s0
	s_cselect_b32 s1, s7, s1
	s_cselect_b32 s3, s9, s3
	s_add_i32 s7, s1, 1
	s_cmp_ge_u32 s3, s0
	s_cselect_b32 s3, s7, s1
	s_abs_i32 s0, s35
	s_abs_i32 s9, s27
	v_cvt_f32_u32_e32 v2, s0
	s_sub_i32 s7, 0, s0
	s_mul_i32 s28, s3, s27
	v_rcp_iflag_f32_e32 v2, v2
	v_mul_f32_e32 v2, 0x4f7ffffe, v2
	v_cvt_u32_f32_e32 v2, v2
	v_readfirstlane_b32 s1, v2
	s_mul_i32 s7, s7, s1
	s_mul_hi_u32 s7, s1, s7
	s_add_i32 s1, s1, s7
	s_lshl_b32 s7, s8, 2
	s_mul_hi_u32 s1, s9, s1
	s_xor_b32 s8, s27, s35
	s_mul_i32 s10, s1, s0
	s_ashr_i32 s8, s8, 31
	s_sub_i32 s9, s9, s10
	s_add_i32 s10, s1, 1
	s_sub_i32 s11, s9, s0
	s_cmp_ge_u32 s9, s0
	s_cselect_b32 s1, s10, s1
	s_cselect_b32 s9, s11, s9
	s_add_i32 s10, s1, 1
	s_cmp_ge_u32 s9, s0
	s_cselect_b32 s0, s10, s1
	s_xor_b32 s0, s0, s8
	s_sub_i32 s35, s0, s8
	s_clause 0x1
	s_load_dwordx16 s[8:23], s[4:5], 0x0
	s_load_dwordx2 s[0:1], s[4:5], 0xb8
	s_abs_i32 s33, s35
	v_cvt_f32_u32_e32 v2, s33
	v_rcp_iflag_f32_e32 v2, v2
	v_mul_f32_e32 v2, 0x4f7ffffe, v2
	s_waitcnt lgkmcnt(0)
	s_cmp_eq_u64 s[14:15], 0
	v_cvt_u32_f32_e32 v2, v2
	v_readfirstlane_b32 s38, v2
	s_cbranch_scc1 .LBB30_2
; %bb.1:
	s_abs_i32 s0, s0
	s_abs_i32 s36, s3
	v_cvt_f32_u32_e32 v2, s0
	s_sub_i32 s30, 0, s0
	v_rcp_iflag_f32_e32 v2, v2
	v_mul_f32_e32 v2, 0x4f7ffffe, v2
	v_cvt_u32_f32_e32 v2, v2
	v_readfirstlane_b32 s29, v2
	s_mul_i32 s30, s30, s29
	s_mul_hi_u32 s30, s29, s30
	s_add_i32 s29, s29, s30
	s_load_dwordx2 s[30:31], s[4:5], 0xc8
	s_mul_hi_u32 s29, s36, s29
	s_mul_i32 s29, s29, s0
	s_sub_i32 s29, s36, s29
	s_ashr_i32 s36, s3, 31
	s_sub_i32 s37, s29, s0
	s_cmp_ge_u32 s29, s0
	s_cselect_b32 s29, s37, s29
	s_sub_i32 s37, s29, s0
	s_cmp_ge_u32 s29, s0
	s_cselect_b32 s0, s37, s29
	s_xor_b32 s0, s0, s36
	s_sub_i32 s0, s0, s36
	s_ashr_i32 s29, s0, 31
	s_waitcnt lgkmcnt(0)
	s_mul_hi_u32 s36, s30, s0
	s_mul_i32 s29, s30, s29
	s_mul_i32 s31, s31, s0
	s_add_i32 s29, s36, s29
	s_mul_i32 s0, s30, s0
	s_add_i32 s29, s29, s31
	s_add_u32 s36, s14, s0
	s_addc_u32 s37, s15, s29
.LBB30_2:
	s_movk_i32 s14, 0x90
	v_cmp_gt_u32_e64 s0, 18, v0
	v_mad_u32_u24 v17, v1, s14, 0x14e0
	v_lshlrev_b32_e32 v18, 3, v0
	v_and_b32_e32 v15, 3, v1
	v_lshrrev_b32_e32 v16, 2, v1
	s_sub_i32 s7, s7, s28
	s_and_saveexec_b32 s14, s0
	s_cbranch_execz .LBB30_4
; %bb.3:
	v_add_nc_u32_e32 v2, s6, v16
	s_load_dwordx4 s[28:31], s[4:5], 0x70
	v_mul_hi_u32 v3, s24, v2
	v_add_nc_u32_e32 v3, v2, v3
	v_lshrrev_b32_e32 v3, s25, v3
	s_waitcnt lgkmcnt(0)
	s_mul_i32 s15, s3, s30
	s_mul_i32 s31, s7, s29
	v_mul_lo_u32 v3, v3, s26
	s_ashr_i32 s39, s15, 31
	s_add_u32 s8, s8, s15
	s_addc_u32 s9, s9, s39
	s_ashr_i32 s15, s31, 31
	s_add_u32 s39, s8, s31
	s_mov_b32 s30, s29
	s_addc_u32 s15, s9, s15
	s_ashr_i32 s31, s29, 31
	v_sub_nc_u32_e32 v8, v2, v3
	s_ashr_i32 s29, s28, 31
	s_lshr_b64 s[8:9], s[30:31], 2
	v_mad_u64_u32 v[2:3], null, s8, v15, 0
	s_lshr_b64 s[8:9], s[28:29], 2
	v_mad_u64_u32 v[4:5], null, s8, v8, 0
	s_lshr_b32 s8, s31, 2
	v_mad_u64_u32 v[6:7], null, s8, v15, v[3:4]
	s_lshr_b32 s8, s29, 2
	v_mad_u64_u32 v[7:8], null, s8, v8, v[5:6]
	v_mov_b32_e32 v3, v6
	v_lshlrev_b32_e32 v6, 4, v0
	s_load_dword s8, s[4:5], 0x40
	v_lshlrev_b64 v[2:3], 2, v[2:3]
	v_mov_b32_e32 v5, v7
	v_lshlrev_b64 v[4:5], 2, v[4:5]
	v_add_co_u32 v2, vcc_lo, s39, v2
	v_add_co_ci_u32_e64 v3, null, s15, v3, vcc_lo
	v_add_co_u32 v2, vcc_lo, v2, v4
	v_add_co_ci_u32_e64 v3, null, v3, v5, vcc_lo
	v_add_co_u32 v2, vcc_lo, v2, v6
	v_add_co_ci_u32_e64 v3, null, 0, v3, vcc_lo
	v_add_nc_u32_e32 v6, v17, v18
	global_load_dwordx4 v[2:5], v[2:3], off
	s_waitcnt vmcnt(0) lgkmcnt(0)
	v_fma_mixlo_f16 v3, s8, v3, 0
	v_fma_mixlo_f16 v2, s8, v2, 0
	;; [unrolled: 1-line block ×4, first 2 shown]
	v_lshlrev_b32_e32 v3, 16, v3
	v_and_b32_e32 v2, 0xffff, v2
	v_and_b32_e32 v4, 0xffff, v4
	v_lshlrev_b32_e32 v5, 16, v5
	v_or_b32_e32 v2, v3, v2
	v_or3_b32 v3, v5, v4, 0
	v_or3_b32 v2, 0, 0, v2
	ds_write_b64 v6, v[2:3]
.LBB30_4:
	s_or_b32 exec_lo, exec_lo, s14
	s_cmp_eq_u64 s[18:19], 0
	s_waitcnt lgkmcnt(0)
	s_barrier
	buffer_gl0_inv
	s_cbranch_scc1 .LBB30_6
; %bb.5:
	s_load_dword s8, s[4:5], 0xd0
	s_mov_b32 s9, 0
	s_waitcnt lgkmcnt(0)
	s_mul_i32 s8, s8, s3
	s_add_i32 s8, s8, s6
	s_lshl_b64 s[8:9], s[8:9], 2
	s_add_u32 s8, s18, s8
	s_addc_u32 s9, s19, s9
	s_load_dword s34, s[8:9], 0x0
.LBB30_6:
	v_mbcnt_lo_u32_b32 v19, -1, 0
	s_lshl_b32 s14, s2, 5
	s_waitcnt lgkmcnt(0)
	s_cmp_lt_i32 s14, s34
	s_cbranch_scc1 .LBB30_9
; %bb.7:
	v_mbcnt_lo_u32_b32 v2, -1, 0
	v_mov_b32_e32 v20, 32
	v_xor_b32_e32 v25, 16, v2
	v_xor_b32_e32 v24, 8, v2
	;; [unrolled: 1-line block ×5, first 2 shown]
	s_cbranch_execz .LBB30_10
; %bb.8:
	v_mov_b32_e32 v37, 0
	v_mov_b32_e32 v39, 0
	;; [unrolled: 1-line block ×4, first 2 shown]
	s_branch .LBB30_18
.LBB30_9:
                                        ; implicit-def: $vgpr2
                                        ; implicit-def: $vgpr20
                                        ; implicit-def: $vgpr25
                                        ; implicit-def: $vgpr24
                                        ; implicit-def: $vgpr23
                                        ; implicit-def: $vgpr22
                                        ; implicit-def: $vgpr21
.LBB30_10:
	s_clause 0x1
	s_load_dwordx4 s[28:31], s[4:5], 0x98
	s_load_dwordx2 s[8:9], s[4:5], 0x8c
	v_add_nc_u32_e32 v10, s6, v16
	s_sub_i32 s15, 0, s33
	v_lshrrev_b32_e32 v2, 3, v0
	s_mul_i32 s15, s15, s38
	s_ashr_i32 s42, s3, 31
	v_mul_hi_u32 v5, s24, v10
	s_mul_hi_u32 s15, s38, s15
	s_abs_i32 s19, s7
	s_add_i32 s38, s38, s15
	v_lshl_add_u32 v14, v1, 2, v2
	s_mul_hi_u32 s38, s19, s38
	s_ashr_i32 s39, s7, 31
	s_ashr_i32 s35, s35, 31
	v_add_nc_u32_e32 v2, v10, v5
	s_load_dwordx2 s[40:41], s[4:5], 0xa8
	s_ashr_i32 s1, s1, 1
	s_mul_i32 s43, s38, s33
	v_lshlrev_b32_e32 v3, 2, v0
	s_waitcnt lgkmcnt(0)
	s_ashr_i32 s15, s30, 2
	s_ashr_i32 s18, s8, 2
	s_mul_hi_u32 s8, s28, s3
	s_mul_i32 s30, s28, s42
	s_mul_i32 s29, s29, s3
	s_add_i32 s8, s8, s30
	s_mul_i32 s28, s28, s3
	s_add_i32 s8, s8, s29
	s_add_u32 s10, s10, s28
	s_addc_u32 s8, s11, s8
	s_sub_i32 s19, s19, s43
	v_lshrrev_b32_e32 v2, s25, v2
	s_xor_b32 s11, s39, s35
	s_add_i32 s28, s38, 1
	s_sub_i32 s29, s19, s33
	s_cmp_ge_u32 s19, s33
	v_mul_lo_u32 v2, v2, s26
	s_cselect_b32 s28, s28, s38
	s_cselect_b32 s19, s29, s19
	s_add_i32 s29, s28, 1
	s_cmp_ge_u32 s19, s33
	v_and_b32_e32 v20, 28, v3
	v_lshl_add_u32 v3, v1, 5, v0
	v_mul_lo_u32 v4, s18, v14
	v_add_nc_u32_e32 v22, 16, v14
	s_cselect_b32 s19, s29, s28
	v_sub_nc_u32_e32 v2, v10, v2
	s_xor_b32 s19, s19, s11
	v_mul_lo_u32 v8, s18, v3
	s_sub_i32 s19, s19, s11
	v_mul_lo_u32 v10, s15, v3
	v_mul_lo_u32 v12, s15, v22
	v_mul_lo_u32 v36, s15, v14
	s_mul_i32 s9, s19, s9
	v_lshl_add_u32 v6, s18, 4, v4
	s_mul_hi_u32 s28, s40, s3
	s_mul_i32 s29, s40, s42
	s_ashr_i32 s11, s9, 31
	s_add_u32 s10, s10, s9
	s_mul_i32 s30, s41, s3
	s_addc_u32 s11, s8, s11
	s_add_i32 s8, s28, s29
	s_mul_i32 s9, s40, s3
	s_add_i32 s8, s8, s30
	s_mul_i32 s19, s19, s31
	v_ashrrev_i32_e32 v5, 31, v4
	v_ashrrev_i32_e32 v7, 31, v6
	;; [unrolled: 1-line block ×6, first 2 shown]
	s_add_u32 s9, s12, s9
	v_lshlrev_b32_e32 v21, 2, v20
	v_lshl_add_u32 v30, v1, 6, 0x1720
	s_addc_u32 s8, s13, s8
	s_ashr_i32 s13, s19, 31
	s_add_u32 s12, s9, s19
	s_movk_i32 s9, 0x80
	v_mad_u64_u32 v[1:2], null, v2, s1, v[0:1]
	s_movk_i32 s1, 0x90
	v_cmp_gt_u32_e32 vcc_lo, 32, v3
	v_mad_u32_u24 v29, 0xa0, v3, s9
	v_mad_u32_u24 v32, v3, s1, 0x80
	v_lshlrev_b64 v[2:3], 2, v[8:9]
	v_lshlrev_b64 v[4:5], 2, v[4:5]
	v_lshlrev_b64 v[6:7], 2, v[6:7]
	v_lshlrev_b64 v[8:9], 2, v[10:11]
	v_lshlrev_b64 v[10:11], 2, v[12:13]
	v_lshlrev_b64 v[12:13], 2, v[36:37]
	v_mov_b32_e32 v27, 0
	v_mad_u32_u24 v26, 0xa0, v14, v21
	v_mul_u32_u24_e32 v28, 0xa0, v0
	v_lshl_add_u32 v31, v0, 1, v30
	v_mad_u32_u24 v33, 0x90, v22, v21
	v_mad_u32_u24 v34, 0x90, v14, v21
	v_mov_b32_e32 v40, 0xfeffffff
	v_lshlrev_b32_e32 v35, 2, v20
	v_mov_b32_e32 v20, 32
	v_xor_b32_e32 v25, 16, v19
	v_xor_b32_e32 v24, 8, v19
	;; [unrolled: 1-line block ×5, first 2 shown]
	v_mov_b32_e32 v36, 0x10001
	v_mov_b32_e32 v37, 0
	;; [unrolled: 1-line block ×3, first 2 shown]
	s_addc_u32 s13, s8, s13
	s_add_u32 s8, s4, 0xd0
	s_addc_u32 s9, s5, 0
.LBB30_11:                              ; =>This Inner Loop Header: Depth=1
	s_mul_hi_i32 s25, s14, s18
	s_mul_i32 s24, s14, s18
	s_lshl_b64 s[24:25], s[24:25], 2
	s_add_u32 s19, s10, s24
	s_addc_u32 s24, s11, s25
	s_and_saveexec_b32 s25, vcc_lo
	s_cbranch_execz .LBB30_13
; %bb.12:                               ;   in Loop: Header=BB30_11 Depth=1
	v_add_co_u32 v41, s1, s19, v2
	v_add_co_ci_u32_e64 v42, null, s24, v3, s1
	global_load_dwordx4 v[41:44], v[41:42], off offset:128
	s_waitcnt vmcnt(0)
	ds_write_b128 v29, v[41:44]
.LBB30_13:                              ;   in Loop: Header=BB30_11 Depth=1
	s_or_b32 exec_lo, exec_lo, s25
	v_add_co_u32 v14, s1, s19, v4
	v_add_co_ci_u32_e64 v39, null, s24, v5, s1
	v_add_co_u32 v43, s1, s19, v6
	v_add_co_ci_u32_e64 v44, null, s24, v7, s1
	v_add_co_u32 v41, s1, v14, v35
	v_add_co_ci_u32_e64 v42, null, 0, v39, s1
	v_add_co_u32 v45, s1, v43, v35
	v_add_co_ci_u32_e64 v46, null, 0, v44, s1
	s_clause 0x1
	global_load_dwordx4 v[41:44], v[41:42], off
	global_load_dwordx4 v[45:48], v[45:46], off
	v_add_nc_u32_e32 v14, 0xa00, v26
	v_add_nc_u32_e32 v49, s14, v1
	s_mul_hi_i32 s25, s14, s15
	s_mul_i32 s24, s14, s15
	s_waitcnt vmcnt(1)
	ds_write_b128 v26, v[41:44]
	s_waitcnt vmcnt(0)
	ds_write_b128 v14, v[45:48]
	s_waitcnt lgkmcnt(0)
	s_barrier
	buffer_gl0_inv
	ds_read_b128 v[41:44], v28
	ds_read_b128 v[45:48], v17
	v_mov_b32_e32 v14, 0
	v_ashrrev_i32_e32 v50, 31, v49
	s_lshl_b64 s[24:25], s[24:25], 2
	s_waitcnt lgkmcnt(0)
	;;#ASMSTART
	v_dot2_f32_f16 v14, v41, v45, v14
	;;#ASMEND
	;;#ASMSTART
	v_dot2_f32_f16 v14, v42, v46, v14
	;;#ASMEND
	;; [unrolled: 3-line block ×4, first 2 shown]
	ds_read_b128 v[41:44], v28 offset:16
	ds_read_b128 v[45:48], v17 offset:16
	v_lshlrev_b64 v[49:50], 1, v[49:50]
	s_add_u32 s19, s12, s24
	s_addc_u32 s24, s13, s25
	s_waitcnt lgkmcnt(0)
	;;#ASMSTART
	v_dot2_f32_f16 v14, v41, v45, v14
	;;#ASMEND
	;;#ASMSTART
	v_dot2_f32_f16 v14, v42, v46, v14
	;;#ASMEND
	;; [unrolled: 3-line block ×4, first 2 shown]
	ds_read_b128 v[41:44], v28 offset:32
	ds_read_b128 v[45:48], v17 offset:32
	v_add_co_u32 v49, s1, s36, v49
	v_add_co_ci_u32_e64 v50, null, s37, v50, s1
	v_cmp_gt_i32_e64 s1, 32, v25
	s_waitcnt lgkmcnt(0)
	;;#ASMSTART
	v_dot2_f32_f16 v14, v41, v45, v14
	;;#ASMEND
	;;#ASMSTART
	v_dot2_f32_f16 v14, v42, v46, v14
	;;#ASMEND
	;;#ASMSTART
	v_dot2_f32_f16 v14, v43, v47, v14
	;;#ASMEND
	;;#ASMSTART
	v_dot2_f32_f16 v14, v44, v48, v14
	;;#ASMEND
	ds_read_b128 v[41:44], v28 offset:48
	ds_read_b128 v[45:48], v17 offset:48
	s_waitcnt lgkmcnt(0)
	;;#ASMSTART
	v_dot2_f32_f16 v14, v41, v45, v14
	;;#ASMEND
	;;#ASMSTART
	v_dot2_f32_f16 v14, v42, v46, v14
	;;#ASMEND
	;;#ASMSTART
	v_dot2_f32_f16 v14, v43, v47, v14
	;;#ASMEND
	;;#ASMSTART
	v_dot2_f32_f16 v14, v44, v48, v14
	;;#ASMEND
	ds_read_b128 v[41:44], v28 offset:64
	ds_read_b128 v[45:48], v17 offset:64
	;; [unrolled: 15-line block ×6, first 2 shown]
	s_waitcnt lgkmcnt(0)
	;;#ASMSTART
	v_dot2_f32_f16 v14, v41, v45, v14
	;;#ASMEND
	;;#ASMSTART
	v_dot2_f32_f16 v14, v42, v46, v14
	;;#ASMEND
	;; [unrolled: 3-line block ×4, first 2 shown]
	global_load_ushort v39, v[49:50], off
	v_max_f32_e32 v41, v40, v40
	s_waitcnt vmcnt(0)
	s_barrier
	buffer_gl0_inv
	v_cvt_f32_f16_e32 v39, v39
	v_add_f32_e32 v39, v14, v39
	v_cndmask_b32_e64 v14, v19, v25, s1
	v_cmp_gt_i32_e64 s1, 32, v24
	v_add_f32_e32 v42, 0x40051340, v39
	v_lshlrev_b32_e32 v14, 2, v14
	v_max_f32_e32 v41, v41, v42
	v_cndmask_b32_e64 v42, v19, v24, s1
	v_cmp_gt_i32_e64 s1, 32, v23
	ds_bpermute_b32 v14, v14, v41
	v_lshlrev_b32_e32 v42, 2, v42
	s_waitcnt lgkmcnt(0)
	v_max_f32_e32 v14, v14, v14
	v_max_f32_e32 v14, v41, v14
	ds_bpermute_b32 v41, v42, v14
	v_cndmask_b32_e64 v42, v19, v23, s1
	v_cmp_gt_i32_e64 s1, 32, v22
	v_lshlrev_b32_e32 v42, 2, v42
	s_waitcnt lgkmcnt(0)
	v_max_f32_e32 v41, v41, v41
	v_max_f32_e32 v14, v14, v41
	ds_bpermute_b32 v41, v42, v14
	v_cndmask_b32_e64 v42, v19, v22, s1
	v_cmp_gt_i32_e64 s1, 32, v21
	v_lshlrev_b32_e32 v42, 2, v42
	s_waitcnt lgkmcnt(0)
	v_max_f32_e32 v41, v41, v41
	v_max_f32_e32 v14, v14, v41
	ds_bpermute_b32 v41, v42, v14
	v_cndmask_b32_e64 v42, v19, v21, s1
	v_lshlrev_b32_e32 v42, 2, v42
	s_waitcnt lgkmcnt(0)
	v_max_f32_e32 v41, v41, v41
	v_max_f32_e32 v14, v14, v41
	ds_bpermute_b32 v41, v42, v14
	s_waitcnt lgkmcnt(0)
	v_max_f32_e32 v41, v41, v41
	v_max_f32_e32 v14, v14, v41
	v_sub_f32_e32 v39, v39, v14
	v_mul_f32_e32 v41, 0x3fb8aa3b, v39
	v_cmp_ngt_f32_e64 s1, 0xc2ce8ed0, v39
	v_fma_f32 v42, 0x3fb8aa3b, v39, -v41
	v_rndne_f32_e32 v43, v41
	v_fmac_f32_e32 v42, 0x32a5705f, v39
	v_sub_f32_e32 v41, v41, v43
	v_add_f32_e32 v41, v41, v42
	v_cvt_i32_f32_e32 v42, v43
	v_exp_f32_e32 v41, v41
	v_ldexp_f32 v41, v41, v42
	v_cndmask_b32_e64 v41, 0, v41, s1
	v_cmp_nlt_f32_e64 s1, 0x42b17218, v39
	v_cndmask_b32_e64 v39, 0x7f800000, v41, s1
	v_cvt_f16_f32_e32 v41, v39
	ds_write_b16 v31, v41
	s_and_saveexec_b32 s25, vcc_lo
	s_cbranch_execz .LBB30_15
; %bb.14:                               ;   in Loop: Header=BB30_11 Depth=1
	v_add_co_u32 v41, s1, s19, v8
	v_add_co_ci_u32_e64 v42, null, s24, v9, s1
	global_load_dwordx4 v[41:44], v[41:42], off offset:128
	s_waitcnt vmcnt(0)
	ds_write_b128 v32, v[41:44]
.LBB30_15:                              ;   in Loop: Header=BB30_11 Depth=1
	s_or_b32 exec_lo, exec_lo, s25
	v_add_co_u32 v41, s1, s19, v12
	v_add_co_ci_u32_e64 v42, null, s24, v13, s1
	v_add_co_u32 v43, s1, s19, v10
	v_add_co_ci_u32_e64 v44, null, s24, v11, s1
	;; [unrolled: 2-line block ×4, first 2 shown]
	s_clause 0x1
	global_load_dwordx4 v[41:44], v[41:42], off
	global_load_dwordx4 v[45:48], v[45:46], off
	v_sub_f32_e32 v49, v40, v14
	s_waitcnt vmcnt(1)
	ds_write_b128 v34, v[41:44]
	s_waitcnt vmcnt(0)
	ds_write_b128 v33, v[45:48]
	v_mul_f32_e32 v40, 0x3fb8aa3b, v49
	s_waitcnt lgkmcnt(0)
	s_barrier
	buffer_gl0_inv
	ds_read2_b64 v[44:47], v18 offset1:18
	v_fma_f32 v50, 0x3fb8aa3b, v49, -v40
	v_rndne_f32_e32 v51, v40
	v_cmp_ngt_f32_e64 s1, 0xc2ce8ed0, v49
	v_fmac_f32_e32 v50, 0x32a5705f, v49
	v_sub_f32_e32 v40, v40, v51
	v_cvt_i32_f32_e32 v51, v51
	v_add_f32_e32 v40, v40, v50
	v_exp_f32_e32 v50, v40
	ds_read_b128 v[40:43], v30
	v_ldexp_f32 v48, v50, v51
	v_cndmask_b32_e64 v48, 0, v48, s1
	v_cmp_nlt_f32_e64 s1, 0x42b17218, v49
	v_cndmask_b32_e64 v60, 0x7f800000, v48, s1
	ds_read_b128 v[48:51], v30 offset:16
	ds_read2_b64 v[52:55], v18 offset0:36 offset1:54
	s_waitcnt lgkmcnt(2)
	v_mul_u32_u24_sdwa v57, v40, v36 dst_sel:DWORD dst_unused:UNUSED_PAD src0_sel:WORD_0 src1_sel:DWORD
	v_mul_u32_u24_sdwa v40, v40, v36 dst_sel:DWORD dst_unused:UNUSED_PAD src0_sel:WORD_1 src1_sel:DWORD
	v_cvt_f16_f32_e32 v56, v60
	v_fmac_f32_e32 v39, v38, v60
	v_pk_mul_f16 v44, v44, v57
	v_pk_mul_f16 v45, v45, v57
	v_mul_u32_u24_sdwa v61, v56, v36 dst_sel:DWORD dst_unused:UNUSED_PAD src0_sel:WORD_0 src1_sel:DWORD
	ds_read2_b64 v[56:59], v18 offset0:72 offset1:90
	v_pk_fma_f16 v27, v27, v61, v44
	v_pk_fma_f16 v37, v37, v61, v45
	v_mul_u32_u24_sdwa v61, v41, v36 dst_sel:DWORD dst_unused:UNUSED_PAD src0_sel:WORD_0 src1_sel:DWORD
	v_pk_fma_f16 v27, v46, v40, v27
	v_pk_fma_f16 v37, v47, v40, v37
	ds_read2_b64 v[44:47], v18 offset0:108 offset1:126
	v_mul_u32_u24_sdwa v40, v41, v36 dst_sel:DWORD dst_unused:UNUSED_PAD src0_sel:WORD_1 src1_sel:DWORD
	v_mul_u32_u24_sdwa v41, v42, v36 dst_sel:DWORD dst_unused:UNUSED_PAD src0_sel:WORD_0 src1_sel:DWORD
	s_waitcnt lgkmcnt(2)
	v_pk_fma_f16 v27, v52, v61, v27
	v_pk_fma_f16 v37, v53, v61, v37
	v_add_nc_u32_e32 v61, 0x800, v18
	v_mul_u32_u24_sdwa v62, v51, v36 dst_sel:DWORD dst_unused:UNUSED_PAD src0_sel:WORD_1 src1_sel:DWORD
	v_pk_fma_f16 v27, v54, v40, v27
	v_pk_fma_f16 v37, v55, v40, v37
	ds_read2_b64 v[52:55], v18 offset0:144 offset1:162
	v_mul_u32_u24_sdwa v40, v42, v36 dst_sel:DWORD dst_unused:UNUSED_PAD src0_sel:WORD_1 src1_sel:DWORD
	s_waitcnt lgkmcnt(2)
	v_pk_fma_f16 v27, v56, v41, v27
	v_pk_fma_f16 v37, v57, v41, v37
	v_mul_u32_u24_sdwa v41, v43, v36 dst_sel:DWORD dst_unused:UNUSED_PAD src0_sel:WORD_0 src1_sel:DWORD
	v_pk_fma_f16 v27, v58, v40, v27
	v_pk_fma_f16 v37, v59, v40, v37
	ds_read2_b64 v[56:59], v18 offset0:180 offset1:198
	v_mul_u32_u24_sdwa v40, v43, v36 dst_sel:DWORD dst_unused:UNUSED_PAD src0_sel:WORD_1 src1_sel:DWORD
	s_waitcnt lgkmcnt(2)
	v_pk_fma_f16 v27, v44, v41, v27
	v_pk_fma_f16 v37, v45, v41, v37
	v_mul_u32_u24_sdwa v44, v48, v36 dst_sel:DWORD dst_unused:UNUSED_PAD src0_sel:WORD_0 src1_sel:DWORD
	v_mul_u32_u24_sdwa v45, v48, v36 dst_sel:DWORD dst_unused:UNUSED_PAD src0_sel:WORD_1 src1_sel:DWORD
	v_mul_u32_u24_sdwa v48, v49, v36 dst_sel:DWORD dst_unused:UNUSED_PAD src0_sel:WORD_0 src1_sel:DWORD
	v_pk_fma_f16 v27, v46, v40, v27
	v_pk_fma_f16 v37, v47, v40, v37
	ds_read2_b64 v[40:43], v18 offset0:216 offset1:234
	v_mul_u32_u24_sdwa v49, v49, v36 dst_sel:DWORD dst_unused:UNUSED_PAD src0_sel:WORD_1 src1_sel:DWORD
	s_waitcnt lgkmcnt(2)
	v_pk_fma_f16 v27, v52, v44, v27
	v_pk_fma_f16 v37, v53, v44, v37
	v_add_nc_u32_e32 v44, 0x400, v18
	v_pk_fma_f16 v27, v54, v45, v27
	v_pk_fma_f16 v37, v55, v45, v37
	ds_read2_b64 v[44:47], v44 offset0:124 offset1:142
	ds_read_b128 v[52:55], v30 offset:32
	s_waitcnt lgkmcnt(3)
	v_pk_fma_f16 v27, v56, v48, v27
	v_pk_fma_f16 v37, v57, v48, v37
	v_mul_u32_u24_sdwa v48, v50, v36 dst_sel:DWORD dst_unused:UNUSED_PAD src0_sel:WORD_0 src1_sel:DWORD
	v_pk_fma_f16 v27, v58, v49, v27
	v_pk_fma_f16 v37, v59, v49, v37
	ds_read2_b64 v[56:59], v61 offset0:32 offset1:50
	v_mul_u32_u24_sdwa v49, v50, v36 dst_sel:DWORD dst_unused:UNUSED_PAD src0_sel:WORD_1 src1_sel:DWORD
	s_waitcnt lgkmcnt(3)
	v_pk_fma_f16 v27, v40, v48, v27
	v_pk_fma_f16 v37, v41, v48, v37
	v_mul_u32_u24_sdwa v48, v51, v36 dst_sel:DWORD dst_unused:UNUSED_PAD src0_sel:WORD_0 src1_sel:DWORD
	v_pk_fma_f16 v27, v42, v49, v27
	v_pk_fma_f16 v37, v43, v49, v37
	ds_read2_b64 v[40:43], v61 offset0:68 offset1:86
	s_waitcnt lgkmcnt(3)
	v_pk_fma_f16 v27, v44, v48, v27
	v_pk_fma_f16 v37, v45, v48, v37
	ds_read_b128 v[48:51], v30 offset:48
	s_waitcnt lgkmcnt(3)
	v_mul_u32_u24_sdwa v63, v52, v36 dst_sel:DWORD dst_unused:UNUSED_PAD src0_sel:WORD_0 src1_sel:DWORD
	v_mul_u32_u24_sdwa v52, v52, v36 dst_sel:DWORD dst_unused:UNUSED_PAD src0_sel:WORD_1 src1_sel:DWORD
	v_pk_fma_f16 v27, v46, v62, v27
	v_pk_fma_f16 v37, v47, v62, v37
	ds_read2_b64 v[44:47], v61 offset0:104 offset1:122
	v_mul_u32_u24_sdwa v62, v53, v36 dst_sel:DWORD dst_unused:UNUSED_PAD src0_sel:WORD_0 src1_sel:DWORD
	s_waitcnt lgkmcnt(3)
	v_pk_fma_f16 v27, v56, v63, v27
	v_pk_fma_f16 v37, v57, v63, v37
	v_pk_fma_f16 v27, v58, v52, v27
	v_pk_fma_f16 v37, v59, v52, v37
	ds_read2_b64 v[56:59], v61 offset0:140 offset1:158
	v_mul_u32_u24_sdwa v52, v53, v36 dst_sel:DWORD dst_unused:UNUSED_PAD src0_sel:WORD_1 src1_sel:DWORD
	v_mul_u32_u24_sdwa v53, v54, v36 dst_sel:DWORD dst_unused:UNUSED_PAD src0_sel:WORD_0 src1_sel:DWORD
	s_waitcnt lgkmcnt(3)
	v_pk_fma_f16 v27, v40, v62, v27
	v_pk_fma_f16 v37, v41, v62, v37
	;; [unrolled: 1-line block ×4, first 2 shown]
	ds_read2_b64 v[40:43], v61 offset0:176 offset1:194
	v_mul_u32_u24_sdwa v52, v54, v36 dst_sel:DWORD dst_unused:UNUSED_PAD src0_sel:WORD_1 src1_sel:DWORD
	s_waitcnt lgkmcnt(2)
	v_pk_fma_f16 v27, v44, v53, v27
	v_pk_fma_f16 v37, v45, v53, v37
	v_mul_u32_u24_sdwa v53, v55, v36 dst_sel:DWORD dst_unused:UNUSED_PAD src0_sel:WORD_0 src1_sel:DWORD
	v_pk_fma_f16 v27, v46, v52, v27
	v_pk_fma_f16 v37, v47, v52, v37
	ds_read2_b64 v[44:47], v61 offset0:212 offset1:230
	v_mul_u32_u24_sdwa v52, v55, v36 dst_sel:DWORD dst_unused:UNUSED_PAD src0_sel:WORD_1 src1_sel:DWORD
	s_waitcnt lgkmcnt(2)
	v_pk_fma_f16 v27, v56, v53, v27
	v_pk_fma_f16 v37, v57, v53, v37
	v_add_nc_u32_e32 v53, 0xc00, v18
	v_mul_u32_u24_sdwa v56, v48, v36 dst_sel:DWORD dst_unused:UNUSED_PAD src0_sel:WORD_0 src1_sel:DWORD
	v_mul_u32_u24_sdwa v48, v48, v36 dst_sel:DWORD dst_unused:UNUSED_PAD src0_sel:WORD_1 src1_sel:DWORD
	v_pk_fma_f16 v27, v58, v52, v27
	v_pk_fma_f16 v37, v59, v52, v37
	ds_read2_b64 v[52:55], v53 offset0:120 offset1:138
	v_add_nc_u32_e32 v57, 0x1000, v18
	s_waitcnt lgkmcnt(2)
	v_pk_fma_f16 v27, v40, v56, v27
	v_pk_fma_f16 v37, v41, v56, v37
	v_mul_u32_u24_sdwa v40, v49, v36 dst_sel:DWORD dst_unused:UNUSED_PAD src0_sel:WORD_0 src1_sel:DWORD
	ds_read2_b64 v[56:59], v57 offset0:28 offset1:46
	v_mul_u32_u24_sdwa v41, v49, v36 dst_sel:DWORD dst_unused:UNUSED_PAD src0_sel:WORD_1 src1_sel:DWORD
	v_pk_fma_f16 v27, v42, v48, v27
	v_pk_fma_f16 v37, v43, v48, v37
	s_waitcnt lgkmcnt(0)
	s_barrier
	buffer_gl0_inv
	v_pk_fma_f16 v27, v44, v40, v27
	v_pk_fma_f16 v37, v45, v40, v37
	s_load_dword s1, s[8:9], 0x4
	v_mul_u32_u24_sdwa v40, v50, v36 dst_sel:DWORD dst_unused:UNUSED_PAD src0_sel:WORD_0 src1_sel:DWORD
	v_pk_fma_f16 v27, v46, v41, v27
	v_pk_fma_f16 v37, v47, v41, v37
	v_mul_u32_u24_sdwa v41, v50, v36 dst_sel:DWORD dst_unused:UNUSED_PAD src0_sel:WORD_1 src1_sel:DWORD
	v_pk_fma_f16 v27, v52, v40, v27
	v_pk_fma_f16 v37, v53, v40, v37
	v_mul_u32_u24_sdwa v40, v51, v36 dst_sel:DWORD dst_unused:UNUSED_PAD src0_sel:WORD_0 src1_sel:DWORD
	v_pk_fma_f16 v27, v54, v41, v27
	v_pk_fma_f16 v37, v55, v41, v37
	v_mul_u32_u24_sdwa v41, v51, v36 dst_sel:DWORD dst_unused:UNUSED_PAD src0_sel:WORD_1 src1_sel:DWORD
	v_pk_fma_f16 v27, v56, v40, v27
	v_pk_fma_f16 v37, v57, v40, v37
	s_waitcnt lgkmcnt(0)
	s_lshl_b32 s1, s1, 5
	s_add_i32 s14, s1, s14
	v_pk_fma_f16 v27, v58, v41, v27
	v_pk_fma_f16 v37, v59, v41, v37
	s_cmp_ge_i32 s14, s34
	s_cbranch_scc1 .LBB30_17
; %bb.16:                               ;   in Loop: Header=BB30_11 Depth=1
	v_mov_b32_e32 v40, v14
	v_mov_b32_e32 v38, v39
	s_branch .LBB30_11
.LBB30_17:
	v_mov_b32_e32 v2, v19
.LBB30_18:
	v_cmp_lt_i32_e32 vcc_lo, v25, v20
	s_cmp_lg_u64 s[16:17], 0
	s_cselect_b32 s1, -1, 0
	s_cmp_eq_u32 s2, 0
	v_cndmask_b32_e32 v1, v2, v25, vcc_lo
	v_cmp_lt_i32_e32 vcc_lo, v24, v20
	s_cselect_b32 s8, -1, 0
	s_and_b32 s1, s8, s1
	v_lshlrev_b32_e32 v1, 2, v1
	v_cndmask_b32_e32 v3, v2, v24, vcc_lo
	v_cmp_lt_i32_e32 vcc_lo, v23, v20
	ds_bpermute_b32 v1, v1, v39
	v_lshlrev_b32_e32 v3, 2, v3
	v_cndmask_b32_e32 v4, v2, v23, vcc_lo
	v_cmp_lt_i32_e32 vcc_lo, v22, v20
	v_lshlrev_b32_e32 v4, 2, v4
	s_waitcnt lgkmcnt(0)
	v_add_f32_e32 v1, v39, v1
	ds_bpermute_b32 v3, v3, v1
	s_waitcnt lgkmcnt(0)
	v_add_f32_e32 v1, v1, v3
	ds_bpermute_b32 v3, v4, v1
	v_cndmask_b32_e32 v4, v2, v22, vcc_lo
	v_cmp_lt_i32_e32 vcc_lo, v21, v20
	v_lshlrev_b32_e32 v4, 2, v4
	v_cndmask_b32_e32 v2, v2, v21, vcc_lo
	s_and_b32 vcc_lo, exec_lo, s1
	v_lshlrev_b32_e32 v2, 2, v2
	s_waitcnt lgkmcnt(0)
	v_add_f32_e32 v1, v1, v3
	ds_bpermute_b32 v3, v4, v1
	s_waitcnt lgkmcnt(0)
	v_add_f32_e32 v3, v1, v3
	v_add_nc_u32_e32 v1, s7, v15
	ds_bpermute_b32 v2, v2, v3
	s_waitcnt lgkmcnt(0)
	v_add_f32_e32 v15, v3, v2
	s_cbranch_vccz .LBB30_20
; %bb.19:
	v_ashrrev_i32_e32 v2, 31, v1
	v_lshlrev_b64 v[2:3], 2, v[1:2]
	v_add_co_u32 v2, vcc_lo, s16, v2
	v_add_co_ci_u32_e64 v3, null, s17, v3, vcc_lo
	global_load_dword v2, v[2:3], off
	v_max_f32_e32 v3, v14, v14
	s_waitcnt vmcnt(0)
	v_max_f32_e32 v4, v2, v2
	v_max_f32_e32 v3, v3, v4
	v_sub_f32_e32 v4, v14, v3
	v_sub_f32_e32 v2, v2, v3
	v_mov_b32_e32 v14, v3
	v_mul_f32_e32 v5, 0x3fb8aa3b, v4
	v_mul_f32_e32 v6, 0x3fb8aa3b, v2
	v_cmp_ngt_f32_e32 vcc_lo, 0xc2ce8ed0, v4
	v_fma_f32 v7, 0x3fb8aa3b, v4, -v5
	v_rndne_f32_e32 v8, v5
	v_fma_f32 v9, 0x3fb8aa3b, v2, -v6
	v_rndne_f32_e32 v10, v6
	v_fmac_f32_e32 v7, 0x32a5705f, v4
	v_sub_f32_e32 v5, v5, v8
	v_fmac_f32_e32 v9, 0x32a5705f, v2
	v_sub_f32_e32 v6, v6, v10
	v_add_f32_e32 v5, v5, v7
	v_cvt_i32_f32_e32 v7, v8
	v_add_f32_e32 v6, v6, v9
	v_cvt_i32_f32_e32 v8, v10
	v_exp_f32_e32 v5, v5
	v_exp_f32_e32 v6, v6
	v_ldexp_f32 v5, v5, v7
	v_ldexp_f32 v6, v6, v8
	v_cndmask_b32_e32 v5, 0, v5, vcc_lo
	v_cmp_ngt_f32_e32 vcc_lo, 0xc2ce8ed0, v2
	v_cndmask_b32_e32 v6, 0, v6, vcc_lo
	v_cmp_nlt_f32_e32 vcc_lo, 0x42b17218, v4
	v_cndmask_b32_e32 v4, 0x7f800000, v5, vcc_lo
	v_cmp_nlt_f32_e32 vcc_lo, 0x42b17218, v2
	v_mov_b32_e32 v5, 0x10001
	v_cndmask_b32_e32 v2, 0x7f800000, v6, vcc_lo
	v_cvt_f16_f32_e32 v6, v4
	v_fmac_f32_e32 v2, v15, v4
	v_mul_u32_u24_sdwa v4, v6, v5 dst_sel:DWORD dst_unused:UNUSED_PAD src0_sel:WORD_0 src1_sel:DWORD
	v_mov_b32_e32 v15, v2
	v_pk_mul_f16 v27, v27, v4
	v_pk_mul_f16 v37, v37, v4
.LBB30_20:
	s_load_dword s1, s[4:5], 0xd4
	s_mul_i32 s3, s3, s26
	v_add3_u32 v2, s3, s6, v16
	v_mad_u64_u32 v[1:2], null, v2, s27, v[1:2]
	s_waitcnt lgkmcnt(0)
	v_mad_u64_u32 v[1:2], null, s1, v1, s[2:3]
	s_cmp_lg_u32 s1, 1
	s_cselect_b32 s1, -1, 0
	s_and_saveexec_b32 s2, s0
	s_cbranch_execz .LBB30_22
; %bb.21:
	v_div_scale_f32 v2, null, v15, v15, 1.0
	v_div_scale_f32 v5, vcc_lo, 1.0, v15, 1.0
	v_mul_lo_u32 v7, 0x48, v1
	v_rcp_f32_e32 v4, v2
	v_cvt_f32_f16_e32 v8, v37
	v_cvt_f32_f16_sdwa v9, v27 dst_sel:DWORD dst_unused:UNUSED_PAD src0_sel:WORD_1
	v_cvt_f32_f16_e32 v10, v27
	v_fma_f32 v3, -v2, v4, 1.0
	v_fmac_f32_e32 v4, v3, v4
	v_mul_f32_e32 v6, v5, v4
	v_fma_f32 v3, -v2, v6, v5
	v_fmac_f32_e32 v6, v3, v4
	v_mov_b32_e32 v3, 0
	v_fma_f32 v2, -v2, v6, v5
	v_cvt_f32_f16_sdwa v5, v37 dst_sel:DWORD dst_unused:UNUSED_PAD src0_sel:WORD_1
	v_div_fmas_f32 v4, v2, v4, v6
	v_lshl_add_u32 v2, v0, 2, v7
	v_div_fixup_f32 v4, v4, v15, 1.0
	v_lshlrev_b64 v[2:3], 2, v[2:3]
	v_cndmask_b32_e64 v11, v4, 1.0, s1
	v_add_co_u32 v6, vcc_lo, s20, v2
	v_add_co_ci_u32_e64 v7, null, s21, v3, vcc_lo
	v_mul_f32_e32 v5, v11, v5
	v_mul_f32_e32 v4, v11, v8
	;; [unrolled: 1-line block ×4, first 2 shown]
	global_store_dwordx4 v[6:7], v[2:5], off
.LBB30_22:
	s_or_b32 exec_lo, exec_lo, s2
	v_cmp_eq_u32_e32 vcc_lo, 0, v0
	s_and_b32 s0, vcc_lo, s1
	s_and_saveexec_b32 s1, s0
	s_cbranch_execz .LBB30_24
; %bb.23:
	v_ashrrev_i32_e32 v2, 31, v1
	v_lshlrev_b64 v[0:1], 3, v[1:2]
	v_add_co_u32 v0, vcc_lo, s22, v0
	v_add_co_ci_u32_e64 v1, null, s23, v1, vcc_lo
	global_store_dwordx2 v[0:1], v[14:15], off
.LBB30_24:
	s_endpgm
	.section	.rodata,"a",@progbits
	.p2align	6, 0x0
	.amdhsa_kernel _ZL15flash_attn_tileILi72ELi72ELi1ELi4ELb0EEvPKcS1_S1_S1_S1_PKiPfP15HIP_vector_typeIfLj2EEffffjfiS5_IjLj3EEiiiiiiiiiiiliiliiiiil
		.amdhsa_group_segment_fixed_size 6176
		.amdhsa_private_segment_fixed_size 0
		.amdhsa_kernarg_size 464
		.amdhsa_user_sgpr_count 6
		.amdhsa_user_sgpr_private_segment_buffer 1
		.amdhsa_user_sgpr_dispatch_ptr 0
		.amdhsa_user_sgpr_queue_ptr 0
		.amdhsa_user_sgpr_kernarg_segment_ptr 1
		.amdhsa_user_sgpr_dispatch_id 0
		.amdhsa_user_sgpr_flat_scratch_init 0
		.amdhsa_user_sgpr_private_segment_size 0
		.amdhsa_wavefront_size32 1
		.amdhsa_uses_dynamic_stack 0
		.amdhsa_system_sgpr_private_segment_wavefront_offset 0
		.amdhsa_system_sgpr_workgroup_id_x 1
		.amdhsa_system_sgpr_workgroup_id_y 1
		.amdhsa_system_sgpr_workgroup_id_z 1
		.amdhsa_system_sgpr_workgroup_info 0
		.amdhsa_system_vgpr_workitem_id 1
		.amdhsa_next_free_vgpr 64
		.amdhsa_next_free_sgpr 44
		.amdhsa_reserve_vcc 1
		.amdhsa_reserve_flat_scratch 0
		.amdhsa_float_round_mode_32 0
		.amdhsa_float_round_mode_16_64 0
		.amdhsa_float_denorm_mode_32 3
		.amdhsa_float_denorm_mode_16_64 3
		.amdhsa_dx10_clamp 1
		.amdhsa_ieee_mode 1
		.amdhsa_fp16_overflow 0
		.amdhsa_workgroup_processor_mode 1
		.amdhsa_memory_ordered 1
		.amdhsa_forward_progress 1
		.amdhsa_shared_vgpr_count 0
		.amdhsa_exception_fp_ieee_invalid_op 0
		.amdhsa_exception_fp_denorm_src 0
		.amdhsa_exception_fp_ieee_div_zero 0
		.amdhsa_exception_fp_ieee_overflow 0
		.amdhsa_exception_fp_ieee_underflow 0
		.amdhsa_exception_fp_ieee_inexact 0
		.amdhsa_exception_int_div_zero 0
	.end_amdhsa_kernel
	.section	.text._ZL15flash_attn_tileILi72ELi72ELi1ELi4ELb0EEvPKcS1_S1_S1_S1_PKiPfP15HIP_vector_typeIfLj2EEffffjfiS5_IjLj3EEiiiiiiiiiiiliiliiiiil,"axG",@progbits,_ZL15flash_attn_tileILi72ELi72ELi1ELi4ELb0EEvPKcS1_S1_S1_S1_PKiPfP15HIP_vector_typeIfLj2EEffffjfiS5_IjLj3EEiiiiiiiiiiiliiliiiiil,comdat
.Lfunc_end30:
	.size	_ZL15flash_attn_tileILi72ELi72ELi1ELi4ELb0EEvPKcS1_S1_S1_S1_PKiPfP15HIP_vector_typeIfLj2EEffffjfiS5_IjLj3EEiiiiiiiiiiiliiliiiiil, .Lfunc_end30-_ZL15flash_attn_tileILi72ELi72ELi1ELi4ELb0EEvPKcS1_S1_S1_S1_PKiPfP15HIP_vector_typeIfLj2EEffffjfiS5_IjLj3EEiiiiiiiiiiiliiliiiiil
                                        ; -- End function
	.set _ZL15flash_attn_tileILi72ELi72ELi1ELi4ELb0EEvPKcS1_S1_S1_S1_PKiPfP15HIP_vector_typeIfLj2EEffffjfiS5_IjLj3EEiiiiiiiiiiiliiliiiiil.num_vgpr, 64
	.set _ZL15flash_attn_tileILi72ELi72ELi1ELi4ELb0EEvPKcS1_S1_S1_S1_PKiPfP15HIP_vector_typeIfLj2EEffffjfiS5_IjLj3EEiiiiiiiiiiiliiliiiiil.num_agpr, 0
	.set _ZL15flash_attn_tileILi72ELi72ELi1ELi4ELb0EEvPKcS1_S1_S1_S1_PKiPfP15HIP_vector_typeIfLj2EEffffjfiS5_IjLj3EEiiiiiiiiiiiliiliiiiil.numbered_sgpr, 44
	.set _ZL15flash_attn_tileILi72ELi72ELi1ELi4ELb0EEvPKcS1_S1_S1_S1_PKiPfP15HIP_vector_typeIfLj2EEffffjfiS5_IjLj3EEiiiiiiiiiiiliiliiiiil.num_named_barrier, 0
	.set _ZL15flash_attn_tileILi72ELi72ELi1ELi4ELb0EEvPKcS1_S1_S1_S1_PKiPfP15HIP_vector_typeIfLj2EEffffjfiS5_IjLj3EEiiiiiiiiiiiliiliiiiil.private_seg_size, 0
	.set _ZL15flash_attn_tileILi72ELi72ELi1ELi4ELb0EEvPKcS1_S1_S1_S1_PKiPfP15HIP_vector_typeIfLj2EEffffjfiS5_IjLj3EEiiiiiiiiiiiliiliiiiil.uses_vcc, 1
	.set _ZL15flash_attn_tileILi72ELi72ELi1ELi4ELb0EEvPKcS1_S1_S1_S1_PKiPfP15HIP_vector_typeIfLj2EEffffjfiS5_IjLj3EEiiiiiiiiiiiliiliiiiil.uses_flat_scratch, 0
	.set _ZL15flash_attn_tileILi72ELi72ELi1ELi4ELb0EEvPKcS1_S1_S1_S1_PKiPfP15HIP_vector_typeIfLj2EEffffjfiS5_IjLj3EEiiiiiiiiiiiliiliiiiil.has_dyn_sized_stack, 0
	.set _ZL15flash_attn_tileILi72ELi72ELi1ELi4ELb0EEvPKcS1_S1_S1_S1_PKiPfP15HIP_vector_typeIfLj2EEffffjfiS5_IjLj3EEiiiiiiiiiiiliiliiiiil.has_recursion, 0
	.set _ZL15flash_attn_tileILi72ELi72ELi1ELi4ELb0EEvPKcS1_S1_S1_S1_PKiPfP15HIP_vector_typeIfLj2EEffffjfiS5_IjLj3EEiiiiiiiiiiiliiliiiiil.has_indirect_call, 0
	.section	.AMDGPU.csdata,"",@progbits
; Kernel info:
; codeLenInByte = 5212
; TotalNumSgprs: 46
; NumVgprs: 64
; ScratchSize: 0
; MemoryBound: 0
; FloatMode: 240
; IeeeMode: 1
; LDSByteSize: 6176 bytes/workgroup (compile time only)
; SGPRBlocks: 0
; VGPRBlocks: 7
; NumSGPRsForWavesPerEU: 46
; NumVGPRsForWavesPerEU: 64
; Occupancy: 16
; WaveLimiterHint : 1
; COMPUTE_PGM_RSRC2:SCRATCH_EN: 0
; COMPUTE_PGM_RSRC2:USER_SGPR: 6
; COMPUTE_PGM_RSRC2:TRAP_HANDLER: 0
; COMPUTE_PGM_RSRC2:TGID_X_EN: 1
; COMPUTE_PGM_RSRC2:TGID_Y_EN: 1
; COMPUTE_PGM_RSRC2:TGID_Z_EN: 1
; COMPUTE_PGM_RSRC2:TIDIG_COMP_CNT: 1
	.section	.text._ZL33flash_attn_stream_k_fixup_uniformILi72ELi1ELi4EEvPfPK15HIP_vector_typeIfLj2EEiiiiiiS1_IjLj3EES5_S5_,"axG",@progbits,_ZL33flash_attn_stream_k_fixup_uniformILi72ELi1ELi4EEvPfPK15HIP_vector_typeIfLj2EEiiiiiiS1_IjLj3EES5_S5_,comdat
	.globl	_ZL33flash_attn_stream_k_fixup_uniformILi72ELi1ELi4EEvPfPK15HIP_vector_typeIfLj2EEiiiiiiS1_IjLj3EES5_S5_ ; -- Begin function _ZL33flash_attn_stream_k_fixup_uniformILi72ELi1ELi4EEvPfPK15HIP_vector_typeIfLj2EEiiiiiiS1_IjLj3EES5_S5_
	.p2align	8
	.type	_ZL33flash_attn_stream_k_fixup_uniformILi72ELi1ELi4EEvPfPK15HIP_vector_typeIfLj2EEiiiiiiS1_IjLj3EES5_S5_,@function
_ZL33flash_attn_stream_k_fixup_uniformILi72ELi1ELi4EEvPfPK15HIP_vector_typeIfLj2EEiiiiiiS1_IjLj3EES5_S5_: ; @_ZL33flash_attn_stream_k_fixup_uniformILi72ELi1ELi4EEvPfPK15HIP_vector_typeIfLj2EEiiiiiiS1_IjLj3EES5_S5_
; %bb.0:
	s_clause 0x1
	s_load_dwordx8 s[12:19], s[4:5], 0x1c
	s_load_dwordx4 s[20:23], s[4:5], 0x3c
	s_waitcnt lgkmcnt(0)
	s_mul_hi_u32 s0, s15, s6
	s_add_i32 s0, s6, s0
	s_lshr_b32 s2, s0, s16
	s_mul_i32 s0, s2, s17
	s_sub_i32 s9, s6, s0
	s_load_dwordx2 s[0:1], s[4:5], 0x10
	s_mul_hi_u32 s3, s9, s18
	s_add_i32 s3, s9, s3
	s_lshr_b32 s3, s3, s19
	s_mul_i32 s10, s3, s20
	s_sub_i32 s9, s9, s10
	s_mul_hi_u32 s10, s9, s21
	s_add_i32 s10, s9, s10
	s_lshr_b32 s10, s10, s22
	s_mul_i32 s11, s10, s23
	s_lshl_b32 s10, s10, 2
	s_sub_i32 s9, s9, s11
	s_add_i32 s9, s9, s7
	s_waitcnt lgkmcnt(0)
	s_cmp_lt_i32 s9, s0
	s_cselect_b32 s11, -1, 0
	s_add_i32 s10, s10, s8
	s_cmp_lt_i32 s10, s13
	s_cselect_b32 s15, -1, 0
	s_and_b32 s11, s11, s15
	s_andn2_b32 vcc_lo, exec_lo, s11
	s_cbranch_vccnz .LBB31_6
; %bb.1:
	s_mul_i32 s2, s2, s0
	s_mul_i32 s3, s3, s13
	s_add_i32 s0, s9, s2
	s_add_i32 s9, s10, s3
	s_mul_i32 s10, s0, s1
	s_load_dwordx4 s[0:3], s[4:5], 0x0
	s_add_i32 s9, s9, s10
	s_mul_i32 s4, s14, s6
	v_mad_u64_u32 v[1:2], null, 0x48, s9, v[0:1]
	s_add_i32 s10, s4, s14
	v_ashrrev_i32_e32 v2, 31, v1
	v_lshlrev_b64 v[1:2], 2, v[1:2]
	s_waitcnt lgkmcnt(0)
	v_add_co_u32 v1, vcc_lo, s0, v1
	v_add_co_ci_u32_e64 v2, null, s1, v2, vcc_lo
	s_add_i32 s0, s7, s10
	s_lshl_b32 s0, s0, 2
	global_load_dword v5, v[1:2], off
	s_add_i32 s0, s0, s8
	s_add_i32 s0, s0, -4
	s_ashr_i32 s1, s0, 31
	s_lshl_b64 s[0:1], s[0:1], 3
	s_add_u32 s0, s2, s0
	s_addc_u32 s1, s3, s1
	s_add_i32 s5, s10, -2
	s_load_dword s11, s[0:1], 0x4
	s_cmp_lt_i32 s5, s4
	s_cbranch_scc1 .LBB31_4
; %bb.2:
	s_load_dword s13, s[0:1], 0x0
	s_lshl_b32 s16, s12, 4
	s_waitcnt lgkmcnt(0)
	v_mov_b32_e32 v6, s11
	s_ashr_i32 s17, s16, 31
	s_lshl_b64 s[0:1], s[16:17], 2
	s_add_u32 s5, s2, s0
	s_addc_u32 s9, s3, s1
	s_add_i32 s6, s6, 1
	s_mul_i32 s1, s7, 0x120
	s_mul_i32 s0, s14, s6
	s_mul_i32 s6, s8, 0x48
	s_mulk_i32 s0, 0x120
	s_add_i32 s1, s6, s1
	s_add_i32 s6, s7, s12
	;; [unrolled: 1-line block ×4, first 2 shown]
	v_add3_u32 v3, s1, v0, 0xfffffdc0
	s_lshl_b32 s0, s6, 2
	v_mov_b32_e32 v0, s13
	s_add_i32 s0, s8, s0
	s_add_i32 s6, s10, -1
	s_add_i32 s0, s0, -8
.LBB31_3:                               ; =>This Inner Loop Header: Depth=1
	v_ashrrev_i32_e32 v4, 31, v3
	s_ashr_i32 s1, s0, 31
	s_lshl_b64 s[10:11], s[0:1], 3
	s_add_u32 s10, s2, s10
	v_lshlrev_b64 v[7:8], 2, v[3:4]
	s_addc_u32 s11, s3, s11
	v_add_nc_u32_e32 v3, 0xfffffee0, v3
	s_add_i32 s6, s6, -1
	s_add_i32 s0, s0, -4
	s_cmp_le_i32 s6, s4
	v_add_co_u32 v7, vcc_lo, s5, v7
	v_add_co_ci_u32_e64 v8, null, s9, v8, vcc_lo
	s_load_dwordx2 s[10:11], s[10:11], 0x0
	global_load_dword v4, v[7:8], off
	v_max_f32_e32 v7, v0, v0
	s_waitcnt lgkmcnt(0)
	v_max_f32_e64 v8, s10, s10
	v_max_f32_e32 v7, v7, v8
	v_sub_f32_e32 v8, s10, v7
	v_sub_f32_e32 v0, v0, v7
	v_mul_f32_e32 v9, 0x3fb8aa3b, v8
	v_mul_f32_e32 v12, 0x3fb8aa3b, v0
	v_cmp_ngt_f32_e32 vcc_lo, 0xc2ce8ed0, v8
	v_fma_f32 v10, 0x3fb8aa3b, v8, -v9
	v_rndne_f32_e32 v11, v9
	v_fma_f32 v13, 0x3fb8aa3b, v0, -v12
	v_rndne_f32_e32 v14, v12
	v_fmac_f32_e32 v10, 0x32a5705f, v8
	v_sub_f32_e32 v9, v9, v11
	v_fmac_f32_e32 v13, 0x32a5705f, v0
	v_cvt_i32_f32_e32 v11, v11
	v_add_f32_e32 v9, v9, v10
	v_sub_f32_e32 v10, v12, v14
	v_exp_f32_e32 v9, v9
	v_add_f32_e32 v10, v10, v13
	v_exp_f32_e32 v10, v10
	v_ldexp_f32 v9, v9, v11
	v_cvt_i32_f32_e32 v11, v14
	v_cndmask_b32_e32 v9, 0, v9, vcc_lo
	v_cmp_nlt_f32_e32 vcc_lo, 0x42b17218, v8
	v_ldexp_f32 v10, v10, v11
	v_mov_b32_e32 v11, v6
	v_cndmask_b32_e32 v9, 0x7f800000, v9, vcc_lo
	v_cmp_ngt_f32_e32 vcc_lo, 0xc2ce8ed0, v0
	v_cndmask_b32_e32 v10, 0, v10, vcc_lo
	v_cmp_le_f32_e32 vcc_lo, 0xc1a00000, v8
	v_cndmask_b32_e32 v8, 0, v9, vcc_lo
	v_cmp_nlt_f32_e32 vcc_lo, 0x42b17218, v0
	s_waitcnt vmcnt(1)
	v_mov_b32_e32 v9, v5
	v_cndmask_b32_e32 v5, 0x7f800000, v10, vcc_lo
	v_mul_f32_e32 v10, s11, v8
	v_cmp_le_f32_e32 vcc_lo, 0xc1a00000, v0
	v_mov_b32_e32 v0, v7
	v_mov_b32_e32 v6, v10
	v_cndmask_b32_e32 v12, 0, v5, vcc_lo
	v_fmac_f32_e32 v6, v11, v12
	s_waitcnt vmcnt(0)
	v_mul_f32_e32 v5, v4, v8
	v_fmac_f32_e32 v5, v9, v12
	s_cbranch_scc0 .LBB31_3
	s_branch .LBB31_5
.LBB31_4:
	s_waitcnt lgkmcnt(0)
	v_mov_b32_e32 v6, s11
.LBB31_5:
	s_waitcnt vmcnt(0)
	v_div_scale_f32 v0, null, v6, v6, v5
	v_rcp_f32_e32 v3, v0
	v_fma_f32 v4, -v0, v3, 1.0
	v_fmac_f32_e32 v3, v4, v3
	v_div_scale_f32 v4, vcc_lo, v5, v6, v5
	v_mul_f32_e32 v7, v4, v3
	v_fma_f32 v8, -v0, v7, v4
	v_fmac_f32_e32 v7, v8, v3
	v_fma_f32 v0, -v0, v7, v4
	v_div_fmas_f32 v0, v0, v3, v7
	v_div_fixup_f32 v0, v0, v6, v5
	global_store_dword v[1:2], v0, off
.LBB31_6:
	s_endpgm
	.section	.rodata,"a",@progbits
	.p2align	6, 0x0
	.amdhsa_kernel _ZL33flash_attn_stream_k_fixup_uniformILi72ELi1ELi4EEvPfPK15HIP_vector_typeIfLj2EEiiiiiiS1_IjLj3EES5_S5_
		.amdhsa_group_segment_fixed_size 0
		.amdhsa_private_segment_fixed_size 0
		.amdhsa_kernarg_size 76
		.amdhsa_user_sgpr_count 6
		.amdhsa_user_sgpr_private_segment_buffer 1
		.amdhsa_user_sgpr_dispatch_ptr 0
		.amdhsa_user_sgpr_queue_ptr 0
		.amdhsa_user_sgpr_kernarg_segment_ptr 1
		.amdhsa_user_sgpr_dispatch_id 0
		.amdhsa_user_sgpr_flat_scratch_init 0
		.amdhsa_user_sgpr_private_segment_size 0
		.amdhsa_wavefront_size32 1
		.amdhsa_uses_dynamic_stack 0
		.amdhsa_system_sgpr_private_segment_wavefront_offset 0
		.amdhsa_system_sgpr_workgroup_id_x 1
		.amdhsa_system_sgpr_workgroup_id_y 1
		.amdhsa_system_sgpr_workgroup_id_z 1
		.amdhsa_system_sgpr_workgroup_info 0
		.amdhsa_system_vgpr_workitem_id 0
		.amdhsa_next_free_vgpr 15
		.amdhsa_next_free_sgpr 24
		.amdhsa_reserve_vcc 1
		.amdhsa_reserve_flat_scratch 0
		.amdhsa_float_round_mode_32 0
		.amdhsa_float_round_mode_16_64 0
		.amdhsa_float_denorm_mode_32 3
		.amdhsa_float_denorm_mode_16_64 3
		.amdhsa_dx10_clamp 1
		.amdhsa_ieee_mode 1
		.amdhsa_fp16_overflow 0
		.amdhsa_workgroup_processor_mode 1
		.amdhsa_memory_ordered 1
		.amdhsa_forward_progress 1
		.amdhsa_shared_vgpr_count 0
		.amdhsa_exception_fp_ieee_invalid_op 0
		.amdhsa_exception_fp_denorm_src 0
		.amdhsa_exception_fp_ieee_div_zero 0
		.amdhsa_exception_fp_ieee_overflow 0
		.amdhsa_exception_fp_ieee_underflow 0
		.amdhsa_exception_fp_ieee_inexact 0
		.amdhsa_exception_int_div_zero 0
	.end_amdhsa_kernel
	.section	.text._ZL33flash_attn_stream_k_fixup_uniformILi72ELi1ELi4EEvPfPK15HIP_vector_typeIfLj2EEiiiiiiS1_IjLj3EES5_S5_,"axG",@progbits,_ZL33flash_attn_stream_k_fixup_uniformILi72ELi1ELi4EEvPfPK15HIP_vector_typeIfLj2EEiiiiiiS1_IjLj3EES5_S5_,comdat
.Lfunc_end31:
	.size	_ZL33flash_attn_stream_k_fixup_uniformILi72ELi1ELi4EEvPfPK15HIP_vector_typeIfLj2EEiiiiiiS1_IjLj3EES5_S5_, .Lfunc_end31-_ZL33flash_attn_stream_k_fixup_uniformILi72ELi1ELi4EEvPfPK15HIP_vector_typeIfLj2EEiiiiiiS1_IjLj3EES5_S5_
                                        ; -- End function
	.set _ZL33flash_attn_stream_k_fixup_uniformILi72ELi1ELi4EEvPfPK15HIP_vector_typeIfLj2EEiiiiiiS1_IjLj3EES5_S5_.num_vgpr, 15
	.set _ZL33flash_attn_stream_k_fixup_uniformILi72ELi1ELi4EEvPfPK15HIP_vector_typeIfLj2EEiiiiiiS1_IjLj3EES5_S5_.num_agpr, 0
	.set _ZL33flash_attn_stream_k_fixup_uniformILi72ELi1ELi4EEvPfPK15HIP_vector_typeIfLj2EEiiiiiiS1_IjLj3EES5_S5_.numbered_sgpr, 24
	.set _ZL33flash_attn_stream_k_fixup_uniformILi72ELi1ELi4EEvPfPK15HIP_vector_typeIfLj2EEiiiiiiS1_IjLj3EES5_S5_.num_named_barrier, 0
	.set _ZL33flash_attn_stream_k_fixup_uniformILi72ELi1ELi4EEvPfPK15HIP_vector_typeIfLj2EEiiiiiiS1_IjLj3EES5_S5_.private_seg_size, 0
	.set _ZL33flash_attn_stream_k_fixup_uniformILi72ELi1ELi4EEvPfPK15HIP_vector_typeIfLj2EEiiiiiiS1_IjLj3EES5_S5_.uses_vcc, 1
	.set _ZL33flash_attn_stream_k_fixup_uniformILi72ELi1ELi4EEvPfPK15HIP_vector_typeIfLj2EEiiiiiiS1_IjLj3EES5_S5_.uses_flat_scratch, 0
	.set _ZL33flash_attn_stream_k_fixup_uniformILi72ELi1ELi4EEvPfPK15HIP_vector_typeIfLj2EEiiiiiiS1_IjLj3EES5_S5_.has_dyn_sized_stack, 0
	.set _ZL33flash_attn_stream_k_fixup_uniformILi72ELi1ELi4EEvPfPK15HIP_vector_typeIfLj2EEiiiiiiS1_IjLj3EES5_S5_.has_recursion, 0
	.set _ZL33flash_attn_stream_k_fixup_uniformILi72ELi1ELi4EEvPfPK15HIP_vector_typeIfLj2EEiiiiiiS1_IjLj3EES5_S5_.has_indirect_call, 0
	.section	.AMDGPU.csdata,"",@progbits
; Kernel info:
; codeLenInByte = 836
; TotalNumSgprs: 26
; NumVgprs: 15
; ScratchSize: 0
; MemoryBound: 0
; FloatMode: 240
; IeeeMode: 1
; LDSByteSize: 0 bytes/workgroup (compile time only)
; SGPRBlocks: 0
; VGPRBlocks: 1
; NumSGPRsForWavesPerEU: 26
; NumVGPRsForWavesPerEU: 15
; Occupancy: 16
; WaveLimiterHint : 0
; COMPUTE_PGM_RSRC2:SCRATCH_EN: 0
; COMPUTE_PGM_RSRC2:USER_SGPR: 6
; COMPUTE_PGM_RSRC2:TRAP_HANDLER: 0
; COMPUTE_PGM_RSRC2:TGID_X_EN: 1
; COMPUTE_PGM_RSRC2:TGID_Y_EN: 1
; COMPUTE_PGM_RSRC2:TGID_Z_EN: 1
; COMPUTE_PGM_RSRC2:TIDIG_COMP_CNT: 0
	.section	.text._ZL33flash_attn_stream_k_fixup_generalILi72ELi1ELi4EEvPfPK15HIP_vector_typeIfLj2EEiiiiS1_IjLj3EES5_S5_S5_,"axG",@progbits,_ZL33flash_attn_stream_k_fixup_generalILi72ELi1ELi4EEvPfPK15HIP_vector_typeIfLj2EEiiiiS1_IjLj3EES5_S5_S5_,comdat
	.globl	_ZL33flash_attn_stream_k_fixup_generalILi72ELi1ELi4EEvPfPK15HIP_vector_typeIfLj2EEiiiiS1_IjLj3EES5_S5_S5_ ; -- Begin function _ZL33flash_attn_stream_k_fixup_generalILi72ELi1ELi4EEvPfPK15HIP_vector_typeIfLj2EEiiiiS1_IjLj3EES5_S5_S5_
	.p2align	8
	.type	_ZL33flash_attn_stream_k_fixup_generalILi72ELi1ELi4EEvPfPK15HIP_vector_typeIfLj2EEiiiiS1_IjLj3EES5_S5_S5_,@function
_ZL33flash_attn_stream_k_fixup_generalILi72ELi1ELi4EEvPfPK15HIP_vector_typeIfLj2EEiiiiS1_IjLj3EES5_S5_S5_: ; @_ZL33flash_attn_stream_k_fixup_generalILi72ELi1ELi4EEvPfPK15HIP_vector_typeIfLj2EEiiiiS1_IjLj3EES5_S5_S5_
; %bb.0:
	s_clause 0x1
	s_load_dwordx4 s[0:3], s[4:5], 0x10
	s_load_dword s9, s[4:5], 0x50
	s_mov_b32 s16, 0
	s_waitcnt lgkmcnt(0)
	s_mul_hi_i32 s17, s3, s6
	s_mul_i32 s18, s3, s6
	s_cmp_lg_u64 s[16:17], 0
	s_cbranch_scc0 .LBB32_21
; %bb.1:
	s_add_u32 s10, s9, 0
	s_addc_u32 s11, 0, 0
	s_xor_b64 s[10:11], s[10:11], 0
	v_cvt_f32_u32_e32 v1, s10
	v_cvt_f32_u32_e32 v2, s11
	s_sub_u32 s14, 0, s10
	s_subb_u32 s15, 0, s11
	v_fmamk_f32 v1, v2, 0x4f800000, v1
	v_rcp_f32_e32 v1, v1
	v_mul_f32_e32 v1, 0x5f7ffffc, v1
	v_mul_f32_e32 v2, 0x2f800000, v1
	v_trunc_f32_e32 v2, v2
	v_fmamk_f32 v1, v2, 0xcf800000, v1
	v_cvt_u32_f32_e32 v2, v2
	v_cvt_u32_f32_e32 v1, v1
	v_readfirstlane_b32 s12, v2
	v_readfirstlane_b32 s13, v1
	s_mul_i32 s19, s14, s12
	s_mul_hi_u32 s21, s14, s13
	s_mul_i32 s20, s15, s13
	s_add_i32 s19, s21, s19
	s_mul_i32 s22, s14, s13
	s_add_i32 s19, s19, s20
	s_mul_hi_u32 s21, s13, s22
	s_mul_i32 s24, s13, s19
	s_mul_hi_u32 s23, s12, s22
	s_mul_i32 s20, s12, s22
	s_mul_hi_u32 s22, s13, s19
	s_add_u32 s21, s21, s24
	s_addc_u32 s22, 0, s22
	s_mul_hi_u32 s25, s12, s19
	s_add_u32 s20, s21, s20
	s_mul_i32 s19, s12, s19
	s_addc_u32 s20, s22, s23
	s_addc_u32 s21, s25, 0
	s_add_u32 s19, s20, s19
	s_addc_u32 s20, 0, s21
	s_add_u32 s13, s13, s19
	s_cselect_b32 s19, -1, 0
	s_mul_hi_u32 s21, s14, s13
	s_cmp_lg_u32 s19, 0
	s_mul_i32 s19, s14, s13
	s_addc_u32 s12, s12, s20
	s_mul_i32 s15, s15, s13
	s_mul_i32 s14, s14, s12
	s_mul_hi_u32 s20, s13, s19
	s_add_i32 s14, s21, s14
	s_mul_hi_u32 s21, s12, s19
	s_add_i32 s14, s14, s15
	s_mul_i32 s15, s12, s19
	s_mul_i32 s23, s13, s14
	s_mul_hi_u32 s22, s13, s14
	s_add_u32 s20, s20, s23
	s_addc_u32 s22, 0, s22
	s_mul_hi_u32 s19, s12, s14
	s_add_u32 s15, s20, s15
	s_mul_i32 s14, s12, s14
	s_addc_u32 s15, s22, s21
	s_addc_u32 s19, s19, 0
	s_add_u32 s14, s15, s14
	s_addc_u32 s15, 0, s19
	s_add_u32 s19, s13, s14
	s_cselect_b32 s13, -1, 0
	s_cmp_lg_u32 s13, 0
	s_addc_u32 s20, s12, s15
	s_ashr_i32 s12, s17, 31
	s_add_u32 s14, s18, s12
	s_mov_b32 s13, s12
	s_addc_u32 s15, s17, s12
	s_xor_b64 s[14:15], s[14:15], s[12:13]
	s_mul_i32 s21, s14, s20
	s_mul_hi_u32 s22, s14, s19
	s_mul_hi_u32 s17, s14, s20
	;; [unrolled: 1-line block ×3, first 2 shown]
	s_mul_i32 s19, s15, s19
	s_add_u32 s21, s22, s21
	s_addc_u32 s17, 0, s17
	s_mul_hi_u32 s23, s15, s20
	s_add_u32 s19, s21, s19
	s_mul_i32 s20, s15, s20
	s_addc_u32 s17, s17, s24
	s_addc_u32 s19, s23, 0
	s_add_u32 s17, s17, s20
	s_addc_u32 s19, 0, s19
	s_mul_hi_u32 s20, s10, s17
	s_mul_i32 s21, s10, s19
	s_mul_i32 s22, s11, s17
	s_add_i32 s20, s20, s21
	s_mul_i32 s21, s10, s17
	s_add_i32 s20, s20, s22
	s_sub_i32 s22, s15, s20
	s_sub_u32 s14, s14, s21
	s_cselect_b32 s21, -1, 0
	s_cmp_lg_u32 s21, 0
	s_subb_u32 s22, s22, s11
	s_sub_u32 s23, s14, s10
	s_cselect_b32 s24, -1, 0
	s_cmp_lg_u32 s24, 0
	s_subb_u32 s22, s22, 0
	s_cmp_ge_u32 s22, s11
	s_cselect_b32 s24, -1, 0
	s_cmp_ge_u32 s23, s10
	s_cselect_b32 s23, -1, 0
	s_cmp_eq_u32 s22, s11
	s_cselect_b32 s22, s23, s24
	s_add_u32 s23, s17, 1
	s_addc_u32 s24, s19, 0
	s_add_u32 s25, s17, 2
	s_addc_u32 s26, s19, 0
	s_cmp_lg_u32 s22, 0
	s_cselect_b32 s22, s25, s23
	s_cselect_b32 s23, s26, s24
	s_cmp_lg_u32 s21, 0
	s_subb_u32 s15, s15, s20
	s_cmp_ge_u32 s15, s11
	s_cselect_b32 s20, -1, 0
	s_cmp_ge_u32 s14, s10
	s_cselect_b32 s10, -1, 0
	s_cmp_eq_u32 s15, s11
	s_cselect_b32 s10, s10, s20
	s_cmp_lg_u32 s10, 0
	s_cselect_b32 s11, s23, s19
	s_cselect_b32 s10, s22, s17
	s_xor_b64 s[12:13], s[12:13], 0
	s_xor_b64 s[10:11], s[10:11], s[12:13]
	s_sub_u32 s10, s10, s12
	s_load_dwordx4 s[12:15], s[4:5], 0x44
	s_andn2_b32 vcc_lo, exec_lo, s16
	s_cbranch_vccnz .LBB32_3
.LBB32_2:
	v_cvt_f32_u32_e32 v1, s9
	s_sub_i32 s11, 0, s9
	v_rcp_iflag_f32_e32 v1, v1
	v_mul_f32_e32 v1, 0x4f7ffffe, v1
	v_cvt_u32_f32_e32 v1, v1
	v_readfirstlane_b32 s10, v1
	s_mul_i32 s11, s11, s10
	s_mul_hi_u32 s11, s10, s11
	s_add_i32 s10, s10, s11
	s_mul_hi_u32 s10, s18, s10
	s_mul_i32 s11, s10, s9
	s_waitcnt lgkmcnt(0)
	s_add_i32 s15, s10, 1
	s_sub_i32 s11, s18, s11
	s_sub_i32 s16, s11, s9
	s_cmp_ge_u32 s11, s9
	s_cselect_b32 s10, s15, s10
	s_cselect_b32 s11, s16, s11
	s_add_i32 s15, s10, 1
	s_cmp_ge_u32 s11, s9
	s_cselect_b32 s10, s15, s10
.LBB32_3:
	s_add_i32 s11, s6, 1
	s_mov_b32 s16, 0
	s_mul_hi_i32 s17, s3, s11
	s_mul_i32 s11, s3, s11
	s_cmp_lg_u64 s[16:17], 0
	s_cbranch_scc0 .LBB32_22
; %bb.4:
	s_add_u32 s18, s9, 0
	s_addc_u32 s19, 0, 0
	s_xor_b64 s[18:19], s[18:19], 0
	v_cvt_f32_u32_e32 v1, s18
	v_cvt_f32_u32_e32 v2, s19
	s_sub_u32 s21, 0, s18
	s_subb_u32 s22, 0, s19
	v_fmamk_f32 v1, v2, 0x4f800000, v1
	v_rcp_f32_e32 v1, v1
	v_mul_f32_e32 v1, 0x5f7ffffc, v1
	v_mul_f32_e32 v2, 0x2f800000, v1
	v_trunc_f32_e32 v2, v2
	v_fmamk_f32 v1, v2, 0xcf800000, v1
	v_cvt_u32_f32_e32 v2, v2
	v_cvt_u32_f32_e32 v1, v1
	s_waitcnt lgkmcnt(0)
	v_readfirstlane_b32 s15, v2
	v_readfirstlane_b32 s20, v1
	s_mul_i32 s23, s21, s15
	s_mul_hi_u32 s25, s21, s20
	s_mul_i32 s24, s22, s20
	s_add_i32 s23, s25, s23
	s_mul_i32 s26, s21, s20
	s_add_i32 s23, s23, s24
	s_mul_hi_u32 s25, s20, s26
	s_mul_i32 s28, s20, s23
	s_mul_hi_u32 s27, s15, s26
	s_mul_i32 s24, s15, s26
	s_mul_hi_u32 s26, s20, s23
	s_add_u32 s25, s25, s28
	s_addc_u32 s26, 0, s26
	s_mul_hi_u32 s29, s15, s23
	s_add_u32 s24, s25, s24
	s_mul_i32 s23, s15, s23
	s_addc_u32 s24, s26, s27
	s_addc_u32 s25, s29, 0
	s_add_u32 s23, s24, s23
	s_addc_u32 s24, 0, s25
	s_add_u32 s20, s20, s23
	s_cselect_b32 s23, -1, 0
	s_mul_hi_u32 s25, s21, s20
	s_cmp_lg_u32 s23, 0
	s_mul_i32 s23, s21, s20
	s_addc_u32 s15, s15, s24
	s_mul_i32 s22, s22, s20
	s_mul_i32 s21, s21, s15
	s_mul_hi_u32 s24, s20, s23
	s_add_i32 s21, s25, s21
	s_mul_hi_u32 s25, s15, s23
	s_add_i32 s21, s21, s22
	s_mul_i32 s22, s15, s23
	s_mul_i32 s27, s20, s21
	s_mul_hi_u32 s26, s20, s21
	s_add_u32 s24, s24, s27
	s_addc_u32 s26, 0, s26
	s_mul_hi_u32 s23, s15, s21
	s_add_u32 s22, s24, s22
	s_mul_i32 s21, s15, s21
	s_addc_u32 s22, s26, s25
	s_addc_u32 s23, s23, 0
	s_add_u32 s21, s22, s21
	s_addc_u32 s22, 0, s23
	s_add_u32 s24, s20, s21
	s_cselect_b32 s20, -1, 0
	s_cmp_lg_u32 s20, 0
	s_addc_u32 s15, s15, s22
	s_ashr_i32 s20, s17, 31
	s_add_u32 s22, s11, s20
	s_mov_b32 s21, s20
	s_addc_u32 s23, s17, s20
	s_xor_b64 s[22:23], s[22:23], s[20:21]
	s_mul_i32 s25, s22, s15
	s_mul_hi_u32 s26, s22, s24
	s_mul_hi_u32 s17, s22, s15
	;; [unrolled: 1-line block ×3, first 2 shown]
	s_mul_i32 s24, s23, s24
	s_add_u32 s25, s26, s25
	s_addc_u32 s17, 0, s17
	s_mul_hi_u32 s27, s23, s15
	s_add_u32 s24, s25, s24
	s_mul_i32 s15, s23, s15
	s_addc_u32 s17, s17, s28
	s_addc_u32 s24, s27, 0
	s_add_u32 s15, s17, s15
	s_addc_u32 s17, 0, s24
	s_mul_hi_u32 s24, s18, s15
	s_mul_i32 s25, s18, s17
	s_mul_i32 s26, s19, s15
	s_add_i32 s24, s24, s25
	s_mul_i32 s25, s18, s15
	s_add_i32 s24, s24, s26
	s_sub_i32 s26, s23, s24
	s_sub_u32 s22, s22, s25
	s_cselect_b32 s25, -1, 0
	s_cmp_lg_u32 s25, 0
	s_subb_u32 s26, s26, s19
	s_sub_u32 s27, s22, s18
	s_cselect_b32 s28, -1, 0
	s_cmp_lg_u32 s28, 0
	s_subb_u32 s26, s26, 0
	s_cmp_ge_u32 s26, s19
	s_cselect_b32 s28, -1, 0
	s_cmp_ge_u32 s27, s18
	s_cselect_b32 s27, -1, 0
	s_cmp_eq_u32 s26, s19
	s_cselect_b32 s26, s27, s28
	s_add_u32 s27, s15, 1
	s_addc_u32 s28, s17, 0
	s_add_u32 s29, s15, 2
	s_addc_u32 s30, s17, 0
	s_cmp_lg_u32 s26, 0
	s_cselect_b32 s26, s29, s27
	s_cselect_b32 s27, s30, s28
	s_cmp_lg_u32 s25, 0
	s_subb_u32 s23, s23, s24
	s_cmp_ge_u32 s23, s19
	s_cselect_b32 s24, -1, 0
	s_cmp_ge_u32 s22, s18
	s_cselect_b32 s18, -1, 0
	s_cmp_eq_u32 s23, s19
	s_cselect_b32 s18, s18, s24
	s_cmp_lg_u32 s18, 0
	s_cselect_b32 s19, s27, s17
	s_cselect_b32 s18, s26, s15
	s_xor_b64 s[20:21], s[20:21], 0
	s_xor_b64 s[18:19], s[18:19], s[20:21]
	s_sub_u32 s18, s18, s20
	s_andn2_b32 vcc_lo, exec_lo, s16
	s_cbranch_vccnz .LBB32_6
.LBB32_5:
	v_cvt_f32_u32_e32 v1, s9
	s_sub_i32 s16, 0, s9
	v_rcp_iflag_f32_e32 v1, v1
	v_mul_f32_e32 v1, 0x4f7ffffe, v1
	v_cvt_u32_f32_e32 v1, v1
	s_waitcnt lgkmcnt(0)
	v_readfirstlane_b32 s15, v1
	s_mul_i32 s16, s16, s15
	s_mul_hi_u32 s16, s15, s16
	s_add_i32 s15, s15, s16
	s_mul_hi_u32 s15, s11, s15
	s_mul_i32 s16, s15, s9
	s_sub_i32 s11, s11, s16
	s_add_i32 s16, s15, 1
	s_sub_i32 s17, s11, s9
	s_cmp_ge_u32 s11, s9
	s_cselect_b32 s15, s16, s15
	s_cselect_b32 s11, s17, s11
	s_add_i32 s16, s15, 1
	s_cmp_ge_u32 s11, s9
	s_cselect_b32 s18, s16, s15
.LBB32_6:
	s_cmp_eq_u32 s10, s18
	s_waitcnt lgkmcnt(0)
	s_mul_hi_u32 s11, s10, s12
	s_cselect_b32 s15, -1, 0
	s_add_i32 s11, s11, s10
	s_lshr_b32 s11, s11, s13
	s_mul_i32 s16, s11, s14
	s_cmp_eq_u32 s16, s10
	s_mul_hi_u32 s16, s18, s12
	s_cselect_b32 s17, -1, 0
	s_add_i32 s16, s16, s18
	s_lshr_b32 s16, s16, s13
	s_cmp_eq_u32 s11, s16
	s_mul_i32 s16, s16, s14
	s_cselect_b32 s19, -1, 0
	s_cmp_lg_u32 s16, s18
	s_cselect_b32 s16, -1, 0
	s_or_b32 s15, s15, s17
	s_and_b32 s16, s19, s16
	s_or_b32 s15, s15, s16
	s_and_b32 vcc_lo, exec_lo, s15
	s_cbranch_vccnz .LBB32_24
; %bb.7:
	s_load_dwordx8 s[16:23], s[4:5], 0x20
	s_waitcnt lgkmcnt(0)
	s_mul_hi_u32 s15, s10, s16
	s_load_dword s16, s[4:5], 0x40
	s_add_i32 s15, s15, s10
	s_lshr_b32 s15, s15, s17
	s_mul_i32 s17, s15, s18
	s_sub_i32 s17, s10, s17
	s_mul_hi_u32 s18, s17, s19
	s_add_i32 s18, s17, s18
	s_lshr_b32 s20, s18, s20
	s_mul_i32 s18, s20, s21
	s_sub_i32 s17, s17, s18
	s_mul_hi_u32 s18, s17, s22
	s_add_i32 s18, s17, s18
	s_lshr_b32 s18, s18, s23
	s_waitcnt lgkmcnt(0)
	s_mul_i32 s16, s18, s16
	s_lshl_b32 s22, s18, 2
	s_sub_i32 s16, s17, s16
	s_mul_hi_u32 s17, s16, s12
	s_add_i32 s16, s16, s17
	s_lshr_b32 s21, s16, s13
	s_add_i32 s21, s21, s7
	s_cmp_lt_i32 s21, s0
	s_cselect_b32 s16, -1, 0
	s_add_i32 s22, s22, s8
	s_cmp_lt_i32 s22, s2
	s_cselect_b32 s17, -1, 0
	s_and_b32 s16, s16, s17
	s_andn2_b32 vcc_lo, exec_lo, s16
	s_cbranch_vccnz .LBB32_24
; %bb.8:
	s_load_dwordx4 s[16:19], s[4:5], 0x0
	s_mov_b32 s4, 0
	s_lshl_b32 s24, s9, 4
	s_mov_b32 s25, s4
	s_lshl_b32 s5, s7, 2
	s_lshl_b64 s[24:25], s[24:25], 2
	s_mul_i32 s0, s15, s0
	s_add_i32 s5, s5, s8
	s_mul_i32 s20, s20, s2
	v_cvt_f32_u32_e32 v3, s9
	v_rcp_iflag_f32_e32 v3, v3
	s_waitcnt lgkmcnt(0)
	s_add_u32 s2, s18, s24
	s_addc_u32 s15, s19, s25
	s_add_i32 s0, s21, s0
	s_add_i32 s20, s22, s20
	s_mul_i32 s0, s0, s1
	v_mul_f32_e32 v7, 0x4f7ffffe, v3
	s_add_i32 s20, s20, s0
	s_add_i32 s0, s7, s6
	v_mad_u64_u32 v[1:2], null, 0x48, s20, v[0:1]
	s_lshl_b32 s0, s0, 2
	s_add_i32 s0, s0, s8
	s_ashr_i32 s1, s0, 31
	v_ashrrev_i32_e32 v2, 31, v1
	s_lshl_b64 s[0:1], s[0:1], 3
	s_add_u32 s0, s18, s0
	s_addc_u32 s1, s19, s1
	v_lshlrev_b64 v[1:2], 2, v[1:2]
	s_load_dwordx2 s[0:1], s[0:1], 0x0
	v_add_co_u32 v1, vcc_lo, s16, v1
	v_add_co_ci_u32_e64 v2, null, s17, v2, vcc_lo
	s_add_i32 s17, s6, -1
	v_mad_u64_u32 v[3:4], null, 0x48, s5, v[0:1]
	global_load_dword v5, v[1:2], off
	v_cvt_u32_f32_e32 v0, v7
	s_add_i32 s16, s9, s7
	s_waitcnt lgkmcnt(0)
	v_mov_b32_e32 v4, s1
	v_mov_b32_e32 v6, s0
.LBB32_9:                               ; =>This Inner Loop Header: Depth=1
	s_mul_hi_i32 s5, s17, s3
	s_mul_i32 s6, s17, s3
	s_cmp_lg_u64 s[4:5], 0
	s_mov_b32 s7, -1
                                        ; implicit-def: $sgpr0_sgpr1
	s_cbranch_scc0 .LBB32_11
; %bb.10:                               ;   in Loop: Header=BB32_9 Depth=1
	s_add_u32 s0, s9, 0
	s_addc_u32 s1, 0, 0
	s_xor_b64 s[0:1], s[0:1], 0
	v_cvt_f32_u32_e32 v7, s0
	v_cvt_f32_u32_e32 v8, s1
	s_sub_u32 s21, 0, s0
	s_subb_u32 s22, 0, s1
	v_fmac_f32_e32 v7, 0x4f800000, v8
	v_rcp_f32_e32 v7, v7
	v_mul_f32_e32 v7, 0x5f7ffffc, v7
	v_mul_f32_e32 v8, 0x2f800000, v7
	v_trunc_f32_e32 v8, v8
	v_fmac_f32_e32 v7, 0xcf800000, v8
	v_cvt_u32_f32_e32 v8, v8
	v_cvt_u32_f32_e32 v7, v7
	v_readfirstlane_b32 s7, v8
	v_readfirstlane_b32 s20, v7
	s_mul_i32 s23, s21, s7
	s_mul_hi_u32 s25, s21, s20
	s_mul_i32 s24, s22, s20
	s_add_i32 s23, s25, s23
	s_mul_i32 s26, s21, s20
	s_add_i32 s23, s23, s24
	s_mul_hi_u32 s25, s20, s26
	s_mul_i32 s28, s20, s23
	s_mul_hi_u32 s27, s7, s26
	s_mul_i32 s24, s7, s26
	s_mul_hi_u32 s26, s20, s23
	s_add_u32 s25, s25, s28
	s_addc_u32 s26, 0, s26
	s_mul_hi_u32 s29, s7, s23
	s_add_u32 s24, s25, s24
	s_mul_i32 s23, s7, s23
	s_addc_u32 s24, s26, s27
	s_addc_u32 s25, s29, 0
	s_add_u32 s23, s24, s23
	s_addc_u32 s24, 0, s25
	s_add_u32 s20, s20, s23
	s_cselect_b32 s23, -1, 0
	s_mul_hi_u32 s25, s21, s20
	s_cmp_lg_u32 s23, 0
	s_mul_i32 s23, s21, s20
	s_addc_u32 s7, s7, s24
	s_mul_i32 s22, s22, s20
	s_mul_i32 s21, s21, s7
	s_mul_hi_u32 s24, s20, s23
	s_add_i32 s21, s25, s21
	s_mul_hi_u32 s25, s7, s23
	s_add_i32 s21, s21, s22
	s_mul_i32 s22, s7, s23
	s_mul_i32 s27, s20, s21
	s_mul_hi_u32 s26, s20, s21
	s_add_u32 s24, s24, s27
	s_addc_u32 s26, 0, s26
	s_mul_hi_u32 s23, s7, s21
	s_add_u32 s22, s24, s22
	s_mul_i32 s21, s7, s21
	s_addc_u32 s22, s26, s25
	s_addc_u32 s23, s23, 0
	s_add_u32 s21, s22, s21
	s_addc_u32 s22, 0, s23
	s_add_u32 s24, s20, s21
	s_cselect_b32 s20, -1, 0
	s_cmp_lg_u32 s20, 0
	s_addc_u32 s7, s7, s22
	s_ashr_i32 s20, s5, 31
	s_add_u32 s22, s6, s20
	s_mov_b32 s21, s20
	s_addc_u32 s23, s5, s20
	s_xor_b64 s[22:23], s[22:23], s[20:21]
	s_mul_i32 s25, s22, s7
	s_mul_hi_u32 s26, s22, s24
	s_mul_hi_u32 s5, s22, s7
	;; [unrolled: 1-line block ×3, first 2 shown]
	s_mul_i32 s24, s23, s24
	s_add_u32 s25, s26, s25
	s_addc_u32 s5, 0, s5
	s_mul_hi_u32 s27, s23, s7
	s_add_u32 s24, s25, s24
	s_mul_i32 s7, s23, s7
	s_addc_u32 s5, s5, s28
	s_addc_u32 s24, s27, 0
	s_add_u32 s5, s5, s7
	s_addc_u32 s7, 0, s24
	s_mul_hi_u32 s24, s0, s5
	s_mul_i32 s25, s0, s7
	s_mul_i32 s26, s1, s5
	s_add_i32 s24, s24, s25
	s_mul_i32 s25, s0, s5
	s_add_i32 s24, s24, s26
	s_sub_i32 s26, s23, s24
	s_sub_u32 s22, s22, s25
	s_cselect_b32 s25, -1, 0
	s_cmp_lg_u32 s25, 0
	s_subb_u32 s26, s26, s1
	s_sub_u32 s27, s22, s0
	s_cselect_b32 s28, -1, 0
	s_cmp_lg_u32 s28, 0
	s_subb_u32 s26, s26, 0
	s_cmp_ge_u32 s26, s1
	s_cselect_b32 s28, -1, 0
	s_cmp_ge_u32 s27, s0
	s_cselect_b32 s27, -1, 0
	s_cmp_eq_u32 s26, s1
	s_cselect_b32 s26, s27, s28
	s_add_u32 s27, s5, 1
	s_addc_u32 s28, s7, 0
	s_add_u32 s29, s5, 2
	s_addc_u32 s30, s7, 0
	s_cmp_lg_u32 s26, 0
	s_cselect_b32 s26, s29, s27
	s_cselect_b32 s27, s30, s28
	s_cmp_lg_u32 s25, 0
	s_subb_u32 s23, s23, s24
	s_cmp_ge_u32 s23, s1
	s_cselect_b32 s24, -1, 0
	s_cmp_ge_u32 s22, s0
	s_cselect_b32 s0, -1, 0
	s_cmp_eq_u32 s23, s1
	s_cselect_b32 s0, s0, s24
	s_cmp_lg_u32 s0, 0
	s_cselect_b32 s1, s27, s7
	s_cselect_b32 s0, s26, s5
	s_xor_b64 s[20:21], s[20:21], 0
	s_mov_b32 s7, 0
	s_xor_b64 s[0:1], s[0:1], s[20:21]
	s_sub_u32 s0, s0, s20
.LBB32_11:                              ;   in Loop: Header=BB32_9 Depth=1
	s_andn2_b32 vcc_lo, exec_lo, s7
	s_cbranch_vccnz .LBB32_13
; %bb.12:                               ;   in Loop: Header=BB32_9 Depth=1
	v_readfirstlane_b32 s0, v0
	s_sub_i32 s1, 0, s9
	s_mul_i32 s1, s1, s0
	s_mul_hi_u32 s1, s0, s1
	s_add_i32 s0, s0, s1
	s_mul_hi_u32 s0, s6, s0
	s_mul_i32 s1, s0, s9
	s_add_i32 s5, s0, 1
	s_sub_i32 s1, s6, s1
	s_sub_i32 s6, s1, s9
	s_cmp_ge_u32 s1, s9
	s_cselect_b32 s0, s5, s0
	s_cselect_b32 s1, s6, s1
	s_add_i32 s5, s0, 1
	s_cmp_ge_u32 s1, s9
	s_cselect_b32 s0, s5, s0
.LBB32_13:                              ;   in Loop: Header=BB32_9 Depth=1
	s_cmp_lg_u32 s10, s0
	s_mov_b32 s6, -1
                                        ; implicit-def: $sgpr5
                                        ; implicit-def: $vgpr8
                                        ; implicit-def: $vgpr7
                                        ; implicit-def: $vgpr9
                                        ; implicit-def: $sgpr1
                                        ; implicit-def: $sgpr20
	s_cbranch_scc0 .LBB32_18
; %bb.14:                               ;   in Loop: Header=BB32_9 Depth=1
	s_add_i32 s1, s16, s17
	s_mov_b32 s7, s4
	s_lshl_b32 s1, s1, 2
	s_mov_b32 s20, s10
	s_add_i32 s6, s1, s8
	s_mul_hi_u32 s1, s0, s12
	s_lshl_b64 s[6:7], s[6:7], 3
	s_add_u32 s6, s18, s6
	s_addc_u32 s7, s19, s7
	s_add_i32 s1, s1, s0
	s_lshr_b32 s1, s1, s13
	s_mul_i32 s5, s1, s14
	s_cmp_eq_u32 s5, s0
	s_cselect_b32 s5, -1, 0
	s_cmp_lt_u32 s1, s11
	s_cselect_b32 s1, -1, 0
	s_or_b32 s1, s1, s5
	s_mov_b32 s5, -1
	s_and_b32 vcc_lo, exec_lo, s1
	s_mov_b32 s1, s17
	s_cbranch_vccnz .LBB32_16
; %bb.15:                               ;   in Loop: Header=BB32_9 Depth=1
	s_add_i32 s1, s17, -1
	s_mov_b32 s5, 0
	s_mov_b32 s20, s0
.LBB32_16:                              ;   in Loop: Header=BB32_9 Depth=1
	v_mad_u64_u32 v[7:8], null, 0x120, s17, v[3:4]
	s_load_dwordx2 s[6:7], s[6:7], 0x0
	v_ashrrev_i32_e32 v8, 31, v7
	v_lshlrev_b64 v[7:8], 2, v[7:8]
	v_add_co_u32 v7, vcc_lo, s2, v7
	v_add_co_ci_u32_e64 v8, null, s15, v8, vcc_lo
	s_waitcnt lgkmcnt(0)
	v_max_f32_e64 v9, s6, s6
	global_load_dword v8, v[7:8], off
	v_max_f32_e32 v7, v6, v6
	v_max_f32_e32 v7, v7, v9
	v_sub_f32_e32 v9, s6, v7
	v_sub_f32_e32 v10, v6, v7
	v_mul_f32_e32 v11, 0x3fb8aa3b, v9
	v_mul_f32_e32 v12, 0x3fb8aa3b, v10
	v_cmp_ngt_f32_e32 vcc_lo, 0xc2ce8ed0, v9
	v_fma_f32 v13, 0x3fb8aa3b, v9, -v11
	v_rndne_f32_e32 v14, v11
	v_fma_f32 v15, 0x3fb8aa3b, v10, -v12
	v_rndne_f32_e32 v16, v12
	v_fmac_f32_e32 v13, 0x32a5705f, v9
	v_sub_f32_e32 v11, v11, v14
	v_fmac_f32_e32 v15, 0x32a5705f, v10
	v_sub_f32_e32 v12, v12, v16
	v_add_f32_e32 v11, v11, v13
	v_cvt_i32_f32_e32 v13, v14
	v_add_f32_e32 v12, v12, v15
	v_cvt_i32_f32_e32 v14, v16
	v_exp_f32_e32 v11, v11
	v_exp_f32_e32 v12, v12
	v_ldexp_f32 v11, v11, v13
	v_ldexp_f32 v12, v12, v14
	v_cndmask_b32_e32 v11, 0, v11, vcc_lo
	v_cmp_ngt_f32_e32 vcc_lo, 0xc2ce8ed0, v10
	v_cndmask_b32_e32 v12, 0, v12, vcc_lo
	v_cmp_nlt_f32_e32 vcc_lo, 0x42b17218, v9
	v_cndmask_b32_e32 v11, 0x7f800000, v11, vcc_lo
	v_cmp_nlt_f32_e32 vcc_lo, 0x42b17218, v10
	v_cndmask_b32_e32 v12, 0x7f800000, v12, vcc_lo
	v_cmp_le_f32_e32 vcc_lo, 0xc1a00000, v9
	v_cndmask_b32_e32 v9, 0, v11, vcc_lo
	v_cmp_le_f32_e32 vcc_lo, 0xc1a00000, v10
	v_cndmask_b32_e32 v10, 0, v12, vcc_lo
	s_waitcnt vmcnt(0)
	v_mul_f32_e32 v8, v8, v9
	v_mul_f32_e32 v9, s7, v9
	v_fmac_f32_e32 v8, v5, v10
	v_fmac_f32_e32 v9, v4, v10
	s_cbranch_execz .LBB32_19
.LBB32_17:                              ;   in Loop: Header=BB32_9 Depth=1
	s_andn2_b32 vcc_lo, exec_lo, s5
	s_cbranch_vccnz .LBB32_20
	s_branch .LBB32_23
.LBB32_18:                              ;   in Loop: Header=BB32_9 Depth=1
	s_andn2_b32 vcc_lo, exec_lo, s6
	s_cbranch_vccnz .LBB32_17
.LBB32_19:                              ;   in Loop: Header=BB32_9 Depth=1
	v_mov_b32_e32 v9, v4
	v_mov_b32_e32 v7, v6
	s_waitcnt vmcnt(0)
	v_mov_b32_e32 v8, v5
	s_add_i32 s1, s17, -1
	s_mov_b32 s20, s10
	s_cbranch_execz .LBB32_23
.LBB32_20:                              ;   in Loop: Header=BB32_9 Depth=1
	v_mov_b32_e32 v4, v9
	v_mov_b32_e32 v6, v7
	s_waitcnt vmcnt(0)
	v_mov_b32_e32 v5, v8
	s_mov_b32 s10, s20
	s_mov_b32 s17, s1
	s_branch .LBB32_9
.LBB32_21:
                                        ; implicit-def: $sgpr10_sgpr11
	s_load_dwordx4 s[12:15], s[4:5], 0x44
	s_branch .LBB32_2
.LBB32_22:
                                        ; implicit-def: $sgpr18_sgpr19
	s_branch .LBB32_5
.LBB32_23:
	v_div_scale_f32 v0, null, v9, v9, v8
	v_rcp_f32_e32 v3, v0
	v_fma_f32 v4, -v0, v3, 1.0
	v_fmac_f32_e32 v3, v4, v3
	v_div_scale_f32 v4, vcc_lo, v8, v9, v8
	s_waitcnt vmcnt(0)
	v_mul_f32_e32 v5, v4, v3
	v_fma_f32 v6, -v0, v5, v4
	v_fmac_f32_e32 v5, v6, v3
	v_fma_f32 v0, -v0, v5, v4
	v_div_fmas_f32 v0, v0, v3, v5
	v_div_fixup_f32 v0, v0, v9, v8
	global_store_dword v[1:2], v0, off
.LBB32_24:
	s_endpgm
	.section	.rodata,"a",@progbits
	.p2align	6, 0x0
	.amdhsa_kernel _ZL33flash_attn_stream_k_fixup_generalILi72ELi1ELi4EEvPfPK15HIP_vector_typeIfLj2EEiiiiS1_IjLj3EES5_S5_S5_
		.amdhsa_group_segment_fixed_size 0
		.amdhsa_private_segment_fixed_size 0
		.amdhsa_kernarg_size 336
		.amdhsa_user_sgpr_count 6
		.amdhsa_user_sgpr_private_segment_buffer 1
		.amdhsa_user_sgpr_dispatch_ptr 0
		.amdhsa_user_sgpr_queue_ptr 0
		.amdhsa_user_sgpr_kernarg_segment_ptr 1
		.amdhsa_user_sgpr_dispatch_id 0
		.amdhsa_user_sgpr_flat_scratch_init 0
		.amdhsa_user_sgpr_private_segment_size 0
		.amdhsa_wavefront_size32 1
		.amdhsa_uses_dynamic_stack 0
		.amdhsa_system_sgpr_private_segment_wavefront_offset 0
		.amdhsa_system_sgpr_workgroup_id_x 1
		.amdhsa_system_sgpr_workgroup_id_y 1
		.amdhsa_system_sgpr_workgroup_id_z 1
		.amdhsa_system_sgpr_workgroup_info 0
		.amdhsa_system_vgpr_workitem_id 0
		.amdhsa_next_free_vgpr 17
		.amdhsa_next_free_sgpr 31
		.amdhsa_reserve_vcc 1
		.amdhsa_reserve_flat_scratch 0
		.amdhsa_float_round_mode_32 0
		.amdhsa_float_round_mode_16_64 0
		.amdhsa_float_denorm_mode_32 3
		.amdhsa_float_denorm_mode_16_64 3
		.amdhsa_dx10_clamp 1
		.amdhsa_ieee_mode 1
		.amdhsa_fp16_overflow 0
		.amdhsa_workgroup_processor_mode 1
		.amdhsa_memory_ordered 1
		.amdhsa_forward_progress 1
		.amdhsa_shared_vgpr_count 0
		.amdhsa_exception_fp_ieee_invalid_op 0
		.amdhsa_exception_fp_denorm_src 0
		.amdhsa_exception_fp_ieee_div_zero 0
		.amdhsa_exception_fp_ieee_overflow 0
		.amdhsa_exception_fp_ieee_underflow 0
		.amdhsa_exception_fp_ieee_inexact 0
		.amdhsa_exception_int_div_zero 0
	.end_amdhsa_kernel
	.section	.text._ZL33flash_attn_stream_k_fixup_generalILi72ELi1ELi4EEvPfPK15HIP_vector_typeIfLj2EEiiiiS1_IjLj3EES5_S5_S5_,"axG",@progbits,_ZL33flash_attn_stream_k_fixup_generalILi72ELi1ELi4EEvPfPK15HIP_vector_typeIfLj2EEiiiiS1_IjLj3EES5_S5_S5_,comdat
.Lfunc_end32:
	.size	_ZL33flash_attn_stream_k_fixup_generalILi72ELi1ELi4EEvPfPK15HIP_vector_typeIfLj2EEiiiiS1_IjLj3EES5_S5_S5_, .Lfunc_end32-_ZL33flash_attn_stream_k_fixup_generalILi72ELi1ELi4EEvPfPK15HIP_vector_typeIfLj2EEiiiiS1_IjLj3EES5_S5_S5_
                                        ; -- End function
	.set _ZL33flash_attn_stream_k_fixup_generalILi72ELi1ELi4EEvPfPK15HIP_vector_typeIfLj2EEiiiiS1_IjLj3EES5_S5_S5_.num_vgpr, 17
	.set _ZL33flash_attn_stream_k_fixup_generalILi72ELi1ELi4EEvPfPK15HIP_vector_typeIfLj2EEiiiiS1_IjLj3EES5_S5_S5_.num_agpr, 0
	.set _ZL33flash_attn_stream_k_fixup_generalILi72ELi1ELi4EEvPfPK15HIP_vector_typeIfLj2EEiiiiS1_IjLj3EES5_S5_S5_.numbered_sgpr, 31
	.set _ZL33flash_attn_stream_k_fixup_generalILi72ELi1ELi4EEvPfPK15HIP_vector_typeIfLj2EEiiiiS1_IjLj3EES5_S5_S5_.num_named_barrier, 0
	.set _ZL33flash_attn_stream_k_fixup_generalILi72ELi1ELi4EEvPfPK15HIP_vector_typeIfLj2EEiiiiS1_IjLj3EES5_S5_S5_.private_seg_size, 0
	.set _ZL33flash_attn_stream_k_fixup_generalILi72ELi1ELi4EEvPfPK15HIP_vector_typeIfLj2EEiiiiS1_IjLj3EES5_S5_S5_.uses_vcc, 1
	.set _ZL33flash_attn_stream_k_fixup_generalILi72ELi1ELi4EEvPfPK15HIP_vector_typeIfLj2EEiiiiS1_IjLj3EES5_S5_S5_.uses_flat_scratch, 0
	.set _ZL33flash_attn_stream_k_fixup_generalILi72ELi1ELi4EEvPfPK15HIP_vector_typeIfLj2EEiiiiS1_IjLj3EES5_S5_S5_.has_dyn_sized_stack, 0
	.set _ZL33flash_attn_stream_k_fixup_generalILi72ELi1ELi4EEvPfPK15HIP_vector_typeIfLj2EEiiiiS1_IjLj3EES5_S5_S5_.has_recursion, 0
	.set _ZL33flash_attn_stream_k_fixup_generalILi72ELi1ELi4EEvPfPK15HIP_vector_typeIfLj2EEiiiiS1_IjLj3EES5_S5_S5_.has_indirect_call, 0
	.section	.AMDGPU.csdata,"",@progbits
; Kernel info:
; codeLenInByte = 2944
; TotalNumSgprs: 33
; NumVgprs: 17
; ScratchSize: 0
; MemoryBound: 0
; FloatMode: 240
; IeeeMode: 1
; LDSByteSize: 0 bytes/workgroup (compile time only)
; SGPRBlocks: 0
; VGPRBlocks: 2
; NumSGPRsForWavesPerEU: 33
; NumVGPRsForWavesPerEU: 17
; Occupancy: 16
; WaveLimiterHint : 0
; COMPUTE_PGM_RSRC2:SCRATCH_EN: 0
; COMPUTE_PGM_RSRC2:USER_SGPR: 6
; COMPUTE_PGM_RSRC2:TRAP_HANDLER: 0
; COMPUTE_PGM_RSRC2:TGID_X_EN: 1
; COMPUTE_PGM_RSRC2:TGID_Y_EN: 1
; COMPUTE_PGM_RSRC2:TGID_Z_EN: 1
; COMPUTE_PGM_RSRC2:TIDIG_COMP_CNT: 0
	.section	.text._ZL15flash_attn_tileILi72ELi72ELi32ELi2ELb0EEvPKcS1_S1_S1_S1_PKiPfP15HIP_vector_typeIfLj2EEffffjfiS5_IjLj3EEiiiiiiiiiiiliiliiiiil,"axG",@progbits,_ZL15flash_attn_tileILi72ELi72ELi32ELi2ELb0EEvPKcS1_S1_S1_S1_PKiPfP15HIP_vector_typeIfLj2EEffffjfiS5_IjLj3EEiiiiiiiiiiiliiliiiiil,comdat
	.globl	_ZL15flash_attn_tileILi72ELi72ELi32ELi2ELb0EEvPKcS1_S1_S1_S1_PKiPfP15HIP_vector_typeIfLj2EEffffjfiS5_IjLj3EEiiiiiiiiiiiliiliiiiil ; -- Begin function _ZL15flash_attn_tileILi72ELi72ELi32ELi2ELb0EEvPKcS1_S1_S1_S1_PKiPfP15HIP_vector_typeIfLj2EEffffjfiS5_IjLj3EEiiiiiiiiiiiliiliiiiil
	.p2align	8
	.type	_ZL15flash_attn_tileILi72ELi72ELi32ELi2ELb0EEvPKcS1_S1_S1_S1_PKiPfP15HIP_vector_typeIfLj2EEffffjfiS5_IjLj3EEiiiiiiiiiiiliiliiiiil,@function
_ZL15flash_attn_tileILi72ELi72ELi32ELi2ELb0EEvPKcS1_S1_S1_S1_PKiPfP15HIP_vector_typeIfLj2EEffffjfiS5_IjLj3EEiiiiiiiiiiiliiliiiiil: ; @_ZL15flash_attn_tileILi72ELi72ELi32ELi2ELb0EEvPKcS1_S1_S1_S1_PKiPfP15HIP_vector_typeIfLj2EEffffjfiS5_IjLj3EEiiiiiiiiiiiliiliiiiil
; %bb.0:
	s_clause 0x1
	s_load_dwordx4 s[28:31], s[4:5], 0x5c
	s_load_dwordx2 s[38:39], s[4:5], 0x80
	s_mov_b32 s34, s7
	s_mov_b64 s[40:41], 0
	s_waitcnt lgkmcnt(0)
	s_lshr_b32 s0, s31, 31
	s_add_i32 s0, s31, s0
	s_ashr_i32 s0, s0, 1
	v_cvt_f32_u32_e32 v2, s0
	s_sub_i32 s2, 0, s0
	v_rcp_iflag_f32_e32 v2, v2
	v_mul_f32_e32 v2, 0x4f7ffffe, v2
	v_cvt_u32_f32_e32 v2, v2
	v_readfirstlane_b32 s1, v2
	s_mul_i32 s2, s2, s1
	s_mul_hi_u32 s2, s1, s2
	s_add_i32 s1, s1, s2
	s_mul_hi_u32 s1, s8, s1
	s_mul_i32 s2, s1, s0
	s_add_i32 s3, s1, 1
	s_sub_i32 s2, s8, s2
	s_sub_i32 s7, s2, s0
	s_cmp_ge_u32 s2, s0
	s_cselect_b32 s1, s3, s1
	s_cselect_b32 s2, s7, s2
	s_add_i32 s3, s1, 1
	s_cmp_ge_u32 s2, s0
	s_cselect_b32 s35, s3, s1
	s_abs_i32 s0, s39
	s_lshl_b32 s3, s8, 1
	v_cvt_f32_u32_e32 v2, s0
	s_sub_i32 s2, 0, s0
	s_abs_i32 s8, s31
	s_mul_i32 s7, s35, s31
	v_rcp_iflag_f32_e32 v2, v2
	s_sub_i32 s36, s3, s7
	v_mul_f32_e32 v2, 0x4f7ffffe, v2
	v_cvt_u32_f32_e32 v2, v2
	v_readfirstlane_b32 s1, v2
	s_mul_i32 s2, s2, s1
	s_mul_hi_u32 s2, s1, s2
	s_add_i32 s1, s1, s2
	s_xor_b32 s2, s31, s39
	s_mul_hi_u32 s1, s8, s1
	s_ashr_i32 s2, s2, 31
	s_mul_i32 s3, s1, s0
	s_add_i32 s7, s1, 1
	s_sub_i32 s3, s8, s3
	s_sub_i32 s8, s3, s0
	s_cmp_ge_u32 s3, s0
	s_cselect_b32 s1, s7, s1
	s_cselect_b32 s3, s8, s3
	s_add_i32 s7, s1, 1
	s_cmp_ge_u32 s3, s0
	s_cselect_b32 s0, s7, s1
	s_xor_b32 s0, s0, s2
	s_sub_i32 s39, s0, s2
	s_clause 0x1
	s_load_dwordx16 s[12:27], s[4:5], 0x0
	s_load_dwordx2 s[0:1], s[4:5], 0xb8
	s_abs_i32 s7, s39
	v_cvt_f32_u32_e32 v2, s7
	v_rcp_iflag_f32_e32 v2, v2
	v_mul_f32_e32 v2, 0x4f7ffffe, v2
	s_waitcnt lgkmcnt(0)
	s_cmp_eq_u64 s[18:19], 0
	v_cvt_u32_f32_e32 v2, v2
	v_readfirstlane_b32 s42, v2
	s_cbranch_scc1 .LBB33_2
; %bb.1:
	s_abs_i32 s0, s0
	s_abs_i32 s8, s35
	v_cvt_f32_u32_e32 v2, s0
	s_sub_i32 s3, 0, s0
	v_rcp_iflag_f32_e32 v2, v2
	v_mul_f32_e32 v2, 0x4f7ffffe, v2
	v_cvt_u32_f32_e32 v2, v2
	v_readfirstlane_b32 s2, v2
	s_mul_i32 s3, s3, s2
	s_mul_hi_u32 s3, s2, s3
	s_add_i32 s2, s2, s3
	s_mul_hi_u32 s9, s8, s2
	s_load_dwordx2 s[2:3], s[4:5], 0xc8
	s_mul_i32 s9, s9, s0
	s_sub_i32 s8, s8, s9
	s_ashr_i32 s9, s35, 31
	s_sub_i32 s10, s8, s0
	s_cmp_ge_u32 s8, s0
	s_cselect_b32 s8, s10, s8
	s_sub_i32 s10, s8, s0
	s_cmp_ge_u32 s8, s0
	s_cselect_b32 s0, s10, s8
	s_xor_b32 s0, s0, s9
	s_sub_i32 s0, s0, s9
	s_ashr_i32 s8, s0, 31
	s_waitcnt lgkmcnt(0)
	s_mul_hi_u32 s9, s2, s0
	s_mul_i32 s8, s2, s8
	s_mul_i32 s3, s3, s0
	s_add_i32 s8, s9, s8
	s_mul_i32 s0, s2, s0
	s_add_i32 s8, s8, s3
	s_add_u32 s40, s18, s0
	s_addc_u32 s41, s19, s8
.LBB33_2:
	s_clause 0x1
	s_load_dwordx4 s[44:47], s[4:5], 0x70
	s_load_dword s10, s[4:5], 0x40
	v_lshlrev_b32_e32 v53, 2, v0
	s_lshl_b32 s33, s6, 5
	v_cmp_gt_u32_e64 s0, 18, v0
	v_lshlrev_b32_e32 v2, 3, v0
	v_lshlrev_b32_e32 v3, 2, v53
	s_waitcnt lgkmcnt(0)
	s_mul_i32 s3, s35, s46
	s_mul_i32 s8, s36, s45
	s_ashr_i32 s9, s3, 31
	s_add_u32 s3, s12, s3
	s_addc_u32 s9, s13, s9
	s_ashr_i32 s12, s8, 31
	s_add_u32 s11, s3, s8
	s_mov_b32 s2, s45
	s_addc_u32 s12, s9, s12
	s_ashr_i32 s3, s45, 31
	s_ashr_i32 s45, s44, 31
	s_lshr_b64 s[2:3], s[2:3], 2
	s_lshr_b64 s[8:9], s[44:45], 2
	s_and_saveexec_b32 s13, s0
	s_cbranch_execz .LBB33_4
; %bb.3:
	v_lshl_add_u32 v4, v1, 2, s33
	s_lshl_b64 s[18:19], s[2:3], 2
	s_add_u32 s18, s11, s18
	s_addc_u32 s19, s12, s19
	v_mul_hi_u32 v5, v4, s28
	v_add_nc_u32_e32 v5, v4, v5
	v_lshrrev_b32_e32 v5, s29, v5
	v_mul_lo_u32 v5, v5, s30
	v_sub_nc_u32_e32 v6, v4, v5
	v_mad_u64_u32 v[4:5], null, s8, v6, 0
	v_mad_u64_u32 v[5:6], null, s9, v6, v[5:6]
	v_lshlrev_b64 v[4:5], 2, v[4:5]
	v_add_co_u32 v6, vcc_lo, s11, v4
	v_add_co_ci_u32_e64 v7, null, s12, v5, vcc_lo
	v_add_co_u32 v8, vcc_lo, s18, v4
	v_add_co_ci_u32_e64 v9, null, s19, v5, vcc_lo
	;; [unrolled: 2-line block ×4, first 2 shown]
	s_clause 0x1
	global_load_dwordx4 v[4:7], v[4:5], off
	global_load_dwordx4 v[8:11], v[8:9], off
	s_waitcnt vmcnt(1)
	v_fma_mixlo_f16 v4, s10, v4, 0
	v_fma_mixlo_f16 v5, s10, v5, 0
	s_waitcnt vmcnt(0)
	v_fma_mixlo_f16 v8, s10, v8, 0
	v_fma_mixlo_f16 v9, s10, v9, 0
	;; [unrolled: 1-line block ×6, first 2 shown]
	v_lshlrev_b32_e32 v5, 16, v5
	v_and_b32_e32 v4, 0xffff, v4
	v_lshlrev_b32_e32 v9, 16, v9
	v_and_b32_e32 v8, 0xffff, v8
	v_lshlrev_b32_e32 v7, 16, v7
	v_and_b32_e32 v6, 0xffff, v6
	v_lshlrev_b32_e32 v11, 16, v11
	v_and_b32_e32 v10, 0xffff, v10
	v_or_b32_e32 v4, v5, v4
	v_or_b32_e32 v8, v9, v8
	v_mad_u32_u24 v9, 0x480, v1, v2
	v_or3_b32 v5, v7, v6, 0
	v_or3_b32 v7, v11, v10, 0
	;; [unrolled: 1-line block ×4, first 2 shown]
	ds_write2_b64 v9, v[4:5], v[6:7] offset1:18
.LBB33_4:
	s_or_b32 exec_lo, exec_lo, s13
	v_lshlrev_b32_e32 v4, 3, v1
	v_or_b32_e32 v5, 2, v4
	v_lshrrev_b32_e32 v67, 1, v5
	s_and_saveexec_b32 s13, s0
	s_cbranch_execnz .LBB33_16
; %bb.5:
	s_or_b32 exec_lo, exec_lo, s13
	v_or_b32_e32 v66, 3, v4
	s_and_saveexec_b32 s13, s0
	s_cbranch_execnz .LBB33_17
.LBB33_6:
	s_or_b32 exec_lo, exec_lo, s13
	v_or_b32_e32 v65, 4, v4
	s_and_saveexec_b32 s13, s0
	s_cbranch_execnz .LBB33_18
.LBB33_7:
	s_or_b32 exec_lo, exec_lo, s13
	v_or_b32_e32 v64, 5, v4
	s_and_saveexec_b32 s13, s0
	s_cbranch_execnz .LBB33_19
.LBB33_8:
	s_or_b32 exec_lo, exec_lo, s13
	v_or_b32_e32 v63, 6, v4
	s_and_saveexec_b32 s13, s0
	s_cbranch_execnz .LBB33_20
.LBB33_9:
	s_or_b32 exec_lo, exec_lo, s13
	v_or_b32_e32 v62, 7, v4
	s_and_saveexec_b32 s13, s0
	s_cbranch_execz .LBB33_11
.LBB33_10:
	v_lshrrev_b32_e32 v4, 1, v62
	s_lshl_b64 s[2:3], s[2:3], 2
	v_mad_u32_u24 v7, 0x90, v62, v2
	s_add_u32 s2, s11, s2
	s_addc_u32 s3, s12, s3
	v_add_nc_u32_e32 v4, s33, v4
	v_mul_hi_u32 v5, v4, s28
	v_add_nc_u32_e32 v5, v4, v5
	v_lshrrev_b32_e32 v5, s29, v5
	v_mul_lo_u32 v5, v5, s30
	v_sub_nc_u32_e32 v6, v4, v5
	v_mad_u64_u32 v[4:5], null, s8, v6, 0
	v_mad_u64_u32 v[5:6], null, s9, v6, v[5:6]
	v_lshlrev_b64 v[4:5], 2, v[4:5]
	v_add_co_u32 v4, vcc_lo, s2, v4
	v_add_co_ci_u32_e64 v5, null, s3, v5, vcc_lo
	v_add_co_u32 v3, vcc_lo, v4, v3
	v_add_co_ci_u32_e64 v4, null, 0, v5, vcc_lo
	global_load_dwordx4 v[3:6], v[3:4], off
	s_waitcnt vmcnt(0)
	v_fma_mixlo_f16 v4, s10, v4, 0
	v_fma_mixlo_f16 v3, s10, v3, 0
	;; [unrolled: 1-line block ×4, first 2 shown]
	v_lshlrev_b32_e32 v4, 16, v4
	v_and_b32_e32 v3, 0xffff, v3
	v_and_b32_e32 v5, 0xffff, v5
	v_lshlrev_b32_e32 v6, 16, v6
	v_or_b32_e32 v3, v4, v3
	v_or3_b32 v4, v6, v5, 0
	v_or3_b32 v3, 0, 0, v3
	ds_write_b64 v7, v[3:4]
.LBB33_11:
	s_or_b32 exec_lo, exec_lo, s13
	s_cmp_eq_u64 s[22:23], 0
	s_waitcnt lgkmcnt(0)
	s_barrier
	buffer_gl0_inv
	s_cbranch_scc1 .LBB33_13
; %bb.12:
	s_load_dword s2, s[4:5], 0xd0
	s_mov_b32 s3, 0
	s_waitcnt lgkmcnt(0)
	s_mul_i32 s2, s2, s35
	s_add_i32 s2, s2, s6
	s_lshl_b64 s[2:3], s[2:3], 2
	s_add_u32 s2, s22, s2
	s_addc_u32 s3, s23, s3
	s_load_dword s38, s[2:3], 0x0
.LBB33_13:
	v_mbcnt_lo_u32_b32 v71, -1, 0
	s_lshl_b32 s37, s34, 5
	s_waitcnt lgkmcnt(0)
	s_cmp_lt_i32 s37, s38
	s_cbranch_scc1 .LBB33_21
; %bb.14:
	v_mbcnt_lo_u32_b32 v9, -1, 0
	v_mov_b32_e32 v69, 32
	v_xor_b32_e32 v75, 16, v9
	v_xor_b32_e32 v74, 8, v9
	;; [unrolled: 1-line block ×5, first 2 shown]
	v_lshlrev_b32_e32 v68, 2, v1
	s_cbranch_execz .LBB33_22
; %bb.15:
	v_mov_b32_e32 v41, 0
	v_mov_b32_e32 v91, 0
	v_mov_b32_e32 v8, 0xfeffffff
	v_mov_b32_e32 v7, 0xfeffffff
	v_mov_b32_e32 v6, 0xfeffffff
	v_mov_b32_e32 v5, 0xfeffffff
	v_mov_b32_e32 v4, 0xfeffffff
	v_mov_b32_e32 v3, 0xfeffffff
	v_mov_b32_e32 v2, 0xfeffffff
	v_mov_b32_e32 v1, 0xfeffffff
	v_mov_b32_e32 v92, 0
	v_mov_b32_e32 v93, 0
	v_mov_b32_e32 v94, 0
	v_mov_b32_e32 v95, 0
	v_mov_b32_e32 v96, 0
	v_mov_b32_e32 v97, 0
	v_mov_b32_e32 v98, 0
	v_mov_b32_e32 v42, 0
	v_mov_b32_e32 v39, 0
	v_mov_b32_e32 v40, 0
	v_mov_b32_e32 v37, 0
	v_mov_b32_e32 v38, 0
	v_mov_b32_e32 v35, 0
	v_mov_b32_e32 v36, 0
	v_mov_b32_e32 v33, 0
	v_mov_b32_e32 v34, 0
	v_mov_b32_e32 v31, 0
	v_mov_b32_e32 v32, 0
	v_mov_b32_e32 v29, 0
	v_mov_b32_e32 v30, 0
	v_mov_b32_e32 v28, 0
	v_mov_b32_e32 v27, 0
	s_branch .LBB33_30
.LBB33_16:
	v_add_nc_u32_e32 v6, s33, v67
	v_mad_u32_u24 v10, 0x90, v5, v2
	v_mul_hi_u32 v7, v6, s28
	v_add_nc_u32_e32 v7, v6, v7
	v_lshrrev_b32_e32 v7, s29, v7
	v_mul_lo_u32 v7, v7, s30
	v_sub_nc_u32_e32 v8, v6, v7
	v_mad_u64_u32 v[6:7], null, s8, v8, 0
	v_mad_u64_u32 v[7:8], null, s9, v8, v[7:8]
	v_lshlrev_b64 v[6:7], 2, v[6:7]
	v_add_co_u32 v6, vcc_lo, s11, v6
	v_add_co_ci_u32_e64 v7, null, s12, v7, vcc_lo
	v_add_co_u32 v6, vcc_lo, v6, v3
	v_add_co_ci_u32_e64 v7, null, 0, v7, vcc_lo
	global_load_dwordx4 v[6:9], v[6:7], off
	s_waitcnt vmcnt(0)
	v_fma_mixlo_f16 v7, s10, v7, 0
	v_fma_mixlo_f16 v6, s10, v6, 0
	;; [unrolled: 1-line block ×4, first 2 shown]
	v_lshlrev_b32_e32 v7, 16, v7
	v_and_b32_e32 v6, 0xffff, v6
	v_and_b32_e32 v8, 0xffff, v8
	v_lshlrev_b32_e32 v9, 16, v9
	v_or_b32_e32 v7, v7, v6
	v_or3_b32 v6, v9, v8, 0
	v_or3_b32 v5, 0, 0, v7
	ds_write_b64 v10, v[5:6]
	s_or_b32 exec_lo, exec_lo, s13
	v_or_b32_e32 v66, 3, v4
	s_and_saveexec_b32 s13, s0
	s_cbranch_execz .LBB33_6
.LBB33_17:
	v_lshrrev_b32_e32 v5, 1, v66
	s_lshl_b64 s[18:19], s[2:3], 2
	v_mad_u32_u24 v9, 0x90, v66, v2
	s_add_u32 s18, s11, s18
	s_addc_u32 s19, s12, s19
	v_add_nc_u32_e32 v5, s33, v5
	v_mul_hi_u32 v6, v5, s28
	v_add_nc_u32_e32 v6, v5, v6
	v_lshrrev_b32_e32 v6, s29, v6
	v_mul_lo_u32 v6, v6, s30
	v_sub_nc_u32_e32 v7, v5, v6
	v_mad_u64_u32 v[5:6], null, s8, v7, 0
	v_mad_u64_u32 v[6:7], null, s9, v7, v[6:7]
	v_lshlrev_b64 v[5:6], 2, v[5:6]
	v_add_co_u32 v5, vcc_lo, s18, v5
	v_add_co_ci_u32_e64 v6, null, s19, v6, vcc_lo
	v_add_co_u32 v5, vcc_lo, v5, v3
	v_add_co_ci_u32_e64 v6, null, 0, v6, vcc_lo
	global_load_dwordx4 v[5:8], v[5:6], off
	s_waitcnt vmcnt(0)
	v_fma_mixlo_f16 v6, s10, v6, 0
	v_fma_mixlo_f16 v5, s10, v5, 0
	;; [unrolled: 1-line block ×4, first 2 shown]
	v_lshlrev_b32_e32 v6, 16, v6
	v_and_b32_e32 v5, 0xffff, v5
	v_and_b32_e32 v7, 0xffff, v7
	v_lshlrev_b32_e32 v8, 16, v8
	v_or_b32_e32 v5, v6, v5
	v_or3_b32 v6, v8, v7, 0
	v_or3_b32 v5, 0, 0, v5
	ds_write_b64 v9, v[5:6]
	s_or_b32 exec_lo, exec_lo, s13
	v_or_b32_e32 v65, 4, v4
	s_and_saveexec_b32 s13, s0
	s_cbranch_execz .LBB33_7
.LBB33_18:
	v_lshrrev_b32_e32 v5, 1, v65
	v_mad_u32_u24 v9, 0x90, v65, v2
	v_add_nc_u32_e32 v5, s33, v5
	v_mul_hi_u32 v6, v5, s28
	v_add_nc_u32_e32 v6, v5, v6
	v_lshrrev_b32_e32 v6, s29, v6
	v_mul_lo_u32 v6, v6, s30
	v_sub_nc_u32_e32 v7, v5, v6
	v_mad_u64_u32 v[5:6], null, s8, v7, 0
	v_mad_u64_u32 v[6:7], null, s9, v7, v[6:7]
	v_lshlrev_b64 v[5:6], 2, v[5:6]
	v_add_co_u32 v5, vcc_lo, s11, v5
	v_add_co_ci_u32_e64 v6, null, s12, v6, vcc_lo
	v_add_co_u32 v5, vcc_lo, v5, v3
	v_add_co_ci_u32_e64 v6, null, 0, v6, vcc_lo
	global_load_dwordx4 v[5:8], v[5:6], off
	s_waitcnt vmcnt(0)
	v_fma_mixlo_f16 v6, s10, v6, 0
	v_fma_mixlo_f16 v5, s10, v5, 0
	;; [unrolled: 1-line block ×4, first 2 shown]
	v_lshlrev_b32_e32 v6, 16, v6
	v_and_b32_e32 v5, 0xffff, v5
	v_and_b32_e32 v7, 0xffff, v7
	v_lshlrev_b32_e32 v8, 16, v8
	v_or_b32_e32 v5, v6, v5
	v_or3_b32 v6, v8, v7, 0
	v_or3_b32 v5, 0, 0, v5
	ds_write_b64 v9, v[5:6]
	s_or_b32 exec_lo, exec_lo, s13
	v_or_b32_e32 v64, 5, v4
	s_and_saveexec_b32 s13, s0
	s_cbranch_execz .LBB33_8
.LBB33_19:
	v_lshrrev_b32_e32 v5, 1, v64
	s_lshl_b64 s[18:19], s[2:3], 2
	v_mad_u32_u24 v9, 0x90, v64, v2
	s_add_u32 s18, s11, s18
	s_addc_u32 s19, s12, s19
	v_add_nc_u32_e32 v5, s33, v5
	v_mul_hi_u32 v6, v5, s28
	v_add_nc_u32_e32 v6, v5, v6
	v_lshrrev_b32_e32 v6, s29, v6
	v_mul_lo_u32 v6, v6, s30
	v_sub_nc_u32_e32 v7, v5, v6
	v_mad_u64_u32 v[5:6], null, s8, v7, 0
	v_mad_u64_u32 v[6:7], null, s9, v7, v[6:7]
	v_lshlrev_b64 v[5:6], 2, v[5:6]
	v_add_co_u32 v5, vcc_lo, s18, v5
	v_add_co_ci_u32_e64 v6, null, s19, v6, vcc_lo
	v_add_co_u32 v5, vcc_lo, v5, v3
	v_add_co_ci_u32_e64 v6, null, 0, v6, vcc_lo
	global_load_dwordx4 v[5:8], v[5:6], off
	s_waitcnt vmcnt(0)
	v_fma_mixlo_f16 v6, s10, v6, 0
	v_fma_mixlo_f16 v5, s10, v5, 0
	;; [unrolled: 1-line block ×4, first 2 shown]
	v_lshlrev_b32_e32 v6, 16, v6
	v_and_b32_e32 v5, 0xffff, v5
	v_and_b32_e32 v7, 0xffff, v7
	v_lshlrev_b32_e32 v8, 16, v8
	v_or_b32_e32 v5, v6, v5
	v_or3_b32 v6, v8, v7, 0
	v_or3_b32 v5, 0, 0, v5
	ds_write_b64 v9, v[5:6]
	s_or_b32 exec_lo, exec_lo, s13
	v_or_b32_e32 v63, 6, v4
	s_and_saveexec_b32 s13, s0
	s_cbranch_execz .LBB33_9
.LBB33_20:
	v_lshrrev_b32_e32 v5, 1, v63
	v_mad_u32_u24 v9, 0x90, v63, v2
	v_add_nc_u32_e32 v5, s33, v5
	v_mul_hi_u32 v6, v5, s28
	v_add_nc_u32_e32 v6, v5, v6
	v_lshrrev_b32_e32 v6, s29, v6
	v_mul_lo_u32 v6, v6, s30
	v_sub_nc_u32_e32 v7, v5, v6
	v_mad_u64_u32 v[5:6], null, s8, v7, 0
	v_mad_u64_u32 v[6:7], null, s9, v7, v[6:7]
	v_lshlrev_b64 v[5:6], 2, v[5:6]
	v_add_co_u32 v5, vcc_lo, s11, v5
	v_add_co_ci_u32_e64 v6, null, s12, v6, vcc_lo
	v_add_co_u32 v5, vcc_lo, v5, v3
	v_add_co_ci_u32_e64 v6, null, 0, v6, vcc_lo
	global_load_dwordx4 v[5:8], v[5:6], off
	s_waitcnt vmcnt(0)
	v_fma_mixlo_f16 v6, s10, v6, 0
	v_fma_mixlo_f16 v5, s10, v5, 0
	;; [unrolled: 1-line block ×4, first 2 shown]
	v_lshlrev_b32_e32 v6, 16, v6
	v_and_b32_e32 v5, 0xffff, v5
	v_and_b32_e32 v7, 0xffff, v7
	v_lshlrev_b32_e32 v8, 16, v8
	v_or_b32_e32 v5, v6, v5
	v_or3_b32 v6, v8, v7, 0
	v_or3_b32 v5, 0, 0, v5
	ds_write_b64 v9, v[5:6]
	s_or_b32 exec_lo, exec_lo, s13
	v_or_b32_e32 v62, 7, v4
	s_and_saveexec_b32 s13, s0
	s_cbranch_execnz .LBB33_10
	s_branch .LBB33_11
.LBB33_21:
                                        ; implicit-def: $vgpr9
                                        ; implicit-def: $vgpr69
                                        ; implicit-def: $vgpr75
                                        ; implicit-def: $vgpr74
                                        ; implicit-def: $vgpr73
                                        ; implicit-def: $vgpr72
                                        ; implicit-def: $vgpr70
	v_lshlrev_b32_e32 v68, 2, v1
.LBB33_22:
	s_clause 0x1
	s_load_dwordx4 s[8:11], s[4:5], 0x98
	s_load_dwordx2 s[2:3], s[4:5], 0x8c
	v_add_nc_u32_e32 v7, s33, v68
	s_sub_i32 s6, 0, s7
	s_abs_i32 s18, s36
	s_mul_i32 s6, s6, s42
	s_ashr_i32 s23, s35, 31
	v_add_nc_u32_e32 v9, 1, v7
	v_mul_hi_u32 v5, s28, v7
	v_add_nc_u32_e32 v13, 2, v7
	v_add_nc_u32_e32 v14, 3, v7
	s_mul_hi_u32 s6, s42, s6
	v_mul_hi_u32 v6, s28, v9
	s_add_i32 s42, s42, s6
	s_ashr_i32 s22, s39, 31
	s_mul_hi_u32 s6, s18, s42
	v_mul_hi_u32 v15, s28, v13
	v_mul_hi_u32 v16, s28, v14
	v_add_nc_u32_e32 v5, v7, v5
	s_ashr_i32 s19, s36, 31
	s_waitcnt lgkmcnt(0)
	s_ashr_i32 s39, s10, 2
	s_ashr_i32 s42, s2, 2
	s_mul_hi_u32 s2, s8, s35
	s_mul_i32 s10, s8, s23
	s_mul_i32 s9, s9, s35
	s_add_i32 s2, s2, s10
	v_add_nc_u32_e32 v6, v9, v6
	s_mul_i32 s8, s8, s35
	s_load_dwordx2 s[12:13], s[4:5], 0xa8
	s_ashr_i32 s1, s1, 1
	s_mul_i32 s43, s6, s7
	s_add_i32 s2, s2, s9
	s_add_u32 s8, s14, s8
	s_addc_u32 s2, s15, s2
	s_sub_i32 s10, s18, s43
	v_lshrrev_b32_e32 v17, s29, v5
	v_lshrrev_b32_e32 v6, s29, v6
	s_xor_b32 s9, s19, s22
	s_add_i32 s14, s6, 1
	s_sub_i32 s15, s10, s7
	v_add_nc_u32_e32 v15, v13, v15
	v_add_nc_u32_e32 v16, v14, v16
	s_cmp_ge_u32 s10, s7
	v_mul_lo_u32 v17, v17, s30
	s_cselect_b32 s6, s14, s6
	s_cselect_b32 s10, s15, s10
	v_mul_lo_u32 v18, v6, s30
	s_add_i32 s14, s6, 1
	v_lshrrev_b32_e32 v15, s29, v15
	v_lshrrev_b32_e32 v16, s29, v16
	s_cmp_ge_u32 s10, s7
	v_lshrrev_b32_e32 v3, 3, v0
	s_cselect_b32 s6, s14, s6
	v_mul_lo_u32 v15, v15, s30
	s_xor_b32 s6, s6, s9
	v_mul_lo_u32 v16, v16, s30
	s_sub_i32 s6, s6, s9
	v_add_nc_u32_e32 v8, v3, v68
	v_lshl_add_u32 v10, v1, 5, v0
	v_sub_nc_u32_e32 v7, v7, v17
	v_sub_nc_u32_e32 v9, v9, v18
	s_mul_i32 s3, s6, s3
	v_and_b32_e32 v11, 28, v53
	s_waitcnt lgkmcnt(0)
	s_mul_hi_u32 s7, s12, s35
	s_mul_i32 s10, s12, s23
	s_mul_i32 s9, s13, s35
	s_ashr_i32 s13, s3, 31
	s_add_u32 s43, s8, s3
	v_mul_lo_u32 v3, s42, v8
	v_mul_lo_u32 v5, s42, v10
	v_mul_lo_u32 v80, v7, s1
	v_mul_lo_u32 v81, v9, s1
	v_mul_lo_u32 v7, s39, v10
	v_mul_lo_u32 v9, s39, v8
	s_addc_u32 s44, s2, s13
	s_add_i32 s2, s7, s10
	v_sub_nc_u32_e32 v13, v13, v15
	v_sub_nc_u32_e32 v14, v14, v16
	s_mul_i32 s12, s12, s35
	s_mul_i32 s6, s6, s11
	s_add_i32 s2, s2, s9
	v_mul_u32_u24_e32 v4, 0xa0, v8
	v_lshlrev_b32_e32 v12, 2, v11
	s_add_u32 s3, s16, s12
	s_addc_u32 s2, s17, s2
	s_ashr_i32 s7, s6, 31
	s_add_u32 s45, s3, s6
	s_movk_i32 s3, 0x2480
	v_mul_lo_u32 v82, v13, s1
	v_mul_lo_u32 v83, v14, s1
	s_movk_i32 s1, 0x90
	v_cmp_gt_u32_e32 vcc_lo, 32, v10
	v_add3_u32 v76, v4, v12, 0x2400
	v_ashrrev_i32_e32 v4, 31, v3
	v_mul_u32_u24_e32 v78, 0x480, v1
	v_ashrrev_i32_e32 v6, 31, v5
	v_mad_u32_u24 v79, 0xa0, v10, s3
	v_lshl_add_u32 v84, v1, 9, 0x38e0
	v_mul_u32_u24_e32 v1, 0x90, v8
	v_ashrrev_i32_e32 v8, 31, v7
	v_mad_u32_u24 v85, v10, s1, 0x2480
	v_ashrrev_i32_e32 v10, 31, v9
	v_lshlrev_b32_e32 v13, 4, v0
	v_lshlrev_b64 v[54:55], 2, v[5:6]
	v_lshlrev_b64 v[56:57], 2, v[3:4]
	;; [unrolled: 1-line block ×4, first 2 shown]
	v_mov_b32_e32 v27, 0
	v_mul_u32_u24_e32 v77, 0xa0, v0
	v_add_nc_u32_e32 v86, 0x2400, v2
	v_add3_u32 v87, v1, v12, 0x2400
	v_mov_b32_e32 v21, 0xfeffffff
	v_lshlrev_b32_e32 v88, 2, v11
	v_mov_b32_e32 v69, 32
	v_xor_b32_e32 v75, 16, v71
	v_xor_b32_e32 v74, 8, v71
	;; [unrolled: 1-line block ×5, first 2 shown]
	v_add_nc_u32_e32 v89, v84, v13
	v_mov_b32_e32 v90, 0x10001
	v_mov_b32_e32 v28, 0
	;; [unrolled: 1-line block ×31, first 2 shown]
	s_addc_u32 s46, s2, s7
	s_add_u32 s22, s4, 0xd0
	s_addc_u32 s23, s5, 0
.LBB33_23:                              ; =>This Inner Loop Header: Depth=1
	s_mul_hi_i32 s3, s37, s42
	s_mul_i32 s2, s37, s42
	s_lshl_b64 s[2:3], s[2:3], 2
	s_add_u32 s2, s43, s2
	s_addc_u32 s3, s44, s3
	s_and_saveexec_b32 s6, vcc_lo
	s_cbranch_execz .LBB33_25
; %bb.24:                               ;   in Loop: Header=BB33_23 Depth=1
	v_add_co_u32 v1, s1, s2, v54
	v_add_co_ci_u32_e64 v2, null, s3, v55, s1
	global_load_dwordx4 v[1:4], v[1:2], off offset:128
	s_waitcnt vmcnt(0)
	ds_write_b128 v79, v[1:4]
.LBB33_25:                              ;   in Loop: Header=BB33_23 Depth=1
	s_or_b32 exec_lo, exec_lo, s6
	v_add_co_u32 v1, s1, s2, v56
	v_add_co_ci_u32_e64 v2, null, s3, v57, s1
	v_mov_b32_e32 v45, 0
	v_add_co_u32 v1, s1, v1, v88
	v_add_co_ci_u32_e64 v2, null, 0, v2, s1
	v_mov_b32_e32 v46, 0
	v_mov_b32_e32 v47, 0
	;; [unrolled: 1-line block ×3, first 2 shown]
	global_load_dwordx4 v[1:4], v[1:2], off
	v_mov_b32_e32 v49, 0
	v_mov_b32_e32 v50, 0
	;; [unrolled: 1-line block ×4, first 2 shown]
	s_mul_hi_i32 s29, s37, s39
	s_mul_i32 s28, s37, s39
	s_lshl_b64 s[28:29], s[28:29], 2
	s_add_u32 s28, s45, s28
	s_addc_u32 s29, s46, s29
	s_waitcnt vmcnt(0)
	ds_write_b128 v76, v[1:4]
	s_waitcnt lgkmcnt(0)
	s_barrier
	buffer_gl0_inv
	ds_read_b128 v[1:4], v77 offset:9216
	ds_read_b128 v[5:8], v78
	ds_read_b128 v[9:12], v78 offset:144
	ds_read_b128 v[91:94], v78 offset:288
	;; [unrolled: 1-line block ×7, first 2 shown]
	s_waitcnt lgkmcnt(7)
	;;#ASMSTART
	v_dot2_f32_f16 v45, v1, v5, v45
	;;#ASMEND
	;;#ASMSTART
	v_dot2_f32_f16 v45, v2, v6, v45
	;;#ASMEND
	;;#ASMSTART
	v_dot2_f32_f16 v45, v3, v7, v45
	;;#ASMEND
	;;#ASMSTART
	v_dot2_f32_f16 v45, v4, v8, v45
	;;#ASMEND
	s_waitcnt lgkmcnt(6)
	;;#ASMSTART
	v_dot2_f32_f16 v46, v1, v9, v46
	;;#ASMEND
	;;#ASMSTART
	v_dot2_f32_f16 v46, v2, v10, v46
	;;#ASMEND
	;;#ASMSTART
	v_dot2_f32_f16 v46, v3, v11, v46
	;;#ASMEND
	;;#ASMSTART
	v_dot2_f32_f16 v46, v4, v12, v46
	;;#ASMEND
	;; [unrolled: 13-line block ×8, first 2 shown]
	ds_read_b128 v[1:4], v77 offset:9232
	ds_read_b128 v[5:8], v78 offset:16
	;; [unrolled: 1-line block ×9, first 2 shown]
	s_waitcnt lgkmcnt(7)
	;;#ASMSTART
	v_dot2_f32_f16 v45, v1, v5, v45
	;;#ASMEND
	;;#ASMSTART
	v_dot2_f32_f16 v45, v2, v6, v45
	;;#ASMEND
	;;#ASMSTART
	v_dot2_f32_f16 v45, v3, v7, v45
	;;#ASMEND
	;;#ASMSTART
	v_dot2_f32_f16 v45, v4, v8, v45
	;;#ASMEND
	s_waitcnt lgkmcnt(6)
	;;#ASMSTART
	v_dot2_f32_f16 v46, v1, v9, v46
	;;#ASMEND
	;;#ASMSTART
	v_dot2_f32_f16 v46, v2, v10, v46
	;;#ASMEND
	;;#ASMSTART
	v_dot2_f32_f16 v46, v3, v11, v46
	;;#ASMEND
	;;#ASMSTART
	v_dot2_f32_f16 v46, v4, v12, v46
	;;#ASMEND
	;; [unrolled: 13-line block ×8, first 2 shown]
	ds_read_b128 v[1:4], v77 offset:9248
	ds_read_b128 v[5:8], v78 offset:32
	;; [unrolled: 1-line block ×9, first 2 shown]
	s_waitcnt lgkmcnt(7)
	;;#ASMSTART
	v_dot2_f32_f16 v45, v1, v5, v45
	;;#ASMEND
	;;#ASMSTART
	v_dot2_f32_f16 v45, v2, v6, v45
	;;#ASMEND
	;;#ASMSTART
	v_dot2_f32_f16 v45, v3, v7, v45
	;;#ASMEND
	;;#ASMSTART
	v_dot2_f32_f16 v45, v4, v8, v45
	;;#ASMEND
	s_waitcnt lgkmcnt(6)
	;;#ASMSTART
	v_dot2_f32_f16 v46, v1, v9, v46
	;;#ASMEND
	;;#ASMSTART
	v_dot2_f32_f16 v46, v2, v10, v46
	;;#ASMEND
	;;#ASMSTART
	v_dot2_f32_f16 v46, v3, v11, v46
	;;#ASMEND
	;;#ASMSTART
	v_dot2_f32_f16 v46, v4, v12, v46
	;;#ASMEND
	;; [unrolled: 13-line block ×8, first 2 shown]
	ds_read_b128 v[1:4], v77 offset:9264
	ds_read_b128 v[5:8], v78 offset:48
	;; [unrolled: 1-line block ×9, first 2 shown]
	s_waitcnt lgkmcnt(7)
	;;#ASMSTART
	v_dot2_f32_f16 v45, v1, v5, v45
	;;#ASMEND
	;;#ASMSTART
	v_dot2_f32_f16 v45, v2, v6, v45
	;;#ASMEND
	;;#ASMSTART
	v_dot2_f32_f16 v45, v3, v7, v45
	;;#ASMEND
	;;#ASMSTART
	v_dot2_f32_f16 v45, v4, v8, v45
	;;#ASMEND
	s_waitcnt lgkmcnt(6)
	;;#ASMSTART
	v_dot2_f32_f16 v46, v1, v9, v46
	;;#ASMEND
	;;#ASMSTART
	v_dot2_f32_f16 v46, v2, v10, v46
	;;#ASMEND
	;;#ASMSTART
	v_dot2_f32_f16 v46, v3, v11, v46
	;;#ASMEND
	;;#ASMSTART
	v_dot2_f32_f16 v46, v4, v12, v46
	;;#ASMEND
	;; [unrolled: 13-line block ×8, first 2 shown]
	ds_read_b128 v[1:4], v77 offset:9280
	ds_read_b128 v[5:8], v78 offset:64
	;; [unrolled: 1-line block ×9, first 2 shown]
	s_waitcnt lgkmcnt(7)
	;;#ASMSTART
	v_dot2_f32_f16 v45, v1, v5, v45
	;;#ASMEND
	;;#ASMSTART
	v_dot2_f32_f16 v45, v2, v6, v45
	;;#ASMEND
	;;#ASMSTART
	v_dot2_f32_f16 v45, v3, v7, v45
	;;#ASMEND
	;;#ASMSTART
	v_dot2_f32_f16 v45, v4, v8, v45
	;;#ASMEND
	s_waitcnt lgkmcnt(6)
	;;#ASMSTART
	v_dot2_f32_f16 v46, v1, v9, v46
	;;#ASMEND
	;;#ASMSTART
	v_dot2_f32_f16 v46, v2, v10, v46
	;;#ASMEND
	;;#ASMSTART
	v_dot2_f32_f16 v46, v3, v11, v46
	;;#ASMEND
	;;#ASMSTART
	v_dot2_f32_f16 v46, v4, v12, v46
	;;#ASMEND
	;; [unrolled: 13-line block ×8, first 2 shown]
	ds_read_b128 v[1:4], v77 offset:9296
	ds_read_b128 v[5:8], v78 offset:80
	;; [unrolled: 1-line block ×9, first 2 shown]
	s_waitcnt lgkmcnt(7)
	;;#ASMSTART
	v_dot2_f32_f16 v45, v1, v5, v45
	;;#ASMEND
	;;#ASMSTART
	v_dot2_f32_f16 v45, v2, v6, v45
	;;#ASMEND
	;;#ASMSTART
	v_dot2_f32_f16 v45, v3, v7, v45
	;;#ASMEND
	;;#ASMSTART
	v_dot2_f32_f16 v45, v4, v8, v45
	;;#ASMEND
	s_waitcnt lgkmcnt(6)
	;;#ASMSTART
	v_dot2_f32_f16 v46, v1, v9, v46
	;;#ASMEND
	;;#ASMSTART
	v_dot2_f32_f16 v46, v2, v10, v46
	;;#ASMEND
	;;#ASMSTART
	v_dot2_f32_f16 v46, v3, v11, v46
	;;#ASMEND
	;;#ASMSTART
	v_dot2_f32_f16 v46, v4, v12, v46
	;;#ASMEND
	;; [unrolled: 13-line block ×8, first 2 shown]
	ds_read_b128 v[1:4], v77 offset:9312
	ds_read_b128 v[5:8], v78 offset:96
	;; [unrolled: 1-line block ×3, first 2 shown]
	v_add_nc_u32_e32 v99, s37, v0
	ds_read_b128 v[91:94], v78 offset:384
	ds_read_b128 v[95:98], v78 offset:528
	v_add_nc_u32_e32 v115, v99, v80
	v_add_nc_u32_e32 v117, v99, v81
	;; [unrolled: 1-line block ×4, first 2 shown]
	ds_read_b128 v[99:102], v78 offset:672
	ds_read_b128 v[103:106], v78 offset:816
	ds_read_b128 v[107:110], v78 offset:960
	ds_read_b128 v[111:114], v78 offset:1104
	s_waitcnt lgkmcnt(7)
	;;#ASMSTART
	v_dot2_f32_f16 v45, v1, v5, v45
	;;#ASMEND
	;;#ASMSTART
	v_dot2_f32_f16 v45, v2, v6, v45
	;;#ASMEND
	;;#ASMSTART
	v_dot2_f32_f16 v45, v3, v7, v45
	;;#ASMEND
	;;#ASMSTART
	v_dot2_f32_f16 v45, v4, v8, v45
	;;#ASMEND
	s_waitcnt lgkmcnt(6)
	;;#ASMSTART
	v_dot2_f32_f16 v46, v1, v9, v46
	;;#ASMEND
	;;#ASMSTART
	v_dot2_f32_f16 v46, v2, v10, v46
	;;#ASMEND
	;;#ASMSTART
	v_dot2_f32_f16 v46, v3, v11, v46
	;;#ASMEND
	;;#ASMSTART
	v_dot2_f32_f16 v46, v4, v12, v46
	;;#ASMEND
	;; [unrolled: 13-line block ×8, first 2 shown]
	ds_read_b128 v[1:4], v77 offset:9328
	ds_read_b128 v[5:8], v78 offset:112
	v_ashrrev_i32_e32 v116, 31, v115
	v_ashrrev_i32_e32 v118, 31, v117
	;; [unrolled: 1-line block ×4, first 2 shown]
	ds_read_b128 v[9:12], v78 offset:256
	ds_read_b128 v[91:94], v78 offset:400
	v_lshlrev_b64 v[99:100], 1, v[115:116]
	v_lshlrev_b64 v[115:116], 1, v[117:118]
	;; [unrolled: 1-line block ×4, first 2 shown]
	ds_read_b128 v[95:98], v78 offset:544
	v_add_co_u32 v121, s1, s40, v99
	v_add_co_ci_u32_e64 v122, null, s41, v100, s1
	ds_read_b128 v[99:102], v78 offset:688
	ds_read_b128 v[103:106], v78 offset:832
	;; [unrolled: 1-line block ×4, first 2 shown]
	s_waitcnt lgkmcnt(7)
	;;#ASMSTART
	v_dot2_f32_f16 v45, v1, v5, v45
	;;#ASMEND
	;;#ASMSTART
	v_dot2_f32_f16 v45, v2, v6, v45
	;;#ASMEND
	;;#ASMSTART
	v_dot2_f32_f16 v45, v3, v7, v45
	;;#ASMEND
	;;#ASMSTART
	v_dot2_f32_f16 v45, v4, v8, v45
	;;#ASMEND
	s_waitcnt lgkmcnt(6)
	;;#ASMSTART
	v_dot2_f32_f16 v46, v1, v9, v46
	;;#ASMEND
	;;#ASMSTART
	v_dot2_f32_f16 v46, v2, v10, v46
	;;#ASMEND
	;;#ASMSTART
	v_dot2_f32_f16 v46, v3, v11, v46
	;;#ASMEND
	;;#ASMSTART
	v_dot2_f32_f16 v46, v4, v12, v46
	;;#ASMEND
	;; [unrolled: 13-line block ×8, first 2 shown]
	ds_read_b128 v[1:4], v77 offset:9344
	ds_read_b128 v[5:8], v78 offset:128
	;; [unrolled: 1-line block ×9, first 2 shown]
	s_waitcnt lgkmcnt(7)
	;;#ASMSTART
	v_dot2_f32_f16 v45, v1, v5, v45
	;;#ASMEND
	;;#ASMSTART
	v_dot2_f32_f16 v45, v2, v6, v45
	;;#ASMEND
	;;#ASMSTART
	v_dot2_f32_f16 v45, v3, v7, v45
	;;#ASMEND
	;;#ASMSTART
	v_dot2_f32_f16 v45, v4, v8, v45
	;;#ASMEND
	s_waitcnt lgkmcnt(6)
	;;#ASMSTART
	v_dot2_f32_f16 v46, v1, v9, v46
	;;#ASMEND
	;;#ASMSTART
	v_dot2_f32_f16 v46, v2, v10, v46
	;;#ASMEND
	;;#ASMSTART
	v_dot2_f32_f16 v46, v3, v11, v46
	;;#ASMEND
	;;#ASMSTART
	v_dot2_f32_f16 v46, v4, v12, v46
	;;#ASMEND
	;; [unrolled: 13-line block ×5, first 2 shown]
	s_waitcnt lgkmcnt(2)
	;;#ASMSTART
	v_dot2_f32_f16 v50, v1, v103, v50
	;;#ASMEND
	v_add_co_u32 v115, s1, s40, v115
	;;#ASMSTART
	v_dot2_f32_f16 v50, v2, v104, v50
	;;#ASMEND
	;;#ASMSTART
	v_dot2_f32_f16 v50, v3, v105, v50
	;;#ASMEND
	v_add_co_ci_u32_e64 v116, null, s41, v116, s1
	v_add_co_u32 v117, s1, s40, v117
	;;#ASMSTART
	v_dot2_f32_f16 v50, v4, v106, v50
	;;#ASMEND
	s_waitcnt lgkmcnt(1)
	;;#ASMSTART
	v_dot2_f32_f16 v51, v1, v107, v51
	;;#ASMEND
	;;#ASMSTART
	v_dot2_f32_f16 v51, v2, v108, v51
	;;#ASMEND
	v_add_co_ci_u32_e64 v118, null, s41, v118, s1
	v_add_co_u32 v119, s1, s40, v119
	;;#ASMSTART
	v_dot2_f32_f16 v51, v3, v109, v51
	;;#ASMEND
	;;#ASMSTART
	v_dot2_f32_f16 v51, v4, v110, v51
	;;#ASMEND
	s_waitcnt lgkmcnt(0)
	;;#ASMSTART
	v_dot2_f32_f16 v52, v1, v111, v52
	;;#ASMEND
	v_add_co_ci_u32_e64 v120, null, s41, v120, s1
	;;#ASMSTART
	v_dot2_f32_f16 v52, v2, v112, v52
	;;#ASMEND
	;;#ASMSTART
	v_dot2_f32_f16 v52, v3, v113, v52
	;;#ASMEND
	;; [unrolled: 3-line block ×3, first 2 shown]
	s_clause 0x3
	global_load_ushort v1, v[121:122], off
	global_load_ushort v2, v[115:116], off
	;; [unrolled: 1-line block ×4, first 2 shown]
	v_cmp_gt_i32_e64 s1, 32, v75
	v_max_f32_e32 v6, v21, v21
	v_max_f32_e32 v7, v22, v22
	;; [unrolled: 1-line block ×4, first 2 shown]
	v_cndmask_b32_e64 v5, v71, v75, s1
	v_max_f32_e32 v10, v25, v25
	v_max_f32_e32 v11, v26, v26
	;; [unrolled: 1-line block ×4, first 2 shown]
	v_lshlrev_b32_e32 v5, 2, v5
	v_cmp_gt_i32_e64 s1, 32, v74
	s_waitcnt vmcnt(0)
	s_barrier
	buffer_gl0_inv
	v_cvt_f32_f16_e32 v1, v1
	v_cvt_f32_f16_e32 v2, v2
	v_cvt_f32_f16_e32 v3, v3
	v_cvt_f32_f16_e32 v4, v4
	v_add_f32_e32 v45, v45, v1
	v_add_f32_e32 v92, v46, v1
	;; [unrolled: 1-line block ×16, first 2 shown]
	v_max_f32_e32 v1, v6, v1
	v_max_f32_e32 v2, v7, v2
	;; [unrolled: 1-line block ×8, first 2 shown]
	ds_bpermute_b32 v10, v5, v1
	ds_bpermute_b32 v11, v5, v2
	ds_bpermute_b32 v12, v5, v3
	ds_bpermute_b32 v46, v5, v4
	ds_bpermute_b32 v91, v5, v6
	ds_bpermute_b32 v93, v5, v7
	ds_bpermute_b32 v94, v5, v8
	ds_bpermute_b32 v5, v5, v9
	v_cndmask_b32_e64 v95, v71, v74, s1
	v_cmp_gt_i32_e64 s1, 32, v73
	v_lshlrev_b32_e32 v95, 2, v95
	s_waitcnt lgkmcnt(7)
	v_max_f32_e32 v10, v10, v10
	s_waitcnt lgkmcnt(6)
	v_max_f32_e32 v11, v11, v11
	;; [unrolled: 2-line block ×6, first 2 shown]
	v_max_f32_e32 v1, v1, v10
	s_waitcnt lgkmcnt(0)
	v_max_f32_e32 v5, v5, v5
	v_max_f32_e32 v94, v94, v94
	;; [unrolled: 1-line block ×7, first 2 shown]
	ds_bpermute_b32 v9, v95, v1
	v_max_f32_e32 v4, v4, v46
	v_max_f32_e32 v8, v8, v94
	ds_bpermute_b32 v10, v95, v2
	ds_bpermute_b32 v11, v95, v3
	ds_bpermute_b32 v46, v95, v6
	ds_bpermute_b32 v91, v95, v7
	ds_bpermute_b32 v94, v95, v5
	ds_bpermute_b32 v12, v95, v4
	ds_bpermute_b32 v93, v95, v8
	v_cndmask_b32_e64 v95, v71, v73, s1
	v_cmp_gt_i32_e64 s1, 32, v72
	v_lshlrev_b32_e32 v95, 2, v95
	s_waitcnt lgkmcnt(7)
	v_max_f32_e32 v9, v9, v9
	s_waitcnt lgkmcnt(6)
	v_max_f32_e32 v10, v10, v10
	;; [unrolled: 2-line block ×6, first 2 shown]
	v_max_f32_e32 v1, v1, v9
	s_waitcnt lgkmcnt(1)
	v_max_f32_e32 v12, v12, v12
	v_max_f32_e32 v2, v2, v10
	;; [unrolled: 1-line block ×6, first 2 shown]
	ds_bpermute_b32 v9, v95, v1
	v_max_f32_e32 v4, v4, v12
	ds_bpermute_b32 v10, v95, v2
	ds_bpermute_b32 v11, v95, v3
	;; [unrolled: 1-line block ×5, first 2 shown]
	s_waitcnt lgkmcnt(6)
	v_max_f32_e32 v93, v93, v93
	ds_bpermute_b32 v12, v95, v4
	v_max_f32_e32 v8, v8, v93
	ds_bpermute_b32 v93, v95, v8
	v_cndmask_b32_e64 v95, v71, v72, s1
	v_cmp_gt_i32_e64 s1, 32, v70
	s_waitcnt lgkmcnt(7)
	v_max_f32_e32 v9, v9, v9
	s_waitcnt lgkmcnt(6)
	v_max_f32_e32 v10, v10, v10
	v_lshlrev_b32_e32 v95, 2, v95
	s_waitcnt lgkmcnt(5)
	v_max_f32_e32 v11, v11, v11
	s_waitcnt lgkmcnt(4)
	v_max_f32_e32 v46, v46, v46
	s_waitcnt lgkmcnt(3)
	v_max_f32_e32 v91, v91, v91
	s_waitcnt lgkmcnt(2)
	v_max_f32_e32 v94, v94, v94
	v_max_f32_e32 v1, v1, v9
	s_waitcnt lgkmcnt(1)
	v_max_f32_e32 v12, v12, v12
	v_max_f32_e32 v2, v2, v10
	;; [unrolled: 1-line block ×6, first 2 shown]
	ds_bpermute_b32 v9, v95, v1
	v_max_f32_e32 v4, v4, v12
	ds_bpermute_b32 v10, v95, v2
	ds_bpermute_b32 v11, v95, v3
	ds_bpermute_b32 v46, v95, v6
	ds_bpermute_b32 v91, v95, v7
	ds_bpermute_b32 v94, v95, v5
	s_waitcnt lgkmcnt(6)
	v_max_f32_e32 v93, v93, v93
	ds_bpermute_b32 v12, v95, v4
	v_max_f32_e32 v8, v8, v93
	ds_bpermute_b32 v93, v95, v8
	v_cndmask_b32_e64 v95, v71, v70, s1
	s_waitcnt lgkmcnt(7)
	v_max_f32_e32 v9, v9, v9
	s_waitcnt lgkmcnt(6)
	v_max_f32_e32 v10, v10, v10
	v_lshlrev_b32_e32 v95, 2, v95
	s_waitcnt lgkmcnt(5)
	v_max_f32_e32 v11, v11, v11
	s_waitcnt lgkmcnt(4)
	v_max_f32_e32 v46, v46, v46
	;; [unrolled: 2-line block ×4, first 2 shown]
	v_max_f32_e32 v1, v1, v9
	s_waitcnt lgkmcnt(1)
	v_max_f32_e32 v12, v12, v12
	v_max_f32_e32 v2, v2, v10
	v_max_f32_e32 v3, v3, v11
	v_max_f32_e32 v6, v6, v46
	v_max_f32_e32 v7, v7, v91
	v_max_f32_e32 v9, v5, v94
	ds_bpermute_b32 v5, v95, v1
	v_max_f32_e32 v4, v4, v12
	ds_bpermute_b32 v10, v95, v2
	ds_bpermute_b32 v11, v95, v3
	;; [unrolled: 1-line block ×5, first 2 shown]
	s_waitcnt lgkmcnt(6)
	v_max_f32_e32 v93, v93, v93
	ds_bpermute_b32 v94, v95, v9
	v_max_f32_e32 v8, v8, v93
	ds_bpermute_b32 v93, v95, v8
	s_waitcnt lgkmcnt(7)
	v_max_f32_e32 v5, v5, v5
	s_waitcnt lgkmcnt(6)
	v_max_f32_e32 v10, v10, v10
	;; [unrolled: 2-line block ×5, first 2 shown]
	v_max_f32_e32 v1, v1, v5
	s_waitcnt lgkmcnt(2)
	v_max_f32_e32 v12, v12, v12
	v_max_f32_e32 v2, v2, v10
	;; [unrolled: 1-line block ×5, first 2 shown]
	v_sub_f32_e32 v91, v45, v1
	v_max_f32_e32 v4, v4, v12
	v_sub_f32_e32 v45, v22, v2
	v_sub_f32_e32 v92, v92, v2
	;; [unrolled: 1-line block ×4, first 2 shown]
	v_mul_f32_e32 v47, 0x3fb8aa3b, v91
	v_sub_f32_e32 v46, v21, v1
	v_sub_f32_e32 v21, v24, v4
	;; [unrolled: 1-line block ×3, first 2 shown]
	v_mul_f32_e32 v48, 0x3fb8aa3b, v92
	v_fma_f32 v95, 0x3fb8aa3b, v91, -v47
	v_rndne_f32_e32 v96, v47
	s_waitcnt lgkmcnt(0)
	v_max_f32_e32 v93, v93, v93
	v_sub_f32_e32 v12, v25, v5
	v_sub_f32_e32 v25, v49, v5
	v_mul_f32_e32 v49, 0x3fb8aa3b, v23
	v_fma_f32 v97, 0x3fb8aa3b, v92, -v48
	v_rndne_f32_e32 v98, v48
	v_fmac_f32_e32 v95, 0x32a5705f, v91
	v_sub_f32_e32 v47, v47, v96
	v_max_f32_e32 v94, v94, v94
	v_max_f32_e32 v7, v8, v93
	v_sub_f32_e32 v11, v26, v6
	v_sub_f32_e32 v26, v50, v6
	v_mul_f32_e32 v50, 0x3fb8aa3b, v24
	v_fma_f32 v99, 0x3fb8aa3b, v23, -v49
	v_rndne_f32_e32 v100, v49
	v_fmac_f32_e32 v97, 0x32a5705f, v92
	v_sub_f32_e32 v48, v48, v98
	v_add_f32_e32 v47, v47, v95
	v_max_f32_e32 v8, v9, v94
	v_sub_f32_e32 v9, v43, v7
	v_sub_f32_e32 v43, v51, v7
	v_mul_f32_e32 v51, 0x3fb8aa3b, v25
	v_fma_f32 v101, 0x3fb8aa3b, v24, -v50
	v_rndne_f32_e32 v102, v50
	v_fmac_f32_e32 v99, 0x32a5705f, v23
	v_sub_f32_e32 v49, v49, v100
	v_add_f32_e32 v48, v48, v97
	v_exp_f32_e32 v47, v47
	v_sub_f32_e32 v10, v44, v8
	v_sub_f32_e32 v44, v52, v8
	v_mul_f32_e32 v52, 0x3fb8aa3b, v26
	v_fma_f32 v103, 0x3fb8aa3b, v25, -v51
	v_rndne_f32_e32 v104, v51
	v_cvt_i32_f32_e32 v96, v96
	v_fmac_f32_e32 v101, 0x32a5705f, v24
	v_sub_f32_e32 v50, v50, v102
	v_add_f32_e32 v49, v49, v99
	v_exp_f32_e32 v48, v48
	v_mul_f32_e32 v93, 0x3fb8aa3b, v43
	v_fma_f32 v105, 0x3fb8aa3b, v26, -v52
	v_rndne_f32_e32 v106, v52
	v_cvt_i32_f32_e32 v98, v98
	v_fmac_f32_e32 v103, 0x32a5705f, v25
	v_sub_f32_e32 v51, v51, v104
	v_add_f32_e32 v50, v50, v101
	v_exp_f32_e32 v49, v49
	v_ldexp_f32 v47, v47, v96
	v_cmp_ngt_f32_e64 s18, 0xc2ce8ed0, v91
	v_mul_f32_e32 v94, 0x3fb8aa3b, v44
	v_fma_f32 v107, 0x3fb8aa3b, v43, -v93
	v_rndne_f32_e32 v108, v93
	v_cvt_i32_f32_e32 v100, v100
	v_fmac_f32_e32 v105, 0x32a5705f, v26
	v_sub_f32_e32 v52, v52, v106
	v_add_f32_e32 v51, v51, v103
	v_exp_f32_e32 v50, v50
	v_ldexp_f32 v48, v48, v98
	v_cndmask_b32_e64 v47, 0, v47, s18
	v_cmp_ngt_f32_e64 s18, 0xc2ce8ed0, v92
	v_fma_f32 v109, 0x3fb8aa3b, v44, -v94
	v_rndne_f32_e32 v110, v94
	v_cvt_i32_f32_e32 v102, v102
	v_fmac_f32_e32 v107, 0x32a5705f, v43
	v_sub_f32_e32 v93, v93, v108
	v_add_f32_e32 v52, v52, v105
	v_exp_f32_e32 v51, v51
	v_ldexp_f32 v49, v49, v100
	v_cndmask_b32_e64 v48, 0, v48, s18
	v_cmp_ngt_f32_e64 s18, 0xc2ce8ed0, v23
	v_cvt_i32_f32_e32 v104, v104
	v_fmac_f32_e32 v109, 0x32a5705f, v44
	v_sub_f32_e32 v94, v94, v110
	v_add_f32_e32 v93, v93, v107
	v_exp_f32_e32 v52, v52
	v_ldexp_f32 v50, v50, v102
	v_cndmask_b32_e64 v49, 0, v49, s18
	v_cmp_ngt_f32_e64 s18, 0xc2ce8ed0, v24
	v_cvt_i32_f32_e32 v106, v106
	v_add_f32_e32 v94, v94, v109
	v_exp_f32_e32 v93, v93
	v_ldexp_f32 v51, v51, v104
	v_cndmask_b32_e64 v50, 0, v50, s18
	v_cmp_ngt_f32_e64 s18, 0xc2ce8ed0, v25
	v_exp_f32_e32 v94, v94
	v_cvt_i32_f32_e32 v95, v108
	v_ldexp_f32 v52, v52, v106
	v_cvt_i32_f32_e32 v97, v110
	v_cndmask_b32_e64 v51, 0, v51, s18
	v_cmp_ngt_f32_e64 s18, 0xc2ce8ed0, v26
	v_ldexp_f32 v93, v93, v95
	v_cmp_ngt_f32_e64 s7, 0xc2ce8ed0, v46
	v_cmp_nlt_f32_e64 s1, 0x42b17218, v46
	v_cmp_ngt_f32_e64 s9, 0xc2ce8ed0, v45
	v_cndmask_b32_e64 v52, 0, v52, s18
	v_cmp_ngt_f32_e64 s18, 0xc2ce8ed0, v43
	v_ldexp_f32 v94, v94, v97
	v_cmp_nlt_f32_e64 s2, 0x42b17218, v45
	v_cmp_ngt_f32_e64 s11, 0xc2ce8ed0, v22
	v_cmp_nlt_f32_e64 s3, 0x42b17218, v22
	v_cndmask_b32_e64 v99, 0, v93, s18
	v_cmp_ngt_f32_e64 s18, 0xc2ce8ed0, v44
	v_cmp_ngt_f32_e64 s13, 0xc2ce8ed0, v21
	v_cmp_nlt_f32_e64 s6, 0x42b17218, v21
	v_cmp_ngt_f32_e64 s14, 0xc2ce8ed0, v12
	v_cmp_nlt_f32_e64 s8, 0x42b17218, v12
	v_cndmask_b32_e64 v100, 0, v94, s18
	v_cmp_nlt_f32_e64 s18, 0x42b17218, v91
	v_cmp_ngt_f32_e64 s15, 0xc2ce8ed0, v11
	v_cmp_nlt_f32_e64 s10, 0x42b17218, v11
	v_cmp_ngt_f32_e64 s16, 0xc2ce8ed0, v9
	v_cmp_nlt_f32_e64 s12, 0x42b17218, v9
	v_cndmask_b32_e64 v98, 0x7f800000, v47, s18
	v_cmp_nlt_f32_e64 s18, 0x42b17218, v92
	v_cmp_ngt_f32_e64 s17, 0xc2ce8ed0, v10
	v_cndmask_b32_e64 v97, 0x7f800000, v48, s18
	v_cmp_nlt_f32_e64 s18, 0x42b17218, v23
	v_cvt_f16_f32_e32 v23, v98
	v_cvt_f16_f32_e32 v48, v97
	v_cndmask_b32_e64 v96, 0x7f800000, v49, s18
	v_cmp_nlt_f32_e64 s18, 0x42b17218, v24
	v_pack_b32_f16 v23, v23, v48
	v_cvt_f16_f32_e32 v24, v96
	v_cndmask_b32_e64 v95, 0x7f800000, v50, s18
	v_cmp_nlt_f32_e64 s18, 0x42b17218, v25
	v_cvt_f16_f32_e32 v47, v95
	v_cndmask_b32_e64 v94, 0x7f800000, v51, s18
	v_cmp_nlt_f32_e64 s18, 0x42b17218, v26
	v_pack_b32_f16 v24, v24, v47
	v_cvt_f16_f32_e32 v25, v94
	v_cndmask_b32_e64 v93, 0x7f800000, v52, s18
	v_cmp_nlt_f32_e64 s18, 0x42b17218, v43
	v_cndmask_b32_e64 v92, 0x7f800000, v99, s18
	v_cmp_nlt_f32_e64 s18, 0x42b17218, v44
	v_cvt_f16_f32_e32 v44, v93
	v_cvt_f16_f32_e32 v26, v92
	v_cndmask_b32_e64 v91, 0x7f800000, v100, s18
	v_cmp_nlt_f32_e64 s18, 0x42b17218, v10
	v_pack_b32_f16 v25, v25, v44
	v_cvt_f16_f32_e32 v43, v91
	v_pack_b32_f16 v26, v26, v43
	ds_write_b128 v89, v[23:26]
	s_and_saveexec_b32 s47, vcc_lo
	s_cbranch_execz .LBB33_27
; %bb.26:                               ;   in Loop: Header=BB33_23 Depth=1
	v_add_co_u32 v23, s19, s28, v58
	v_add_co_ci_u32_e64 v24, null, s29, v59, s19
	global_load_dwordx4 v[23:26], v[23:24], off offset:128
	s_waitcnt vmcnt(0)
	ds_write_b128 v85, v[23:26]
.LBB33_27:                              ;   in Loop: Header=BB33_23 Depth=1
	s_or_b32 exec_lo, exec_lo, s47
	v_add_co_u32 v23, s19, s28, v60
	v_add_co_ci_u32_e64 v24, null, s29, v61, s19
	v_mul_f32_e32 v50, 0x3fb8aa3b, v11
	v_add_co_u32 v23, s19, v23, v88
	v_add_co_ci_u32_e64 v24, null, 0, v24, s19
	v_mul_f32_e32 v51, 0x3fb8aa3b, v9
	v_fma_f32 v109, 0x3fb8aa3b, v11, -v50
	v_rndne_f32_e32 v110, v50
	global_load_dwordx4 v[23:26], v[23:24], off
	v_mul_f32_e32 v43, 0x3fb8aa3b, v46
	v_fma_f32 v111, 0x3fb8aa3b, v9, -v51
	v_rndne_f32_e32 v112, v51
	v_fmac_f32_e32 v109, 0x32a5705f, v11
	v_sub_f32_e32 v11, v50, v110
	v_mul_f32_e32 v44, 0x3fb8aa3b, v45
	v_fmac_f32_e32 v111, 0x32a5705f, v9
	v_sub_f32_e32 v9, v51, v112
	v_mul_f32_e32 v47, 0x3fb8aa3b, v22
	v_add_f32_e32 v11, v11, v109
	v_mul_f32_e32 v48, 0x3fb8aa3b, v21
	v_mul_f32_e32 v49, 0x3fb8aa3b, v12
	v_add_f32_e32 v9, v9, v111
	v_mul_f32_e32 v52, 0x3fb8aa3b, v10
	v_exp_f32_e32 v11, v11
	v_fma_f32 v99, 0x3fb8aa3b, v46, -v43
	v_rndne_f32_e32 v100, v43
	v_exp_f32_e32 v9, v9
	v_fma_f32 v101, 0x3fb8aa3b, v45, -v44
	v_rndne_f32_e32 v102, v44
	v_fma_f32 v103, 0x3fb8aa3b, v22, -v47
	v_rndne_f32_e32 v104, v47
	;; [unrolled: 2-line block ×5, first 2 shown]
	v_cvt_i32_f32_e32 v50, v110
	v_cvt_i32_f32_e32 v51, v112
	v_fmac_f32_e32 v99, 0x32a5705f, v46
	v_sub_f32_e32 v43, v43, v100
	v_fmac_f32_e32 v101, 0x32a5705f, v45
	v_sub_f32_e32 v44, v44, v102
	;; [unrolled: 2-line block ×6, first 2 shown]
	v_ldexp_f32 v11, v11, v50
	v_ldexp_f32 v9, v9, v51
	v_add_f32_e32 v43, v43, v99
	v_add_f32_e32 v44, v44, v101
	;; [unrolled: 1-line block ×6, first 2 shown]
	v_cndmask_b32_e64 v11, 0, v11, s15
	v_cndmask_b32_e64 v9, 0, v9, s16
	v_exp_f32_e32 v43, v43
	v_exp_f32_e32 v44, v44
	;; [unrolled: 1-line block ×6, first 2 shown]
	v_cndmask_b32_e64 v11, 0x7f800000, v11, s10
	v_cndmask_b32_e64 v9, 0x7f800000, v9, s12
	v_cvt_i32_f32_e32 v46, v100
	v_cvt_i32_f32_e32 v45, v102
	;; [unrolled: 1-line block ×6, first 2 shown]
	v_fmac_f32_e32 v93, v18, v11
	v_fmac_f32_e32 v92, v19, v9
	v_cvt_f16_f32_e32 v11, v11
	v_cvt_f16_f32_e32 v9, v9
	v_ldexp_f32 v43, v43, v46
	v_ldexp_f32 v44, v44, v45
	;; [unrolled: 1-line block ×6, first 2 shown]
	v_mul_u32_u24_sdwa v11, v11, v90 dst_sel:DWORD dst_unused:UNUSED_PAD src0_sel:WORD_0 src1_sel:DWORD
	v_mul_u32_u24_sdwa v9, v9, v90 dst_sel:DWORD dst_unused:UNUSED_PAD src0_sel:WORD_0 src1_sel:DWORD
	v_cndmask_b32_e64 v43, 0, v43, s7
	v_cndmask_b32_e64 v44, 0, v44, s9
	v_cndmask_b32_e64 v22, 0, v22, s11
	v_cndmask_b32_e64 v21, 0, v21, s13
	v_cndmask_b32_e64 v12, 0, v12, s14
	v_cndmask_b32_e64 v10, 0, v10, s17
	v_pk_mul_f16 v110, v31, v11
	v_pk_mul_f16 v108, v32, v11
	;; [unrolled: 1-line block ×4, first 2 shown]
	v_cndmask_b32_e64 v43, 0x7f800000, v43, s1
	v_cndmask_b32_e64 v44, 0x7f800000, v44, s2
	;; [unrolled: 1-line block ×6, first 2 shown]
	v_fmac_f32_e32 v98, v13, v43
	v_fmac_f32_e32 v97, v14, v44
	;; [unrolled: 1-line block ×6, first 2 shown]
	v_cvt_f16_f32_e32 v13, v43
	v_cvt_f16_f32_e32 v14, v44
	;; [unrolled: 1-line block ×6, first 2 shown]
	v_mul_u32_u24_sdwa v13, v13, v90 dst_sel:DWORD dst_unused:UNUSED_PAD src0_sel:WORD_0 src1_sel:DWORD
	v_mul_u32_u24_sdwa v14, v14, v90 dst_sel:DWORD dst_unused:UNUSED_PAD src0_sel:WORD_0 src1_sel:DWORD
	;; [unrolled: 1-line block ×6, first 2 shown]
	v_pk_mul_f16 v102, v41, v13
	v_pk_mul_f16 v100, v42, v13
	;; [unrolled: 1-line block ×12, first 2 shown]
	s_waitcnt vmcnt(0)
	ds_write_b128 v87, v[23:26]
	s_waitcnt lgkmcnt(0)
	s_barrier
	buffer_gl0_inv
	ds_read_b128 v[29:32], v84
	ds_read_b128 v[25:28], v84 offset:16
	ds_read2_b64 v[9:12], v86 offset1:18
	ds_read_b128 v[21:24], v84 offset:32
	ds_read_b128 v[17:20], v84 offset:48
	ds_read2_b64 v[13:16], v86 offset0:36 offset1:54
	ds_read_b128 v[37:40], v84 offset:64
	ds_read_b128 v[41:44], v84 offset:80
	;; [unrolled: 1-line block ×6, first 2 shown]
	ds_read2_b64 v[127:130], v86 offset0:72 offset1:90
	ds_read2_b64 v[49:52], v86 offset0:108 offset1:126
	;; [unrolled: 1-line block ×4, first 2 shown]
	ds_read_b128 v[135:138], v84 offset:160
	ds_read_b128 v[139:142], v84 offset:176
	s_waitcnt lgkmcnt(16)
	v_mul_u32_u24_sdwa v147, v25, v90 dst_sel:DWORD dst_unused:UNUSED_PAD src0_sel:WORD_0 src1_sel:DWORD
	v_mul_u32_u24_sdwa v25, v25, v90 dst_sel:DWORD dst_unused:UNUSED_PAD src0_sel:WORD_1 src1_sel:DWORD
	v_mul_u32_u24_sdwa v148, v26, v90 dst_sel:DWORD dst_unused:UNUSED_PAD src0_sel:WORD_0 src1_sel:DWORD
	v_mul_u32_u24_sdwa v26, v26, v90 dst_sel:DWORD dst_unused:UNUSED_PAD src0_sel:WORD_1 src1_sel:DWORD
	;; [unrolled: 2-line block ×4, first 2 shown]
	s_waitcnt lgkmcnt(14)
	v_mul_u32_u24_sdwa v151, v21, v90 dst_sel:DWORD dst_unused:UNUSED_PAD src0_sel:WORD_0 src1_sel:DWORD
	v_mul_u32_u24_sdwa v21, v21, v90 dst_sel:DWORD dst_unused:UNUSED_PAD src0_sel:WORD_1 src1_sel:DWORD
	v_mul_u32_u24_sdwa v152, v22, v90 dst_sel:DWORD dst_unused:UNUSED_PAD src0_sel:WORD_0 src1_sel:DWORD
	v_mul_u32_u24_sdwa v22, v22, v90 dst_sel:DWORD dst_unused:UNUSED_PAD src0_sel:WORD_1 src1_sel:DWORD
	;; [unrolled: 2-line block ×3, first 2 shown]
	v_mul_u32_u24_sdwa v154, v24, v90 dst_sel:DWORD dst_unused:UNUSED_PAD src0_sel:WORD_0 src1_sel:DWORD
	v_mul_u32_u24_sdwa v143, v29, v90 dst_sel:DWORD dst_unused:UNUSED_PAD src0_sel:WORD_0 src1_sel:DWORD
	v_mul_u32_u24_sdwa v29, v29, v90 dst_sel:DWORD dst_unused:UNUSED_PAD src0_sel:WORD_1 src1_sel:DWORD
	v_mul_u32_u24_sdwa v144, v30, v90 dst_sel:DWORD dst_unused:UNUSED_PAD src0_sel:WORD_0 src1_sel:DWORD
	v_mul_u32_u24_sdwa v30, v30, v90 dst_sel:DWORD dst_unused:UNUSED_PAD src0_sel:WORD_1 src1_sel:DWORD
	;; [unrolled: 2-line block ×4, first 2 shown]
	v_pk_fma_f16 v102, v9, v143, v102
	v_pk_fma_f16 v105, v9, v29, v105
	v_pk_fma_f16 v106, v9, v144, v106
	v_pk_fma_f16 v100, v10, v143, v100
	v_pk_fma_f16 v29, v10, v29, v101
	v_pk_fma_f16 v101, v10, v144, v103
	v_pk_fma_f16 v103, v9, v30, v104
	v_pk_fma_f16 v104, v9, v145, v109
	v_pk_fma_f16 v109, v9, v31, v110
	v_pk_fma_f16 v110, v9, v146, v111
	v_pk_fma_f16 v30, v10, v30, v99
	v_pk_fma_f16 v99, v10, v145, v107
	v_pk_fma_f16 v31, v10, v31, v108
	v_pk_fma_f16 v107, v10, v146, v112
	v_pk_fma_f16 v9, v9, v32, v113
	v_pk_fma_f16 v10, v10, v32, v114
	v_mul_u32_u24_sdwa v24, v24, v90 dst_sel:DWORD dst_unused:UNUSED_PAD src0_sel:WORD_1 src1_sel:DWORD
	v_pk_fma_f16 v32, v11, v147, v102
	v_pk_fma_f16 v102, v11, v25, v105
	;; [unrolled: 1-line block ×16, first 2 shown]
	s_waitcnt lgkmcnt(13)
	v_mul_u32_u24_sdwa v155, v17, v90 dst_sel:DWORD dst_unused:UNUSED_PAD src0_sel:WORD_0 src1_sel:DWORD
	v_mul_u32_u24_sdwa v17, v17, v90 dst_sel:DWORD dst_unused:UNUSED_PAD src0_sel:WORD_1 src1_sel:DWORD
	v_mul_u32_u24_sdwa v156, v18, v90 dst_sel:DWORD dst_unused:UNUSED_PAD src0_sel:WORD_0 src1_sel:DWORD
	v_mul_u32_u24_sdwa v18, v18, v90 dst_sel:DWORD dst_unused:UNUSED_PAD src0_sel:WORD_1 src1_sel:DWORD
	;; [unrolled: 2-line block ×4, first 2 shown]
	s_waitcnt lgkmcnt(12)
	v_pk_fma_f16 v11, v13, v151, v32
	v_pk_fma_f16 v12, v14, v151, v100
	;; [unrolled: 1-line block ×16, first 2 shown]
	s_waitcnt lgkmcnt(11)
	v_mul_u32_u24_sdwa v159, v37, v90 dst_sel:DWORD dst_unused:UNUSED_PAD src0_sel:WORD_0 src1_sel:DWORD
	v_mul_u32_u24_sdwa v37, v37, v90 dst_sel:DWORD dst_unused:UNUSED_PAD src0_sel:WORD_1 src1_sel:DWORD
	v_mul_u32_u24_sdwa v160, v38, v90 dst_sel:DWORD dst_unused:UNUSED_PAD src0_sel:WORD_0 src1_sel:DWORD
	v_mul_u32_u24_sdwa v38, v38, v90 dst_sel:DWORD dst_unused:UNUSED_PAD src0_sel:WORD_1 src1_sel:DWORD
	v_mul_u32_u24_sdwa v161, v39, v90 dst_sel:DWORD dst_unused:UNUSED_PAD src0_sel:WORD_0 src1_sel:DWORD
	v_mul_u32_u24_sdwa v39, v39, v90 dst_sel:DWORD dst_unused:UNUSED_PAD src0_sel:WORD_1 src1_sel:DWORD
	v_mul_u32_u24_sdwa v162, v40, v90 dst_sel:DWORD dst_unused:UNUSED_PAD src0_sel:WORD_0 src1_sel:DWORD
	v_mul_u32_u24_sdwa v40, v40, v90 dst_sel:DWORD dst_unused:UNUSED_PAD src0_sel:WORD_1 src1_sel:DWORD
	v_pk_fma_f16 v11, v15, v155, v11
	v_pk_fma_f16 v14, v15, v17, v28
	;; [unrolled: 1-line block ×16, first 2 shown]
	s_waitcnt lgkmcnt(10)
	v_mul_u32_u24_sdwa v163, v41, v90 dst_sel:DWORD dst_unused:UNUSED_PAD src0_sel:WORD_0 src1_sel:DWORD
	v_mul_u32_u24_sdwa v41, v41, v90 dst_sel:DWORD dst_unused:UNUSED_PAD src0_sel:WORD_1 src1_sel:DWORD
	v_mul_u32_u24_sdwa v164, v42, v90 dst_sel:DWORD dst_unused:UNUSED_PAD src0_sel:WORD_0 src1_sel:DWORD
	v_mul_u32_u24_sdwa v42, v42, v90 dst_sel:DWORD dst_unused:UNUSED_PAD src0_sel:WORD_1 src1_sel:DWORD
	;; [unrolled: 2-line block ×4, first 2 shown]
	s_waitcnt lgkmcnt(5)
	v_pk_fma_f16 v11, v127, v159, v11
	v_pk_fma_f16 v14, v127, v37, v14
	;; [unrolled: 1-line block ×16, first 2 shown]
	v_mul_u32_u24_sdwa v167, v45, v90 dst_sel:DWORD dst_unused:UNUSED_PAD src0_sel:WORD_0 src1_sel:DWORD
	v_mul_u32_u24_sdwa v45, v45, v90 dst_sel:DWORD dst_unused:UNUSED_PAD src0_sel:WORD_1 src1_sel:DWORD
	v_mul_u32_u24_sdwa v168, v46, v90 dst_sel:DWORD dst_unused:UNUSED_PAD src0_sel:WORD_0 src1_sel:DWORD
	v_mul_u32_u24_sdwa v46, v46, v90 dst_sel:DWORD dst_unused:UNUSED_PAD src0_sel:WORD_1 src1_sel:DWORD
	;; [unrolled: 2-line block ×4, first 2 shown]
	v_pk_fma_f16 v11, v129, v163, v11
	v_pk_fma_f16 v14, v129, v41, v14
	;; [unrolled: 1-line block ×16, first 2 shown]
	v_mul_u32_u24_sdwa v171, v115, v90 dst_sel:DWORD dst_unused:UNUSED_PAD src0_sel:WORD_0 src1_sel:DWORD
	v_mul_u32_u24_sdwa v115, v115, v90 dst_sel:DWORD dst_unused:UNUSED_PAD src0_sel:WORD_1 src1_sel:DWORD
	v_mul_u32_u24_sdwa v172, v116, v90 dst_sel:DWORD dst_unused:UNUSED_PAD src0_sel:WORD_0 src1_sel:DWORD
	v_mul_u32_u24_sdwa v116, v116, v90 dst_sel:DWORD dst_unused:UNUSED_PAD src0_sel:WORD_1 src1_sel:DWORD
	;; [unrolled: 2-line block ×4, first 2 shown]
	s_waitcnt lgkmcnt(4)
	v_pk_fma_f16 v11, v49, v167, v11
	v_pk_fma_f16 v14, v49, v45, v14
	;; [unrolled: 1-line block ×16, first 2 shown]
	v_mul_u32_u24_sdwa v175, v119, v90 dst_sel:DWORD dst_unused:UNUSED_PAD src0_sel:WORD_0 src1_sel:DWORD
	v_mul_u32_u24_sdwa v119, v119, v90 dst_sel:DWORD dst_unused:UNUSED_PAD src0_sel:WORD_1 src1_sel:DWORD
	v_mul_u32_u24_sdwa v176, v120, v90 dst_sel:DWORD dst_unused:UNUSED_PAD src0_sel:WORD_0 src1_sel:DWORD
	v_mul_u32_u24_sdwa v120, v120, v90 dst_sel:DWORD dst_unused:UNUSED_PAD src0_sel:WORD_1 src1_sel:DWORD
	;; [unrolled: 2-line block ×4, first 2 shown]
	v_pk_fma_f16 v11, v51, v171, v11
	v_pk_fma_f16 v14, v51, v115, v14
	;; [unrolled: 1-line block ×16, first 2 shown]
	v_mul_u32_u24_sdwa v179, v123, v90 dst_sel:DWORD dst_unused:UNUSED_PAD src0_sel:WORD_0 src1_sel:DWORD
	v_mul_u32_u24_sdwa v123, v123, v90 dst_sel:DWORD dst_unused:UNUSED_PAD src0_sel:WORD_1 src1_sel:DWORD
	v_mul_u32_u24_sdwa v180, v124, v90 dst_sel:DWORD dst_unused:UNUSED_PAD src0_sel:WORD_0 src1_sel:DWORD
	v_mul_u32_u24_sdwa v124, v124, v90 dst_sel:DWORD dst_unused:UNUSED_PAD src0_sel:WORD_1 src1_sel:DWORD
	;; [unrolled: 2-line block ×4, first 2 shown]
	s_waitcnt lgkmcnt(3)
	v_pk_fma_f16 v11, v131, v175, v11
	v_pk_fma_f16 v14, v131, v119, v14
	;; [unrolled: 1-line block ×16, first 2 shown]
	s_waitcnt lgkmcnt(1)
	v_mul_u32_u24_sdwa v183, v135, v90 dst_sel:DWORD dst_unused:UNUSED_PAD src0_sel:WORD_0 src1_sel:DWORD
	v_mul_u32_u24_sdwa v135, v135, v90 dst_sel:DWORD dst_unused:UNUSED_PAD src0_sel:WORD_1 src1_sel:DWORD
	v_mul_u32_u24_sdwa v184, v136, v90 dst_sel:DWORD dst_unused:UNUSED_PAD src0_sel:WORD_0 src1_sel:DWORD
	v_mul_u32_u24_sdwa v136, v136, v90 dst_sel:DWORD dst_unused:UNUSED_PAD src0_sel:WORD_1 src1_sel:DWORD
	;; [unrolled: 2-line block ×4, first 2 shown]
	v_pk_fma_f16 v11, v133, v179, v11
	v_pk_fma_f16 v14, v133, v123, v14
	;; [unrolled: 1-line block ×32, first 2 shown]
	s_waitcnt lgkmcnt(0)
	v_mul_u32_u24_sdwa v31, v139, v90 dst_sel:DWORD dst_unused:UNUSED_PAD src0_sel:WORD_0 src1_sel:DWORD
	v_mul_u32_u24_sdwa v32, v139, v90 dst_sel:DWORD dst_unused:UNUSED_PAD src0_sel:WORD_1 src1_sel:DWORD
	v_mul_u32_u24_sdwa v33, v140, v90 dst_sel:DWORD dst_unused:UNUSED_PAD src0_sel:WORD_0 src1_sel:DWORD
	v_mul_u32_u24_sdwa v34, v140, v90 dst_sel:DWORD dst_unused:UNUSED_PAD src0_sel:WORD_1 src1_sel:DWORD
	;; [unrolled: 2-line block ×3, first 2 shown]
	ds_read_b128 v[9:12], v84 offset:192
	v_pk_fma_f16 v25, v35, v31, v25
	v_pk_fma_f16 v41, v35, v32, v14
	;; [unrolled: 1-line block ×4, first 2 shown]
	ds_read2_b64 v[13:16], v86 offset0:216 offset1:234
	v_pk_fma_f16 v27, v36, v31, v27
	v_pk_fma_f16 v28, v36, v32, v28
	;; [unrolled: 1-line block ×6, first 2 shown]
	ds_read_b128 v[17:20], v84 offset:208
	v_mul_u32_u24_sdwa v39, v142, v90 dst_sel:DWORD dst_unused:UNUSED_PAD src0_sel:WORD_0 src1_sel:DWORD
	v_mul_u32_u24_sdwa v40, v142, v90 dst_sel:DWORD dst_unused:UNUSED_PAD src0_sel:WORD_1 src1_sel:DWORD
	v_pk_fma_f16 v22, v35, v37, v22
	v_pk_fma_f16 v23, v35, v38, v23
	v_pk_fma_f16 v24, v35, v39, v24
	v_pk_fma_f16 v26, v35, v40, v26
	v_pk_fma_f16 v21, v36, v39, v21
	v_pk_fma_f16 v30, v36, v40, v30
	s_waitcnt lgkmcnt(2)
	v_mul_u32_u24_sdwa v34, v9, v90 dst_sel:DWORD dst_unused:UNUSED_PAD src0_sel:WORD_0 src1_sel:DWORD
	v_mul_u32_u24_sdwa v9, v9, v90 dst_sel:DWORD dst_unused:UNUSED_PAD src0_sel:WORD_1 src1_sel:DWORD
	v_mul_u32_u24_sdwa v35, v10, v90 dst_sel:DWORD dst_unused:UNUSED_PAD src0_sel:WORD_0 src1_sel:DWORD
	v_mul_u32_u24_sdwa v10, v10, v90 dst_sel:DWORD dst_unused:UNUSED_PAD src0_sel:WORD_1 src1_sel:DWORD
	;; [unrolled: 2-line block ×4, first 2 shown]
	s_waitcnt lgkmcnt(1)
	v_pk_fma_f16 v25, v13, v34, v25
	v_pk_fma_f16 v38, v13, v9, v41
	;; [unrolled: 1-line block ×16, first 2 shown]
	s_waitcnt lgkmcnt(0)
	v_mul_u32_u24_sdwa v30, v17, v90 dst_sel:DWORD dst_unused:UNUSED_PAD src0_sel:WORD_0 src1_sel:DWORD
	v_mul_u32_u24_sdwa v33, v17, v90 dst_sel:DWORD dst_unused:UNUSED_PAD src0_sel:WORD_1 src1_sel:DWORD
	v_mul_u32_u24_sdwa v34, v18, v90 dst_sel:DWORD dst_unused:UNUSED_PAD src0_sel:WORD_0 src1_sel:DWORD
	v_mul_u32_u24_sdwa v35, v18, v90 dst_sel:DWORD dst_unused:UNUSED_PAD src0_sel:WORD_1 src1_sel:DWORD
	;; [unrolled: 2-line block ×4, first 2 shown]
	ds_read_b128 v[9:12], v84 offset:224
	v_add_nc_u32_e32 v17, 0x400, v86
	v_pk_fma_f16 v25, v15, v30, v25
	v_pk_fma_f16 v38, v15, v33, v38
	;; [unrolled: 1-line block ×6, first 2 shown]
	ds_read2_b64 v[17:20], v17 offset0:124 offset1:142
	v_pk_fma_f16 v24, v15, v41, v24
	v_pk_fma_f16 v43, v15, v42, v13
	;; [unrolled: 1-line block ×10, first 2 shown]
	ds_read_b128 v[13:16], v84 offset:240
	s_waitcnt lgkmcnt(2)
	v_mul_u32_u24_sdwa v33, v9, v90 dst_sel:DWORD dst_unused:UNUSED_PAD src0_sel:WORD_0 src1_sel:DWORD
	v_mul_u32_u24_sdwa v9, v9, v90 dst_sel:DWORD dst_unused:UNUSED_PAD src0_sel:WORD_1 src1_sel:DWORD
	v_mul_u32_u24_sdwa v34, v10, v90 dst_sel:DWORD dst_unused:UNUSED_PAD src0_sel:WORD_0 src1_sel:DWORD
	v_mul_u32_u24_sdwa v10, v10, v90 dst_sel:DWORD dst_unused:UNUSED_PAD src0_sel:WORD_1 src1_sel:DWORD
	;; [unrolled: 2-line block ×4, first 2 shown]
	s_waitcnt lgkmcnt(1)
	v_pk_fma_f16 v25, v17, v33, v25
	v_pk_fma_f16 v37, v17, v9, v38
	v_pk_fma_f16 v38, v17, v34, v39
	v_pk_fma_f16 v39, v17, v10, v40
	v_pk_fma_f16 v22, v17, v35, v22
	v_pk_fma_f16 v23, v17, v11, v23
	v_pk_fma_f16 v24, v17, v36, v24
	v_pk_fma_f16 v17, v17, v12, v43
	v_pk_fma_f16 v26, v18, v33, v26
	v_pk_fma_f16 v27, v18, v9, v27
	v_pk_fma_f16 v28, v18, v34, v28
	v_pk_fma_f16 v29, v18, v10, v29
	v_pk_fma_f16 v30, v18, v35, v30
	v_pk_fma_f16 v31, v18, v11, v31
	v_pk_fma_f16 v21, v18, v36, v21
	v_pk_fma_f16 v18, v18, v12, v32
	s_waitcnt lgkmcnt(0)
	v_mul_u32_u24_sdwa v32, v13, v90 dst_sel:DWORD dst_unused:UNUSED_PAD src0_sel:WORD_0 src1_sel:DWORD
	v_mul_u32_u24_sdwa v33, v13, v90 dst_sel:DWORD dst_unused:UNUSED_PAD src0_sel:WORD_1 src1_sel:DWORD
	v_mul_u32_u24_sdwa v34, v14, v90 dst_sel:DWORD dst_unused:UNUSED_PAD src0_sel:WORD_0 src1_sel:DWORD
	v_mul_u32_u24_sdwa v35, v14, v90 dst_sel:DWORD dst_unused:UNUSED_PAD src0_sel:WORD_1 src1_sel:DWORD
	;; [unrolled: 2-line block ×4, first 2 shown]
	ds_read_b128 v[9:12], v84 offset:256
	v_add_nc_u32_e32 v43, 0x800, v86
	v_pk_fma_f16 v25, v19, v32, v25
	v_pk_fma_f16 v37, v19, v33, v37
	v_pk_fma_f16 v38, v19, v34, v38
	v_pk_fma_f16 v39, v19, v35, v39
	v_pk_fma_f16 v22, v19, v36, v22
	v_pk_fma_f16 v23, v19, v40, v23
	ds_read2_b64 v[13:16], v43 offset0:32 offset1:50
	v_pk_fma_f16 v24, v19, v41, v24
	v_pk_fma_f16 v44, v19, v42, v17
	v_pk_fma_f16 v26, v20, v32, v26
	v_pk_fma_f16 v27, v20, v33, v27
	v_pk_fma_f16 v28, v20, v34, v28
	v_pk_fma_f16 v29, v20, v35, v29
	v_pk_fma_f16 v30, v20, v36, v30
	v_pk_fma_f16 v31, v20, v40, v31
	v_pk_fma_f16 v21, v20, v41, v21
	v_pk_fma_f16 v32, v20, v42, v18
	ds_read_b128 v[17:20], v84 offset:272
	s_waitcnt lgkmcnt(2)
	v_mul_u32_u24_sdwa v33, v9, v90 dst_sel:DWORD dst_unused:UNUSED_PAD src0_sel:WORD_0 src1_sel:DWORD
	v_mul_u32_u24_sdwa v9, v9, v90 dst_sel:DWORD dst_unused:UNUSED_PAD src0_sel:WORD_1 src1_sel:DWORD
	v_mul_u32_u24_sdwa v34, v10, v90 dst_sel:DWORD dst_unused:UNUSED_PAD src0_sel:WORD_0 src1_sel:DWORD
	v_mul_u32_u24_sdwa v10, v10, v90 dst_sel:DWORD dst_unused:UNUSED_PAD src0_sel:WORD_1 src1_sel:DWORD
	v_mul_u32_u24_sdwa v35, v11, v90 dst_sel:DWORD dst_unused:UNUSED_PAD src0_sel:WORD_0 src1_sel:DWORD
	v_mul_u32_u24_sdwa v11, v11, v90 dst_sel:DWORD dst_unused:UNUSED_PAD src0_sel:WORD_1 src1_sel:DWORD
	v_mul_u32_u24_sdwa v36, v12, v90 dst_sel:DWORD dst_unused:UNUSED_PAD src0_sel:WORD_0 src1_sel:DWORD
	v_mul_u32_u24_sdwa v12, v12, v90 dst_sel:DWORD dst_unused:UNUSED_PAD src0_sel:WORD_1 src1_sel:DWORD
	s_waitcnt lgkmcnt(1)
	v_pk_fma_f16 v25, v13, v33, v25
	v_pk_fma_f16 v37, v13, v9, v37
	v_pk_fma_f16 v38, v13, v34, v38
	v_pk_fma_f16 v39, v13, v10, v39
	v_pk_fma_f16 v22, v13, v35, v22
	v_pk_fma_f16 v23, v13, v11, v23
	v_pk_fma_f16 v24, v13, v36, v24
	v_pk_fma_f16 v13, v13, v12, v44
	v_pk_fma_f16 v26, v14, v33, v26
	v_pk_fma_f16 v27, v14, v9, v27
	v_pk_fma_f16 v28, v14, v34, v28
	v_pk_fma_f16 v29, v14, v10, v29
	v_pk_fma_f16 v30, v14, v35, v30
	v_pk_fma_f16 v31, v14, v11, v31
	v_pk_fma_f16 v21, v14, v36, v21
	v_pk_fma_f16 v14, v14, v12, v32
	s_waitcnt lgkmcnt(0)
	v_mul_u32_u24_sdwa v32, v17, v90 dst_sel:DWORD dst_unused:UNUSED_PAD src0_sel:WORD_0 src1_sel:DWORD
	v_mul_u32_u24_sdwa v33, v17, v90 dst_sel:DWORD dst_unused:UNUSED_PAD src0_sel:WORD_1 src1_sel:DWORD
	v_mul_u32_u24_sdwa v34, v18, v90 dst_sel:DWORD dst_unused:UNUSED_PAD src0_sel:WORD_0 src1_sel:DWORD
	v_mul_u32_u24_sdwa v35, v18, v90 dst_sel:DWORD dst_unused:UNUSED_PAD src0_sel:WORD_1 src1_sel:DWORD
	v_mul_u32_u24_sdwa v36, v19, v90 dst_sel:DWORD dst_unused:UNUSED_PAD src0_sel:WORD_0 src1_sel:DWORD
	v_mul_u32_u24_sdwa v40, v19, v90 dst_sel:DWORD dst_unused:UNUSED_PAD src0_sel:WORD_1 src1_sel:DWORD
	v_mul_u32_u24_sdwa v41, v20, v90 dst_sel:DWORD dst_unused:UNUSED_PAD src0_sel:WORD_0 src1_sel:DWORD
	ds_read_b128 v[9:12], v84 offset:288
	v_mul_u32_u24_sdwa v42, v20, v90 dst_sel:DWORD dst_unused:UNUSED_PAD src0_sel:WORD_1 src1_sel:DWORD
	v_pk_fma_f16 v25, v15, v32, v25
	v_pk_fma_f16 v37, v15, v33, v37
	v_pk_fma_f16 v38, v15, v34, v38
	v_pk_fma_f16 v39, v15, v35, v39
	v_pk_fma_f16 v22, v15, v36, v22
	v_pk_fma_f16 v23, v15, v40, v23
	ds_read2_b64 v[17:20], v43 offset0:68 offset1:86
	v_pk_fma_f16 v24, v15, v41, v24
	v_pk_fma_f16 v44, v15, v42, v13
	v_pk_fma_f16 v26, v16, v32, v26
	v_pk_fma_f16 v27, v16, v33, v27
	v_pk_fma_f16 v28, v16, v34, v28
	v_pk_fma_f16 v29, v16, v35, v29
	v_pk_fma_f16 v30, v16, v36, v30
	v_pk_fma_f16 v31, v16, v40, v31
	v_pk_fma_f16 v21, v16, v41, v21
	v_pk_fma_f16 v32, v16, v42, v14
	ds_read_b128 v[13:16], v84 offset:304
	s_waitcnt lgkmcnt(2)
	v_mul_u32_u24_sdwa v33, v9, v90 dst_sel:DWORD dst_unused:UNUSED_PAD src0_sel:WORD_0 src1_sel:DWORD
	v_mul_u32_u24_sdwa v9, v9, v90 dst_sel:DWORD dst_unused:UNUSED_PAD src0_sel:WORD_1 src1_sel:DWORD
	v_mul_u32_u24_sdwa v34, v10, v90 dst_sel:DWORD dst_unused:UNUSED_PAD src0_sel:WORD_0 src1_sel:DWORD
	v_mul_u32_u24_sdwa v10, v10, v90 dst_sel:DWORD dst_unused:UNUSED_PAD src0_sel:WORD_1 src1_sel:DWORD
	v_mul_u32_u24_sdwa v35, v11, v90 dst_sel:DWORD dst_unused:UNUSED_PAD src0_sel:WORD_0 src1_sel:DWORD
	v_mul_u32_u24_sdwa v11, v11, v90 dst_sel:DWORD dst_unused:UNUSED_PAD src0_sel:WORD_1 src1_sel:DWORD
	v_mul_u32_u24_sdwa v36, v12, v90 dst_sel:DWORD dst_unused:UNUSED_PAD src0_sel:WORD_0 src1_sel:DWORD
	v_mul_u32_u24_sdwa v12, v12, v90 dst_sel:DWORD dst_unused:UNUSED_PAD src0_sel:WORD_1 src1_sel:DWORD
	s_waitcnt lgkmcnt(1)
	v_pk_fma_f16 v25, v17, v33, v25
	v_pk_fma_f16 v37, v17, v9, v37
	v_pk_fma_f16 v38, v17, v34, v38
	v_pk_fma_f16 v39, v17, v10, v39
	v_pk_fma_f16 v22, v17, v35, v22
	v_pk_fma_f16 v23, v17, v11, v23
	v_pk_fma_f16 v24, v17, v36, v24
	v_pk_fma_f16 v17, v17, v12, v44
	v_pk_fma_f16 v26, v18, v33, v26
	v_pk_fma_f16 v27, v18, v9, v27
	v_pk_fma_f16 v28, v18, v34, v28
	v_pk_fma_f16 v29, v18, v10, v29
	v_pk_fma_f16 v30, v18, v35, v30
	v_pk_fma_f16 v31, v18, v11, v31
	v_pk_fma_f16 v21, v18, v36, v21
	v_pk_fma_f16 v18, v18, v12, v32
	s_waitcnt lgkmcnt(0)
	v_mul_u32_u24_sdwa v32, v13, v90 dst_sel:DWORD dst_unused:UNUSED_PAD src0_sel:WORD_0 src1_sel:DWORD
	v_mul_u32_u24_sdwa v33, v13, v90 dst_sel:DWORD dst_unused:UNUSED_PAD src0_sel:WORD_1 src1_sel:DWORD
	v_mul_u32_u24_sdwa v34, v14, v90 dst_sel:DWORD dst_unused:UNUSED_PAD src0_sel:WORD_0 src1_sel:DWORD
	v_mul_u32_u24_sdwa v35, v14, v90 dst_sel:DWORD dst_unused:UNUSED_PAD src0_sel:WORD_1 src1_sel:DWORD
	v_mul_u32_u24_sdwa v36, v15, v90 dst_sel:DWORD dst_unused:UNUSED_PAD src0_sel:WORD_0 src1_sel:DWORD
	v_mul_u32_u24_sdwa v40, v15, v90 dst_sel:DWORD dst_unused:UNUSED_PAD src0_sel:WORD_1 src1_sel:DWORD
	v_mul_u32_u24_sdwa v41, v16, v90 dst_sel:DWORD dst_unused:UNUSED_PAD src0_sel:WORD_0 src1_sel:DWORD
	ds_read_b128 v[9:12], v84 offset:320
	v_mul_u32_u24_sdwa v42, v16, v90 dst_sel:DWORD dst_unused:UNUSED_PAD src0_sel:WORD_1 src1_sel:DWORD
	;; [unrolled: 54-line block ×5, first 2 shown]
	v_pk_fma_f16 v25, v15, v32, v25
	v_pk_fma_f16 v37, v15, v33, v37
	;; [unrolled: 1-line block ×6, first 2 shown]
	ds_read2_b64 v[17:20], v43 offset0:212 offset1:230
	v_pk_fma_f16 v24, v15, v41, v24
	v_pk_fma_f16 v43, v15, v42, v13
	;; [unrolled: 1-line block ×10, first 2 shown]
	ds_read_b128 v[13:16], v84 offset:432
	s_waitcnt lgkmcnt(2)
	v_mul_u32_u24_sdwa v33, v9, v90 dst_sel:DWORD dst_unused:UNUSED_PAD src0_sel:WORD_0 src1_sel:DWORD
	v_mul_u32_u24_sdwa v9, v9, v90 dst_sel:DWORD dst_unused:UNUSED_PAD src0_sel:WORD_1 src1_sel:DWORD
	v_mul_u32_u24_sdwa v34, v10, v90 dst_sel:DWORD dst_unused:UNUSED_PAD src0_sel:WORD_0 src1_sel:DWORD
	v_mul_u32_u24_sdwa v10, v10, v90 dst_sel:DWORD dst_unused:UNUSED_PAD src0_sel:WORD_1 src1_sel:DWORD
	;; [unrolled: 2-line block ×4, first 2 shown]
	s_waitcnt lgkmcnt(1)
	v_pk_fma_f16 v25, v17, v33, v25
	v_pk_fma_f16 v37, v17, v9, v37
	v_pk_fma_f16 v38, v17, v34, v38
	v_pk_fma_f16 v39, v17, v10, v39
	v_pk_fma_f16 v22, v17, v35, v22
	v_pk_fma_f16 v23, v17, v11, v23
	v_pk_fma_f16 v24, v17, v36, v24
	v_pk_fma_f16 v17, v17, v12, v43
	v_pk_fma_f16 v26, v18, v33, v26
	v_pk_fma_f16 v27, v18, v9, v27
	v_pk_fma_f16 v28, v18, v34, v28
	v_pk_fma_f16 v29, v18, v10, v29
	v_pk_fma_f16 v30, v18, v35, v30
	v_pk_fma_f16 v31, v18, v11, v31
	v_pk_fma_f16 v21, v18, v36, v21
	v_pk_fma_f16 v18, v18, v12, v32
	s_waitcnt lgkmcnt(0)
	v_mul_u32_u24_sdwa v32, v13, v90 dst_sel:DWORD dst_unused:UNUSED_PAD src0_sel:WORD_0 src1_sel:DWORD
	v_mul_u32_u24_sdwa v33, v13, v90 dst_sel:DWORD dst_unused:UNUSED_PAD src0_sel:WORD_1 src1_sel:DWORD
	v_mul_u32_u24_sdwa v34, v14, v90 dst_sel:DWORD dst_unused:UNUSED_PAD src0_sel:WORD_0 src1_sel:DWORD
	v_mul_u32_u24_sdwa v35, v14, v90 dst_sel:DWORD dst_unused:UNUSED_PAD src0_sel:WORD_1 src1_sel:DWORD
	;; [unrolled: 2-line block ×4, first 2 shown]
	ds_read_b128 v[9:12], v84 offset:448
	v_add_nc_u32_e32 v13, 0xc00, v86
	v_pk_fma_f16 v25, v19, v32, v25
	v_pk_fma_f16 v37, v19, v33, v37
	;; [unrolled: 1-line block ×6, first 2 shown]
	ds_read2_b64 v[13:16], v13 offset0:120 offset1:138
	v_pk_fma_f16 v24, v19, v41, v24
	v_pk_fma_f16 v43, v19, v42, v17
	;; [unrolled: 1-line block ×10, first 2 shown]
	ds_read_b128 v[17:20], v84 offset:464
	s_waitcnt lgkmcnt(2)
	v_mul_u32_u24_sdwa v33, v9, v90 dst_sel:DWORD dst_unused:UNUSED_PAD src0_sel:WORD_0 src1_sel:DWORD
	v_mul_u32_u24_sdwa v9, v9, v90 dst_sel:DWORD dst_unused:UNUSED_PAD src0_sel:WORD_1 src1_sel:DWORD
	v_mul_u32_u24_sdwa v34, v10, v90 dst_sel:DWORD dst_unused:UNUSED_PAD src0_sel:WORD_0 src1_sel:DWORD
	v_mul_u32_u24_sdwa v10, v10, v90 dst_sel:DWORD dst_unused:UNUSED_PAD src0_sel:WORD_1 src1_sel:DWORD
	;; [unrolled: 2-line block ×4, first 2 shown]
	s_waitcnt lgkmcnt(1)
	v_pk_fma_f16 v25, v13, v33, v25
	v_pk_fma_f16 v37, v13, v9, v37
	;; [unrolled: 1-line block ×16, first 2 shown]
	s_waitcnt lgkmcnt(0)
	v_mul_u32_u24_sdwa v32, v17, v90 dst_sel:DWORD dst_unused:UNUSED_PAD src0_sel:WORD_0 src1_sel:DWORD
	v_mul_u32_u24_sdwa v33, v17, v90 dst_sel:DWORD dst_unused:UNUSED_PAD src0_sel:WORD_1 src1_sel:DWORD
	v_mul_u32_u24_sdwa v34, v18, v90 dst_sel:DWORD dst_unused:UNUSED_PAD src0_sel:WORD_0 src1_sel:DWORD
	v_mul_u32_u24_sdwa v35, v18, v90 dst_sel:DWORD dst_unused:UNUSED_PAD src0_sel:WORD_1 src1_sel:DWORD
	;; [unrolled: 2-line block ×4, first 2 shown]
	ds_read_b128 v[9:12], v84 offset:480
	v_add_nc_u32_e32 v17, 0x1000, v86
	v_pk_fma_f16 v25, v15, v32, v25
	v_pk_fma_f16 v37, v15, v33, v37
	;; [unrolled: 1-line block ×6, first 2 shown]
	ds_read2_b64 v[17:20], v17 offset0:28 offset1:46
	v_pk_fma_f16 v24, v15, v41, v24
	v_pk_fma_f16 v43, v15, v42, v13
	;; [unrolled: 1-line block ×10, first 2 shown]
	ds_read_b128 v[13:16], v84 offset:496
	s_waitcnt lgkmcnt(0)
	s_barrier
	buffer_gl0_inv
	s_load_dword s1, s[22:23], 0x4
	v_mul_u32_u24_sdwa v33, v9, v90 dst_sel:DWORD dst_unused:UNUSED_PAD src0_sel:WORD_0 src1_sel:DWORD
	v_mul_u32_u24_sdwa v9, v9, v90 dst_sel:DWORD dst_unused:UNUSED_PAD src0_sel:WORD_1 src1_sel:DWORD
	v_mul_u32_u24_sdwa v34, v10, v90 dst_sel:DWORD dst_unused:UNUSED_PAD src0_sel:WORD_0 src1_sel:DWORD
	v_mul_u32_u24_sdwa v10, v10, v90 dst_sel:DWORD dst_unused:UNUSED_PAD src0_sel:WORD_1 src1_sel:DWORD
	;; [unrolled: 2-line block ×4, first 2 shown]
	v_pk_fma_f16 v25, v17, v33, v25
	v_pk_fma_f16 v37, v17, v9, v37
	;; [unrolled: 1-line block ×16, first 2 shown]
	v_mul_u32_u24_sdwa v18, v13, v90 dst_sel:DWORD dst_unused:UNUSED_PAD src0_sel:WORD_0 src1_sel:DWORD
	v_mul_u32_u24_sdwa v13, v13, v90 dst_sel:DWORD dst_unused:UNUSED_PAD src0_sel:WORD_1 src1_sel:DWORD
	v_mul_u32_u24_sdwa v32, v14, v90 dst_sel:DWORD dst_unused:UNUSED_PAD src0_sel:WORD_0 src1_sel:DWORD
	v_mul_u32_u24_sdwa v14, v14, v90 dst_sel:DWORD dst_unused:UNUSED_PAD src0_sel:WORD_1 src1_sel:DWORD
	v_mul_u32_u24_sdwa v34, v15, v90 dst_sel:DWORD dst_unused:UNUSED_PAD src0_sel:WORD_0 src1_sel:DWORD
	v_mul_u32_u24_sdwa v15, v15, v90 dst_sel:DWORD dst_unused:UNUSED_PAD src0_sel:WORD_1 src1_sel:DWORD
	v_mul_u32_u24_sdwa v43, v16, v90 dst_sel:DWORD dst_unused:UNUSED_PAD src0_sel:WORD_0 src1_sel:DWORD
	v_mul_u32_u24_sdwa v16, v16, v90 dst_sel:DWORD dst_unused:UNUSED_PAD src0_sel:WORD_1 src1_sel:DWORD
	s_waitcnt lgkmcnt(0)
	s_lshl_b32 s1, s1, 5
	v_pk_fma_f16 v41, v19, v18, v25
	v_pk_fma_f16 v39, v19, v13, v37
	;; [unrolled: 1-line block ×16, first 2 shown]
	s_add_i32 s37, s1, s37
	s_cmp_ge_i32 s37, s38
	s_cbranch_scc1 .LBB33_29
; %bb.28:                               ;   in Loop: Header=BB33_23 Depth=1
	v_mov_b32_e32 v21, v1
	v_mov_b32_e32 v22, v2
	;; [unrolled: 1-line block ×16, first 2 shown]
	s_branch .LBB33_23
.LBB33_29:
	v_mov_b32_e32 v9, v71
.LBB33_30:
	v_cmp_lt_i32_e32 vcc_lo, v75, v69
	s_cmp_lg_u64 s[20:21], 0
	s_cselect_b32 s1, -1, 0
	s_cmp_eq_u32 s34, 0
	v_cndmask_b32_e32 v10, v9, v75, vcc_lo
	v_cmp_lt_i32_e32 vcc_lo, v74, v69
	s_cselect_b32 s2, -1, 0
	s_and_b32 s1, s2, s1
	v_lshlrev_b32_e32 v10, 2, v10
	v_cndmask_b32_e32 v18, v9, v74, vcc_lo
	v_cmp_lt_i32_e32 vcc_lo, v73, v69
	ds_bpermute_b32 v11, v10, v98
	ds_bpermute_b32 v12, v10, v97
	;; [unrolled: 1-line block ×8, first 2 shown]
	v_lshlrev_b32_e32 v18, 2, v18
	v_cndmask_b32_e32 v26, v9, v73, vcc_lo
	v_cmp_lt_i32_e32 vcc_lo, v72, v69
	v_lshlrev_b32_e32 v26, 2, v26
	s_waitcnt lgkmcnt(7)
	v_add_f32_e32 v11, v98, v11
	s_waitcnt lgkmcnt(6)
	v_add_f32_e32 v12, v97, v12
	;; [unrolled: 2-line block ×8, first 2 shown]
	ds_bpermute_b32 v19, v18, v11
	ds_bpermute_b32 v20, v18, v12
	;; [unrolled: 1-line block ×8, first 2 shown]
	s_waitcnt lgkmcnt(7)
	v_add_f32_e32 v11, v11, v19
	s_waitcnt lgkmcnt(6)
	v_add_f32_e32 v12, v12, v20
	;; [unrolled: 2-line block ×8, first 2 shown]
	ds_bpermute_b32 v18, v26, v11
	ds_bpermute_b32 v19, v26, v12
	;; [unrolled: 1-line block ×8, first 2 shown]
	v_cndmask_b32_e32 v26, v9, v72, vcc_lo
	v_cmp_lt_i32_e32 vcc_lo, v70, v69
	v_lshlrev_b32_e32 v26, 2, v26
	v_cndmask_b32_e32 v9, v9, v70, vcc_lo
	s_and_b32 vcc_lo, exec_lo, s1
	v_lshlrev_b32_e32 v9, 2, v9
	s_waitcnt lgkmcnt(7)
	v_add_f32_e32 v11, v11, v18
	s_waitcnt lgkmcnt(6)
	v_add_f32_e32 v12, v12, v19
	;; [unrolled: 2-line block ×8, first 2 shown]
	ds_bpermute_b32 v18, v26, v11
	ds_bpermute_b32 v19, v26, v12
	;; [unrolled: 1-line block ×8, first 2 shown]
	s_waitcnt lgkmcnt(7)
	v_add_f32_e32 v11, v11, v18
	s_waitcnt lgkmcnt(6)
	v_add_f32_e32 v12, v12, v19
	;; [unrolled: 2-line block ×8, first 2 shown]
	ds_bpermute_b32 v10, v9, v11
	ds_bpermute_b32 v19, v9, v12
	;; [unrolled: 1-line block ×8, first 2 shown]
	s_waitcnt lgkmcnt(7)
	v_add_f32_e32 v9, v11, v10
	s_waitcnt lgkmcnt(6)
	v_add_f32_e32 v10, v12, v19
	;; [unrolled: 2-line block ×8, first 2 shown]
	s_cbranch_vccz .LBB33_33
; %bb.31:
	s_ashr_i32 s37, s36, 31
	v_mov_b32_e32 v17, 0
	s_lshl_b64 s[2:3], s[36:37], 2
	v_max_f32_e32 v18, v2, v2
	s_add_u32 s2, s20, s2
	s_addc_u32 s3, s21, s3
	v_max_f32_e32 v19, v3, v3
	global_load_dwordx2 v[43:44], v17, s[2:3]
	v_max_f32_e32 v17, v1, v1
	v_max_f32_e32 v20, v4, v4
	;; [unrolled: 1-line block ×6, first 2 shown]
	v_mov_b32_e32 v25, 0x10001
	s_waitcnt vmcnt(0)
	v_max_f32_e32 v23, v43, v43
	v_max_f32_e32 v24, v44, v44
	;; [unrolled: 1-line block ×10, first 2 shown]
	v_sub_f32_e32 v26, v1, v17
	v_sub_f32_e32 v46, v2, v18
	;; [unrolled: 1-line block ×8, first 2 shown]
	v_mov_b32_e32 v1, v17
	v_sub_f32_e32 v45, v43, v17
	v_mov_b32_e32 v2, v18
	v_mov_b32_e32 v3, v19
	v_mov_b32_e32 v4, v20
	v_mov_b32_e32 v5, v21
	v_mov_b32_e32 v6, v22
	v_mov_b32_e32 v7, v23
	v_mov_b32_e32 v8, v24
	v_mul_f32_e32 v17, 0x3fb8aa3b, v26
	v_sub_f32_e32 v47, v44, v18
	v_mul_f32_e32 v18, 0x3fb8aa3b, v45
	v_sub_f32_e32 v49, v43, v19
	v_mul_f32_e32 v19, 0x3fb8aa3b, v46
	v_fma_f32 v74, 0x3fb8aa3b, v26, -v17
	v_rndne_f32_e32 v75, v17
	v_fma_f32 v76, 0x3fb8aa3b, v45, -v18
	v_rndne_f32_e32 v77, v18
	v_sub_f32_e32 v51, v44, v20
	v_fmac_f32_e32 v74, 0x32a5705f, v26
	v_sub_f32_e32 v17, v17, v75
	v_mul_f32_e32 v20, 0x3fb8aa3b, v47
	v_fma_f32 v78, 0x3fb8aa3b, v46, -v19
	v_rndne_f32_e32 v79, v19
	v_fmac_f32_e32 v76, 0x32a5705f, v45
	v_sub_f32_e32 v18, v18, v77
	v_add_f32_e32 v17, v17, v74
	v_sub_f32_e32 v54, v43, v21
	v_mul_f32_e32 v21, 0x3fb8aa3b, v48
	v_fma_f32 v80, 0x3fb8aa3b, v47, -v20
	v_rndne_f32_e32 v81, v20
	v_fmac_f32_e32 v78, 0x32a5705f, v46
	v_sub_f32_e32 v19, v19, v79
	v_add_f32_e32 v18, v18, v76
	v_exp_f32_e32 v17, v17
	v_sub_f32_e32 v56, v44, v22
	v_mul_f32_e32 v22, 0x3fb8aa3b, v49
	v_fma_f32 v82, 0x3fb8aa3b, v48, -v21
	v_rndne_f32_e32 v83, v21
	v_cvt_i32_f32_e32 v75, v75
	v_fmac_f32_e32 v80, 0x32a5705f, v47
	v_sub_f32_e32 v20, v20, v81
	v_add_f32_e32 v19, v19, v78
	v_exp_f32_e32 v18, v18
	v_sub_f32_e32 v43, v43, v23
	v_mul_f32_e32 v23, 0x3fb8aa3b, v50
	v_fma_f32 v84, 0x3fb8aa3b, v49, -v22
	v_rndne_f32_e32 v85, v22
	v_cvt_i32_f32_e32 v77, v77
	v_fmac_f32_e32 v82, 0x32a5705f, v48
	v_sub_f32_e32 v21, v21, v83
	v_add_f32_e32 v20, v20, v80
	v_exp_f32_e32 v19, v19
	v_ldexp_f32 v17, v17, v75
	v_cmp_ngt_f32_e32 vcc_lo, 0xc2ce8ed0, v26
	v_sub_f32_e32 v44, v44, v24
	v_mul_f32_e32 v24, 0x3fb8aa3b, v51
	v_fma_f32 v86, 0x3fb8aa3b, v50, -v23
	v_rndne_f32_e32 v87, v23
	v_cvt_i32_f32_e32 v79, v79
	v_fmac_f32_e32 v84, 0x32a5705f, v49
	v_sub_f32_e32 v22, v22, v85
	v_add_f32_e32 v21, v21, v82
	v_exp_f32_e32 v20, v20
	v_ldexp_f32 v18, v18, v77
	v_cndmask_b32_e32 v17, 0, v17, vcc_lo
	v_cmp_ngt_f32_e32 vcc_lo, 0xc2ce8ed0, v45
	v_mul_f32_e32 v59, 0x3fb8aa3b, v52
	v_fma_f32 v88, 0x3fb8aa3b, v51, -v24
	v_rndne_f32_e32 v89, v24
	v_cvt_i32_f32_e32 v81, v81
	v_fmac_f32_e32 v86, 0x32a5705f, v50
	v_sub_f32_e32 v23, v23, v87
	v_add_f32_e32 v22, v22, v84
	v_exp_f32_e32 v21, v21
	v_ldexp_f32 v19, v19, v79
	v_cndmask_b32_e32 v18, 0, v18, vcc_lo
	v_cmp_ngt_f32_e32 vcc_lo, 0xc2ce8ed0, v46
	v_mul_f32_e32 v60, 0x3fb8aa3b, v54
	v_fma_f32 v90, 0x3fb8aa3b, v52, -v59
	v_rndne_f32_e32 v91, v59
	v_cvt_i32_f32_e32 v83, v83
	v_fmac_f32_e32 v88, 0x32a5705f, v51
	v_sub_f32_e32 v24, v24, v89
	v_add_f32_e32 v23, v23, v86
	v_exp_f32_e32 v22, v22
	v_ldexp_f32 v20, v20, v81
	v_cndmask_b32_e32 v19, 0, v19, vcc_lo
	v_cmp_ngt_f32_e32 vcc_lo, 0xc2ce8ed0, v47
	v_mul_f32_e32 v61, 0x3fb8aa3b, v55
	v_fma_f32 v92, 0x3fb8aa3b, v54, -v60
	v_rndne_f32_e32 v93, v60
	v_cvt_i32_f32_e32 v85, v85
	v_fmac_f32_e32 v90, 0x32a5705f, v52
	v_sub_f32_e32 v59, v59, v91
	v_add_f32_e32 v24, v24, v88
	v_exp_f32_e32 v23, v23
	v_ldexp_f32 v21, v21, v83
	v_cndmask_b32_e32 v20, 0, v20, vcc_lo
	v_cmp_ngt_f32_e32 vcc_lo, 0xc2ce8ed0, v48
	v_mul_f32_e32 v69, 0x3fb8aa3b, v56
	v_fma_f32 v94, 0x3fb8aa3b, v55, -v61
	v_rndne_f32_e32 v95, v61
	v_cvt_i32_f32_e32 v87, v87
	v_fmac_f32_e32 v92, 0x32a5705f, v54
	v_sub_f32_e32 v60, v60, v93
	v_add_f32_e32 v59, v59, v90
	v_exp_f32_e32 v24, v24
	v_ldexp_f32 v22, v22, v85
	v_cndmask_b32_e32 v21, 0, v21, vcc_lo
	v_cmp_ngt_f32_e32 vcc_lo, 0xc2ce8ed0, v49
	v_mul_f32_e32 v70, 0x3fb8aa3b, v57
	v_fma_f32 v96, 0x3fb8aa3b, v56, -v69
	v_rndne_f32_e32 v97, v69
	v_cvt_i32_f32_e32 v89, v89
	v_fmac_f32_e32 v94, 0x32a5705f, v55
	v_sub_f32_e32 v61, v61, v95
	v_add_f32_e32 v60, v60, v92
	v_exp_f32_e32 v59, v59
	v_ldexp_f32 v23, v23, v87
	v_cndmask_b32_e32 v22, 0, v22, vcc_lo
	v_cmp_ngt_f32_e32 vcc_lo, 0xc2ce8ed0, v50
	v_mul_f32_e32 v71, 0x3fb8aa3b, v43
	v_fma_f32 v98, 0x3fb8aa3b, v57, -v70
	v_rndne_f32_e32 v99, v70
	v_cvt_i32_f32_e32 v91, v91
	v_fmac_f32_e32 v96, 0x32a5705f, v56
	v_sub_f32_e32 v69, v69, v97
	v_add_f32_e32 v61, v61, v94
	v_exp_f32_e32 v60, v60
	v_ldexp_f32 v24, v24, v89
	v_cndmask_b32_e32 v23, 0, v23, vcc_lo
	v_cmp_ngt_f32_e32 vcc_lo, 0xc2ce8ed0, v51
	v_mul_f32_e32 v72, 0x3fb8aa3b, v58
	v_fma_f32 v100, 0x3fb8aa3b, v43, -v71
	v_rndne_f32_e32 v101, v71
	v_cvt_i32_f32_e32 v93, v93
	v_fmac_f32_e32 v98, 0x32a5705f, v57
	v_sub_f32_e32 v70, v70, v99
	v_add_f32_e32 v69, v69, v96
	v_exp_f32_e32 v61, v61
	v_ldexp_f32 v59, v59, v91
	v_cndmask_b32_e32 v24, 0, v24, vcc_lo
	v_cmp_ngt_f32_e32 vcc_lo, 0xc2ce8ed0, v52
	v_mul_f32_e32 v73, 0x3fb8aa3b, v44
	v_fma_f32 v102, 0x3fb8aa3b, v58, -v72
	v_rndne_f32_e32 v103, v72
	v_cvt_i32_f32_e32 v95, v95
	v_fmac_f32_e32 v100, 0x32a5705f, v43
	v_sub_f32_e32 v71, v71, v101
	v_add_f32_e32 v70, v70, v98
	v_exp_f32_e32 v69, v69
	v_ldexp_f32 v60, v60, v93
	v_cndmask_b32_e32 v59, 0, v59, vcc_lo
	v_cmp_ngt_f32_e32 vcc_lo, 0xc2ce8ed0, v54
	v_fma_f32 v104, 0x3fb8aa3b, v44, -v73
	v_rndne_f32_e32 v105, v73
	v_cvt_i32_f32_e32 v97, v97
	v_fmac_f32_e32 v102, 0x32a5705f, v58
	v_sub_f32_e32 v72, v72, v103
	v_add_f32_e32 v71, v71, v100
	v_exp_f32_e32 v70, v70
	v_ldexp_f32 v61, v61, v95
	v_cndmask_b32_e32 v60, 0, v60, vcc_lo
	v_cmp_ngt_f32_e32 vcc_lo, 0xc2ce8ed0, v55
	v_cvt_i32_f32_e32 v99, v99
	v_fmac_f32_e32 v104, 0x32a5705f, v44
	v_sub_f32_e32 v73, v73, v105
	v_add_f32_e32 v72, v72, v102
	v_exp_f32_e32 v71, v71
	v_ldexp_f32 v69, v69, v97
	v_cndmask_b32_e32 v61, 0, v61, vcc_lo
	v_cmp_ngt_f32_e32 vcc_lo, 0xc2ce8ed0, v56
	v_cvt_i32_f32_e32 v101, v101
	v_add_f32_e32 v73, v73, v104
	v_exp_f32_e32 v72, v72
	v_ldexp_f32 v70, v70, v99
	v_cndmask_b32_e32 v69, 0, v69, vcc_lo
	v_cmp_ngt_f32_e32 vcc_lo, 0xc2ce8ed0, v57
	v_cvt_i32_f32_e32 v103, v103
	v_exp_f32_e32 v73, v73
	v_ldexp_f32 v71, v71, v101
	v_cvt_i32_f32_e32 v105, v105
	v_cndmask_b32_e32 v70, 0, v70, vcc_lo
	v_cmp_ngt_f32_e32 vcc_lo, 0xc2ce8ed0, v43
	v_ldexp_f32 v72, v72, v103
	v_cndmask_b32_e32 v71, 0, v71, vcc_lo
	v_cmp_ngt_f32_e32 vcc_lo, 0xc2ce8ed0, v58
	v_ldexp_f32 v73, v73, v105
	v_cndmask_b32_e32 v72, 0, v72, vcc_lo
	v_cmp_ngt_f32_e32 vcc_lo, 0xc2ce8ed0, v44
	v_cndmask_b32_e32 v73, 0, v73, vcc_lo
	v_cmp_nlt_f32_e32 vcc_lo, 0x42b17218, v26
	v_cndmask_b32_e32 v26, 0x7f800000, v17, vcc_lo
	v_cmp_nlt_f32_e32 vcc_lo, 0x42b17218, v45
	;; [unrolled: 2-line block ×3, first 2 shown]
	v_fmac_f32_e32 v17, v9, v26
	v_cndmask_b32_e32 v45, 0x7f800000, v19, vcc_lo
	v_cmp_nlt_f32_e32 vcc_lo, 0x42b17218, v47
	v_cvt_f16_f32_e32 v9, v26
	v_cndmask_b32_e32 v18, 0x7f800000, v20, vcc_lo
	v_cmp_nlt_f32_e32 vcc_lo, 0x42b17218, v48
	v_mul_u32_u24_sdwa v26, v9, v25 dst_sel:DWORD dst_unused:UNUSED_PAD src0_sel:WORD_0 src1_sel:DWORD
	v_mov_b32_e32 v9, v17
	v_fmac_f32_e32 v18, v10, v45
	v_cndmask_b32_e32 v46, 0x7f800000, v21, vcc_lo
	v_cmp_nlt_f32_e32 vcc_lo, 0x42b17218, v49
	v_cvt_f16_f32_e32 v10, v45
	v_pk_mul_f16 v41, v41, v26
	v_pk_mul_f16 v42, v42, v26
	v_cndmask_b32_e32 v19, 0x7f800000, v22, vcc_lo
	v_cmp_nlt_f32_e32 vcc_lo, 0x42b17218, v50
	v_fmac_f32_e32 v19, v11, v46
	v_cndmask_b32_e32 v47, 0x7f800000, v23, vcc_lo
	v_cmp_nlt_f32_e32 vcc_lo, 0x42b17218, v51
	v_cvt_f16_f32_e32 v11, v46
	v_cndmask_b32_e32 v20, 0x7f800000, v24, vcc_lo
	v_cmp_nlt_f32_e32 vcc_lo, 0x42b17218, v52
	v_fmac_f32_e32 v20, v12, v47
	v_cndmask_b32_e32 v48, 0x7f800000, v59, vcc_lo
	v_cmp_nlt_f32_e32 vcc_lo, 0x42b17218, v54
	v_cvt_f16_f32_e32 v12, v47
	v_cndmask_b32_e32 v21, 0x7f800000, v60, vcc_lo
	v_cmp_nlt_f32_e32 vcc_lo, 0x42b17218, v55
	v_mul_u32_u24_sdwa v45, v12, v25 dst_sel:DWORD dst_unused:UNUSED_PAD src0_sel:WORD_0 src1_sel:DWORD
	v_mov_b32_e32 v12, v20
	v_fmac_f32_e32 v21, v13, v48
	v_cndmask_b32_e32 v49, 0x7f800000, v61, vcc_lo
	v_cmp_nlt_f32_e32 vcc_lo, 0x42b17218, v56
	v_cvt_f16_f32_e32 v13, v48
	v_pk_mul_f16 v35, v35, v45
	v_pk_mul_f16 v36, v36, v45
	v_cndmask_b32_e32 v22, 0x7f800000, v69, vcc_lo
	v_cmp_nlt_f32_e32 vcc_lo, 0x42b17218, v57
	v_mul_u32_u24_sdwa v46, v13, v25 dst_sel:DWORD dst_unused:UNUSED_PAD src0_sel:WORD_0 src1_sel:DWORD
	v_mov_b32_e32 v13, v21
	v_fmac_f32_e32 v22, v14, v49
	v_cndmask_b32_e32 v50, 0x7f800000, v70, vcc_lo
	v_cmp_nlt_f32_e32 vcc_lo, 0x42b17218, v43
	v_cvt_f16_f32_e32 v14, v49
	v_pk_mul_f16 v33, v33, v46
	v_pk_mul_f16 v34, v34, v46
	v_cndmask_b32_e32 v23, 0x7f800000, v71, vcc_lo
	v_cmp_nlt_f32_e32 vcc_lo, 0x42b17218, v58
	v_mul_u32_u24_sdwa v47, v14, v25 dst_sel:DWORD dst_unused:UNUSED_PAD src0_sel:WORD_0 src1_sel:DWORD
	v_mov_b32_e32 v14, v22
	v_fmac_f32_e32 v23, v15, v50
	v_cndmask_b32_e32 v43, 0x7f800000, v72, vcc_lo
	v_cmp_nlt_f32_e32 vcc_lo, 0x42b17218, v44
	v_cvt_f16_f32_e32 v15, v50
	v_mul_u32_u24_sdwa v44, v11, v25 dst_sel:DWORD dst_unused:UNUSED_PAD src0_sel:WORD_0 src1_sel:DWORD
	v_mov_b32_e32 v11, v19
	v_pk_mul_f16 v31, v31, v47
	v_cndmask_b32_e32 v24, 0x7f800000, v73, vcc_lo
	v_mul_u32_u24_sdwa v48, v15, v25 dst_sel:DWORD dst_unused:UNUSED_PAD src0_sel:WORD_0 src1_sel:DWORD
	v_mov_b32_e32 v15, v23
	v_pk_mul_f16 v37, v37, v44
	v_pk_mul_f16 v38, v38, v44
	v_fmac_f32_e32 v24, v16, v43
	v_cvt_f16_f32_e32 v16, v43
	v_mul_u32_u24_sdwa v43, v10, v25 dst_sel:DWORD dst_unused:UNUSED_PAD src0_sel:WORD_0 src1_sel:DWORD
	v_mov_b32_e32 v10, v18
	v_pk_mul_f16 v32, v32, v47
	v_pk_mul_f16 v29, v29, v48
	v_mul_u32_u24_sdwa v16, v16, v25 dst_sel:DWORD dst_unused:UNUSED_PAD src0_sel:WORD_0 src1_sel:DWORD
	v_pk_mul_f16 v39, v39, v43
	v_pk_mul_f16 v40, v40, v43
	;; [unrolled: 1-line block ×5, first 2 shown]
	v_mov_b32_e32 v16, v24
	v_add_nc_u32_e32 v25, s33, v68
	s_mov_b32 s1, exec_lo
	v_cmpx_gt_i32_e64 s30, v25
	s_cbranch_execnz .LBB33_34
.LBB33_32:
	s_endpgm
.LBB33_33:
	v_mov_b32_e32 v24, v16
	v_mov_b32_e32 v23, v15
	;; [unrolled: 1-line block ×8, first 2 shown]
	v_add_nc_u32_e32 v25, s33, v68
	s_mov_b32 s1, exec_lo
	v_cmpx_gt_i32_e64 s30, v25
	s_cbranch_execz .LBB33_32
.LBB33_34:
	s_load_dword s1, s[4:5], 0xd4
	v_mov_b32_e32 v44, 1.0
	s_waitcnt lgkmcnt(0)
	s_cmp_lg_u32 s1, 1
	s_cselect_b32 s4, -1, 0
	s_cmp_eq_u32 s1, 1
	s_cselect_b32 s2, -1, 0
	s_and_b32 vcc_lo, exec_lo, s4
	s_cbranch_vccnz .LBB33_36
; %bb.35:
	v_div_scale_f32 v25, null, v9, v9, 1.0
	v_rcp_f32_e32 v26, v25
	v_fma_f32 v43, -v25, v26, 1.0
	v_fmac_f32_e32 v26, v43, v26
	v_div_scale_f32 v43, vcc_lo, 1.0, v9, 1.0
	v_mul_f32_e32 v44, v43, v26
	v_fma_f32 v45, -v25, v44, v43
	v_fmac_f32_e32 v44, v45, v26
	v_fma_f32 v25, -v25, v44, v43
	v_div_fmas_f32 v25, v25, v26, v44
	v_div_fixup_f32 v44, v25, v9, 1.0
.LBB33_36:
	s_mul_i32 s3, s35, s30
	s_add_i32 s3, s3, s33
	v_add_nc_u32_e32 v9, s3, v68
	v_mul_lo_u32 v43, v9, s31
	v_add_nc_u32_e32 v9, s36, v43
	v_mad_u64_u32 v[25:26], null, s1, v9, s[34:35]
	s_and_saveexec_b32 s5, s0
	s_cbranch_execz .LBB33_38
; %bb.37:
	v_mad_u64_u32 v[45:46], null, 0x48, v25, v[53:54]
	v_mov_b32_e32 v46, 0
	v_cvt_f32_f16_sdwa v9, v42 dst_sel:DWORD dst_unused:UNUSED_PAD src0_sel:WORD_1
	v_cvt_f32_f16_e32 v26, v42
	v_cvt_f32_f16_sdwa v42, v41 dst_sel:DWORD dst_unused:UNUSED_PAD src0_sel:WORD_1
	v_cvt_f32_f16_e32 v50, v41
	v_mul_f32_e32 v47, v44, v9
	v_lshlrev_b64 v[48:49], 2, v[45:46]
	v_mul_f32_e32 v46, v44, v26
	v_mul_f32_e32 v45, v44, v42
	;; [unrolled: 1-line block ×3, first 2 shown]
	v_add_co_u32 v41, vcc_lo, s24, v48
	v_add_co_ci_u32_e64 v42, null, s25, v49, vcc_lo
	global_store_dwordx4 v[41:42], v[44:47], off
.LBB33_38:
	s_or_b32 exec_lo, exec_lo, s5
	v_cmp_eq_u32_e32 vcc_lo, 0, v0
	s_and_b32 s4, vcc_lo, s4
	s_and_saveexec_b32 s5, s4
	s_cbranch_execz .LBB33_40
; %bb.39:
	v_ashrrev_i32_e32 v26, 31, v25
	v_mov_b32_e32 v0, v1
	v_mov_b32_e32 v1, v17
	v_lshlrev_b64 v[25:26], 3, v[25:26]
	v_add_co_u32 v25, vcc_lo, s26, v25
	v_add_co_ci_u32_e64 v26, null, s27, v26, vcc_lo
	global_store_dwordx2 v[25:26], v[0:1], off
.LBB33_40:
	s_or_b32 exec_lo, exec_lo, s5
	v_cndmask_b32_e64 v9, 0, 1, s2
	v_mov_b32_e32 v17, 1.0
	s_andn2_b32 vcc_lo, exec_lo, s2
	s_cbranch_vccnz .LBB33_42
; %bb.41:
	v_div_scale_f32 v0, null, v10, v10, 1.0
	v_rcp_f32_e32 v1, v0
	v_fma_f32 v17, -v0, v1, 1.0
	v_fmac_f32_e32 v1, v17, v1
	v_div_scale_f32 v17, vcc_lo, 1.0, v10, 1.0
	v_mul_f32_e32 v25, v17, v1
	v_fma_f32 v26, -v0, v25, v17
	v_fmac_f32_e32 v25, v26, v1
	v_fma_f32 v0, -v0, v25, v17
	v_div_fmas_f32 v0, v0, v1, v25
	v_div_fixup_f32 v17, v0, v10, 1.0
.LBB33_42:
	s_add_i32 s2, s36, 1
	v_add_nc_u32_e32 v0, s2, v43
	v_mad_u64_u32 v[0:1], null, s1, v0, s[34:35]
	s_and_saveexec_b32 s5, s0
	s_cbranch_execz .LBB33_44
; %bb.43:
	v_mad_u64_u32 v[25:26], null, 0x48, v0, v[53:54]
	v_mov_b32_e32 v26, 0
	v_cvt_f32_f16_sdwa v1, v40 dst_sel:DWORD dst_unused:UNUSED_PAD src0_sel:WORD_1
	v_cvt_f32_f16_e32 v10, v40
	v_cvt_f32_f16_sdwa v40, v39 dst_sel:DWORD dst_unused:UNUSED_PAD src0_sel:WORD_1
	v_cvt_f32_f16_e32 v39, v39
	v_mul_f32_e32 v42, v17, v1
	v_lshlrev_b64 v[25:26], 2, v[25:26]
	v_mul_f32_e32 v41, v17, v10
	v_mul_f32_e32 v40, v17, v40
	;; [unrolled: 1-line block ×3, first 2 shown]
	v_add_co_u32 v25, vcc_lo, s24, v25
	v_add_co_ci_u32_e64 v26, null, s25, v26, vcc_lo
	global_store_dwordx4 v[25:26], v[39:42], off
.LBB33_44:
	s_or_b32 exec_lo, exec_lo, s5
	s_and_saveexec_b32 s5, s4
	s_cbranch_execz .LBB33_46
; %bb.45:
	v_ashrrev_i32_e32 v1, 31, v0
	v_mov_b32_e32 v17, v2
	v_lshlrev_b64 v[0:1], 3, v[0:1]
	v_add_co_u32 v0, vcc_lo, s26, v0
	v_add_co_ci_u32_e64 v1, null, s27, v1, vcc_lo
	global_store_dwordx2 v[0:1], v[17:18], off
.LBB33_46:
	s_or_b32 exec_lo, exec_lo, s5
	v_add_nc_u32_e32 v0, s33, v67
	v_cmp_gt_i32_e32 vcc_lo, s30, v0
	s_and_b32 exec_lo, exec_lo, vcc_lo
	s_cbranch_execz .LBB33_32
; %bb.47:
	v_cmp_ne_u32_e32 vcc_lo, 1, v9
	v_mov_b32_e32 v2, 1.0
	s_cbranch_vccnz .LBB33_49
; %bb.48:
	v_div_scale_f32 v0, null, v11, v11, 1.0
	v_rcp_f32_e32 v1, v0
	v_fma_f32 v2, -v0, v1, 1.0
	v_fmac_f32_e32 v1, v2, v1
	v_div_scale_f32 v2, vcc_lo, 1.0, v11, 1.0
	v_mul_f32_e32 v10, v2, v1
	v_fma_f32 v17, -v0, v10, v2
	v_fmac_f32_e32 v10, v17, v1
	v_fma_f32 v0, -v0, v10, v2
	v_div_fmas_f32 v0, v0, v1, v10
	v_div_fixup_f32 v2, v0, v11, 1.0
.LBB33_49:
	v_add_nc_u32_e32 v0, s3, v67
	v_mad_u64_u32 v[0:1], null, v0, s31, s[36:37]
	v_mad_u64_u32 v[0:1], null, s1, v0, s[34:35]
	s_and_saveexec_b32 s5, s0
	s_cbranch_execz .LBB33_51
; %bb.50:
	v_mad_u64_u32 v[10:11], null, 0x48, v0, v[53:54]
	v_mov_b32_e32 v11, 0
	v_cvt_f32_f16_sdwa v1, v38 dst_sel:DWORD dst_unused:UNUSED_PAD src0_sel:WORD_1
	v_cvt_f32_f16_e32 v17, v38
	v_cvt_f32_f16_sdwa v18, v37 dst_sel:DWORD dst_unused:UNUSED_PAD src0_sel:WORD_1
	v_cvt_f32_f16_e32 v25, v37
	v_mul_f32_e32 v40, v2, v1
	v_lshlrev_b64 v[10:11], 2, v[10:11]
	v_mul_f32_e32 v39, v2, v17
	v_mul_f32_e32 v38, v2, v18
	v_mul_f32_e32 v37, v2, v25
	v_add_co_u32 v10, vcc_lo, s24, v10
	v_add_co_ci_u32_e64 v11, null, s25, v11, vcc_lo
	global_store_dwordx4 v[10:11], v[37:40], off
.LBB33_51:
	s_or_b32 exec_lo, exec_lo, s5
	s_and_saveexec_b32 s5, s4
	s_cbranch_execz .LBB33_53
; %bb.52:
	v_ashrrev_i32_e32 v1, 31, v0
	v_mov_b32_e32 v18, v3
	v_lshlrev_b64 v[0:1], 3, v[0:1]
	v_add_co_u32 v0, vcc_lo, s26, v0
	v_add_co_ci_u32_e64 v1, null, s27, v1, vcc_lo
	global_store_dwordx2 v[0:1], v[18:19], off
.LBB33_53:
	s_or_b32 exec_lo, exec_lo, s5
	v_lshrrev_b32_e32 v0, 1, v66
	v_add_nc_u32_e32 v1, s33, v0
	v_cmp_gt_i32_e32 vcc_lo, s30, v1
	s_and_b32 exec_lo, exec_lo, vcc_lo
	s_cbranch_execz .LBB33_32
; %bb.54:
	v_cmp_ne_u32_e32 vcc_lo, 1, v9
	v_mov_b32_e32 v2, 1.0
	s_cbranch_vccnz .LBB33_56
; %bb.55:
	v_div_scale_f32 v1, null, v12, v12, 1.0
	v_rcp_f32_e32 v2, v1
	v_fma_f32 v3, -v1, v2, 1.0
	v_fmac_f32_e32 v2, v3, v2
	v_div_scale_f32 v3, vcc_lo, 1.0, v12, 1.0
	v_mul_f32_e32 v10, v3, v2
	v_fma_f32 v11, -v1, v10, v3
	v_fmac_f32_e32 v10, v11, v2
	v_fma_f32 v1, -v1, v10, v3
	v_div_fmas_f32 v1, v1, v2, v10
	v_div_fixup_f32 v2, v1, v12, 1.0
.LBB33_56:
	v_add_nc_u32_e32 v0, s3, v0
	v_mad_u64_u32 v[0:1], null, v0, s31, s[2:3]
	v_mad_u64_u32 v[0:1], null, s1, v0, s[34:35]
	s_and_saveexec_b32 s5, s0
	s_cbranch_execz .LBB33_58
; %bb.57:
	v_mad_u64_u32 v[10:11], null, 0x48, v0, v[53:54]
	v_mov_b32_e32 v11, 0
	v_cvt_f32_f16_sdwa v1, v36 dst_sel:DWORD dst_unused:UNUSED_PAD src0_sel:WORD_1
	v_cvt_f32_f16_e32 v3, v36
	v_cvt_f32_f16_sdwa v12, v35 dst_sel:DWORD dst_unused:UNUSED_PAD src0_sel:WORD_1
	v_cvt_f32_f16_e32 v17, v35
	v_mul_f32_e32 v38, v2, v1
	v_lshlrev_b64 v[10:11], 2, v[10:11]
	v_mul_f32_e32 v37, v2, v3
	v_mul_f32_e32 v36, v2, v12
	v_mul_f32_e32 v35, v2, v17
	v_add_co_u32 v10, vcc_lo, s24, v10
	v_add_co_ci_u32_e64 v11, null, s25, v11, vcc_lo
	global_store_dwordx4 v[10:11], v[35:38], off
.LBB33_58:
	s_or_b32 exec_lo, exec_lo, s5
	s_and_saveexec_b32 s5, s4
	s_cbranch_execz .LBB33_60
; %bb.59:
	v_ashrrev_i32_e32 v1, 31, v0
	v_mov_b32_e32 v19, v4
	v_lshlrev_b64 v[0:1], 3, v[0:1]
	v_add_co_u32 v0, vcc_lo, s26, v0
	v_add_co_ci_u32_e64 v1, null, s27, v1, vcc_lo
	global_store_dwordx2 v[0:1], v[19:20], off
.LBB33_60:
	s_or_b32 exec_lo, exec_lo, s5
	v_lshrrev_b32_e32 v0, 1, v65
	;; [unrolled: 55-line block ×5, first 2 shown]
	v_add_nc_u32_e32 v1, s33, v0
	v_cmp_gt_i32_e32 vcc_lo, s30, v1
	s_and_b32 exec_lo, exec_lo, vcc_lo
	s_cbranch_execz .LBB33_32
; %bb.82:
	v_cmp_ne_u32_e32 vcc_lo, 1, v9
	v_mov_b32_e32 v2, 1.0
	s_cbranch_vccnz .LBB33_84
; %bb.83:
	v_div_scale_f32 v1, null, v16, v16, 1.0
	v_rcp_f32_e32 v2, v1
	v_fma_f32 v3, -v1, v2, 1.0
	v_fmac_f32_e32 v2, v3, v2
	v_div_scale_f32 v3, vcc_lo, 1.0, v16, 1.0
	v_mul_f32_e32 v4, v3, v2
	v_fma_f32 v5, -v1, v4, v3
	v_fmac_f32_e32 v4, v5, v2
	v_fma_f32 v1, -v1, v4, v3
	v_div_fmas_f32 v1, v1, v2, v4
	v_div_fixup_f32 v2, v1, v16, 1.0
.LBB33_84:
	v_add_nc_u32_e32 v0, s3, v0
	v_mad_u64_u32 v[0:1], null, v0, s31, s[2:3]
	v_mad_u64_u32 v[0:1], null, s1, v0, s[34:35]
	s_and_saveexec_b32 s1, s0
	s_cbranch_execz .LBB33_86
; %bb.85:
	v_mad_u64_u32 v[3:4], null, 0x48, v0, v[53:54]
	v_mov_b32_e32 v4, 0
	v_cvt_f32_f16_sdwa v1, v27 dst_sel:DWORD dst_unused:UNUSED_PAD src0_sel:WORD_1
	v_cvt_f32_f16_e32 v9, v27
	v_cvt_f32_f16_sdwa v10, v28 dst_sel:DWORD dst_unused:UNUSED_PAD src0_sel:WORD_1
	v_cvt_f32_f16_e32 v11, v28
	v_mul_f32_e32 v5, v2, v1
	v_lshlrev_b64 v[6:7], 2, v[3:4]
	v_mul_f32_e32 v4, v2, v9
	v_mul_f32_e32 v3, v2, v10
	;; [unrolled: 1-line block ×3, first 2 shown]
	v_add_co_u32 v6, vcc_lo, s24, v6
	v_add_co_ci_u32_e64 v7, null, s25, v7, vcc_lo
	global_store_dwordx4 v[6:7], v[2:5], off
.LBB33_86:
	s_or_b32 exec_lo, exec_lo, s1
	s_and_b32 exec_lo, exec_lo, s4
	s_cbranch_execz .LBB33_32
; %bb.87:
	v_ashrrev_i32_e32 v1, 31, v0
	v_mov_b32_e32 v23, v8
	v_lshlrev_b64 v[0:1], 3, v[0:1]
	v_add_co_u32 v0, vcc_lo, s26, v0
	v_add_co_ci_u32_e64 v1, null, s27, v1, vcc_lo
	global_store_dwordx2 v[0:1], v[23:24], off
	s_endpgm
	.section	.rodata,"a",@progbits
	.p2align	6, 0x0
	.amdhsa_kernel _ZL15flash_attn_tileILi72ELi72ELi32ELi2ELb0EEvPKcS1_S1_S1_S1_PKiPfP15HIP_vector_typeIfLj2EEffffjfiS5_IjLj3EEiiiiiiiiiiiliiliiiiil
		.amdhsa_group_segment_fixed_size 18656
		.amdhsa_private_segment_fixed_size 0
		.amdhsa_kernarg_size 464
		.amdhsa_user_sgpr_count 6
		.amdhsa_user_sgpr_private_segment_buffer 1
		.amdhsa_user_sgpr_dispatch_ptr 0
		.amdhsa_user_sgpr_queue_ptr 0
		.amdhsa_user_sgpr_kernarg_segment_ptr 1
		.amdhsa_user_sgpr_dispatch_id 0
		.amdhsa_user_sgpr_flat_scratch_init 0
		.amdhsa_user_sgpr_private_segment_size 0
		.amdhsa_wavefront_size32 1
		.amdhsa_uses_dynamic_stack 0
		.amdhsa_system_sgpr_private_segment_wavefront_offset 0
		.amdhsa_system_sgpr_workgroup_id_x 1
		.amdhsa_system_sgpr_workgroup_id_y 1
		.amdhsa_system_sgpr_workgroup_id_z 1
		.amdhsa_system_sgpr_workgroup_info 0
		.amdhsa_system_vgpr_workitem_id 1
		.amdhsa_next_free_vgpr 187
		.amdhsa_next_free_sgpr 48
		.amdhsa_reserve_vcc 1
		.amdhsa_reserve_flat_scratch 0
		.amdhsa_float_round_mode_32 0
		.amdhsa_float_round_mode_16_64 0
		.amdhsa_float_denorm_mode_32 3
		.amdhsa_float_denorm_mode_16_64 3
		.amdhsa_dx10_clamp 1
		.amdhsa_ieee_mode 1
		.amdhsa_fp16_overflow 0
		.amdhsa_workgroup_processor_mode 1
		.amdhsa_memory_ordered 1
		.amdhsa_forward_progress 1
		.amdhsa_shared_vgpr_count 0
		.amdhsa_exception_fp_ieee_invalid_op 0
		.amdhsa_exception_fp_denorm_src 0
		.amdhsa_exception_fp_ieee_div_zero 0
		.amdhsa_exception_fp_ieee_overflow 0
		.amdhsa_exception_fp_ieee_underflow 0
		.amdhsa_exception_fp_ieee_inexact 0
		.amdhsa_exception_int_div_zero 0
	.end_amdhsa_kernel
	.section	.text._ZL15flash_attn_tileILi72ELi72ELi32ELi2ELb0EEvPKcS1_S1_S1_S1_PKiPfP15HIP_vector_typeIfLj2EEffffjfiS5_IjLj3EEiiiiiiiiiiiliiliiiiil,"axG",@progbits,_ZL15flash_attn_tileILi72ELi72ELi32ELi2ELb0EEvPKcS1_S1_S1_S1_PKiPfP15HIP_vector_typeIfLj2EEffffjfiS5_IjLj3EEiiiiiiiiiiiliiliiiiil,comdat
.Lfunc_end33:
	.size	_ZL15flash_attn_tileILi72ELi72ELi32ELi2ELb0EEvPKcS1_S1_S1_S1_PKiPfP15HIP_vector_typeIfLj2EEffffjfiS5_IjLj3EEiiiiiiiiiiiliiliiiiil, .Lfunc_end33-_ZL15flash_attn_tileILi72ELi72ELi32ELi2ELb0EEvPKcS1_S1_S1_S1_PKiPfP15HIP_vector_typeIfLj2EEffffjfiS5_IjLj3EEiiiiiiiiiiiliiliiiiil
                                        ; -- End function
	.set _ZL15flash_attn_tileILi72ELi72ELi32ELi2ELb0EEvPKcS1_S1_S1_S1_PKiPfP15HIP_vector_typeIfLj2EEffffjfiS5_IjLj3EEiiiiiiiiiiiliiliiiiil.num_vgpr, 187
	.set _ZL15flash_attn_tileILi72ELi72ELi32ELi2ELb0EEvPKcS1_S1_S1_S1_PKiPfP15HIP_vector_typeIfLj2EEffffjfiS5_IjLj3EEiiiiiiiiiiiliiliiiiil.num_agpr, 0
	.set _ZL15flash_attn_tileILi72ELi72ELi32ELi2ELb0EEvPKcS1_S1_S1_S1_PKiPfP15HIP_vector_typeIfLj2EEffffjfiS5_IjLj3EEiiiiiiiiiiiliiliiiiil.numbered_sgpr, 48
	.set _ZL15flash_attn_tileILi72ELi72ELi32ELi2ELb0EEvPKcS1_S1_S1_S1_PKiPfP15HIP_vector_typeIfLj2EEffffjfiS5_IjLj3EEiiiiiiiiiiiliiliiiiil.num_named_barrier, 0
	.set _ZL15flash_attn_tileILi72ELi72ELi32ELi2ELb0EEvPKcS1_S1_S1_S1_PKiPfP15HIP_vector_typeIfLj2EEffffjfiS5_IjLj3EEiiiiiiiiiiiliiliiiiil.private_seg_size, 0
	.set _ZL15flash_attn_tileILi72ELi72ELi32ELi2ELb0EEvPKcS1_S1_S1_S1_PKiPfP15HIP_vector_typeIfLj2EEffffjfiS5_IjLj3EEiiiiiiiiiiiliiliiiiil.uses_vcc, 1
	.set _ZL15flash_attn_tileILi72ELi72ELi32ELi2ELb0EEvPKcS1_S1_S1_S1_PKiPfP15HIP_vector_typeIfLj2EEffffjfiS5_IjLj3EEiiiiiiiiiiiliiliiiiil.uses_flat_scratch, 0
	.set _ZL15flash_attn_tileILi72ELi72ELi32ELi2ELb0EEvPKcS1_S1_S1_S1_PKiPfP15HIP_vector_typeIfLj2EEffffjfiS5_IjLj3EEiiiiiiiiiiiliiliiiiil.has_dyn_sized_stack, 0
	.set _ZL15flash_attn_tileILi72ELi72ELi32ELi2ELb0EEvPKcS1_S1_S1_S1_PKiPfP15HIP_vector_typeIfLj2EEffffjfiS5_IjLj3EEiiiiiiiiiiiliiliiiiil.has_recursion, 0
	.set _ZL15flash_attn_tileILi72ELi72ELi32ELi2ELb0EEvPKcS1_S1_S1_S1_PKiPfP15HIP_vector_typeIfLj2EEffffjfiS5_IjLj3EEiiiiiiiiiiiliiliiiiil.has_indirect_call, 0
	.section	.AMDGPU.csdata,"",@progbits
; Kernel info:
; codeLenInByte = 25380
; TotalNumSgprs: 50
; NumVgprs: 187
; ScratchSize: 0
; MemoryBound: 0
; FloatMode: 240
; IeeeMode: 1
; LDSByteSize: 18656 bytes/workgroup (compile time only)
; SGPRBlocks: 0
; VGPRBlocks: 23
; NumSGPRsForWavesPerEU: 50
; NumVGPRsForWavesPerEU: 187
; Occupancy: 5
; WaveLimiterHint : 1
; COMPUTE_PGM_RSRC2:SCRATCH_EN: 0
; COMPUTE_PGM_RSRC2:USER_SGPR: 6
; COMPUTE_PGM_RSRC2:TRAP_HANDLER: 0
; COMPUTE_PGM_RSRC2:TGID_X_EN: 1
; COMPUTE_PGM_RSRC2:TGID_Y_EN: 1
; COMPUTE_PGM_RSRC2:TGID_Z_EN: 1
; COMPUTE_PGM_RSRC2:TIDIG_COMP_CNT: 1
	.section	.text._ZL25flash_attn_mask_to_KV_maxILi32EEvPK7__half2Piiii,"axG",@progbits,_ZL25flash_attn_mask_to_KV_maxILi32EEvPK7__half2Piiii,comdat
	.globl	_ZL25flash_attn_mask_to_KV_maxILi32EEvPK7__half2Piiii ; -- Begin function _ZL25flash_attn_mask_to_KV_maxILi32EEvPK7__half2Piiii
	.p2align	8
	.type	_ZL25flash_attn_mask_to_KV_maxILi32EEvPK7__half2Piiii,@function
_ZL25flash_attn_mask_to_KV_maxILi32EEvPK7__half2Piiii: ; @_ZL25flash_attn_mask_to_KV_maxILi32EEvPK7__half2Piiii
; %bb.0:
	s_load_dwordx4 s[8:11], s[4:5], 0x0
	s_mov_b32 s0, exec_lo
	v_cmpx_gt_u32_e32 32, v0
; %bb.1:
	v_lshlrev_b32_e32 v1, 2, v0
	v_mov_b32_e32 v2, 1
	ds_write_b32 v1, v2
; %bb.2:
	s_or_b32 exec_lo, exec_lo, s0
	s_clause 0x1
	s_load_dwordx4 s[12:15], s[4:5], 0x10
	s_load_dword s1, s[4:5], 0x20
	v_and_b32_e32 v1, 31, v0
	v_lshrrev_b32_e32 v5, 3, v0
	v_mov_b32_e32 v2, 0
	v_mov_b32_e32 v6, 0x204
	s_waitcnt lgkmcnt(0)
	v_lshlrev_b32_e32 v7, 2, v1
	s_barrier
	buffer_gl0_inv
	s_mul_i32 s0, s6, s13
	s_mul_i32 s2, s14, s7
	s_lshl_b32 s0, s0, 5
	s_add_i32 s2, s2, s0
	v_cmp_eq_u32_e64 s0, 0, v1
	s_ashr_i32 s3, s2, 31
	s_lshl_b64 s[4:5], s[2:3], 2
	s_add_u32 s3, s8, s4
	s_addc_u32 s4, s9, s5
	s_lshl_b32 s5, s12, 8
	s_branch .LBB34_4
.LBB34_3:                               ;   in Loop: Header=BB34_4 Depth=1
	s_or_b32 exec_lo, exec_lo, s8
	s_waitcnt lgkmcnt(0)
	s_barrier
	buffer_gl0_inv
	ds_read_b32 v1, v7
	s_waitcnt lgkmcnt(0)
	s_barrier
	buffer_gl0_inv
	v_cmp_ne_u32_e32 vcc_lo, 0, v1
	s_cmp_lg_u32 vcc_lo, exec_lo
	s_cselect_b32 s8, -1, 0
	s_and_b32 vcc_lo, exec_lo, s8
	s_cbranch_vccnz .LBB34_132
.LBB34_4:                               ; =>This Inner Loop Header: Depth=1
	s_mov_b32 s2, s5
	s_addk_i32 s5, 0xff00
	s_cmp_lt_i32 s5, 0
	s_cbranch_scc1 .LBB34_131
; %bb.5:                                ;   in Loop: Header=BB34_4 Depth=1
	s_lshr_b32 s8, s5, 1
	v_add_nc_u32_e32 v1, s8, v0
	v_lshlrev_b64 v[3:4], 2, v[1:2]
	v_add_co_u32 v3, vcc_lo, s3, v3
	v_add_co_ci_u32_e64 v4, null, s4, v4, vcc_lo
	global_load_dword v3, v[3:4], off
	s_waitcnt vmcnt(0)
	v_cmp_class_f16_e64 s8, v3, 0x204
	v_cmp_class_f16_sdwa s9, v3, v6 src0_sel:WORD_1 src1_sel:DWORD
	s_and_b32 s12, s8, s9
	s_mov_b32 s9, 0
	s_and_saveexec_b32 s8, s12
	s_cbranch_execz .LBB34_129
; %bb.6:                                ;   in Loop: Header=BB34_4 Depth=1
	v_add_nc_u32_e32 v3, s13, v1
	s_mov_b32 s12, 0
	v_ashrrev_i32_e32 v4, 31, v3
	v_lshlrev_b64 v[8:9], 2, v[3:4]
	v_add_co_u32 v8, vcc_lo, s3, v8
	v_add_co_ci_u32_e64 v9, null, s4, v9, vcc_lo
	global_load_dword v1, v[8:9], off
	s_waitcnt vmcnt(0)
	v_cmp_class_f16_e64 s14, v1, 0x204
	s_and_saveexec_b32 s9, s14
	s_cbranch_execz .LBB34_128
; %bb.7:                                ;   in Loop: Header=BB34_4 Depth=1
	v_cmp_class_f16_sdwa s15, v1, v6 src0_sel:WORD_1 src1_sel:DWORD
	s_mov_b32 s14, 0
	s_and_saveexec_b32 s12, s15
	s_cbranch_execz .LBB34_127
; %bb.8:                                ;   in Loop: Header=BB34_4 Depth=1
	v_add_nc_u32_e32 v3, s13, v3
	s_mov_b32 s15, 0
	v_ashrrev_i32_e32 v4, 31, v3
	v_lshlrev_b64 v[8:9], 2, v[3:4]
	v_add_co_u32 v8, vcc_lo, s3, v8
	v_add_co_ci_u32_e64 v9, null, s4, v9, vcc_lo
	global_load_dword v1, v[8:9], off
	s_waitcnt vmcnt(0)
	v_cmp_class_f16_e64 s16, v1, 0x204
	s_and_saveexec_b32 s14, s16
	s_cbranch_execz .LBB34_126
; %bb.9:                                ;   in Loop: Header=BB34_4 Depth=1
	v_cmp_class_f16_sdwa s17, v1, v6 src0_sel:WORD_1 src1_sel:DWORD
	s_mov_b32 s16, 0
	s_and_saveexec_b32 s15, s17
	s_cbranch_execz .LBB34_125
; %bb.10:                               ;   in Loop: Header=BB34_4 Depth=1
	v_add_nc_u32_e32 v3, s13, v3
	s_mov_b32 s17, 0
	v_ashrrev_i32_e32 v4, 31, v3
	v_lshlrev_b64 v[8:9], 2, v[3:4]
	v_add_co_u32 v8, vcc_lo, s3, v8
	v_add_co_ci_u32_e64 v9, null, s4, v9, vcc_lo
	global_load_dword v1, v[8:9], off
	s_waitcnt vmcnt(0)
	v_cmp_class_f16_e64 s18, v1, 0x204
	s_and_saveexec_b32 s16, s18
	s_cbranch_execz .LBB34_124
; %bb.11:                               ;   in Loop: Header=BB34_4 Depth=1
	v_cmp_class_f16_sdwa s19, v1, v6 src0_sel:WORD_1 src1_sel:DWORD
	s_mov_b32 s18, 0
	s_and_saveexec_b32 s17, s19
	s_cbranch_execz .LBB34_123
; %bb.12:                               ;   in Loop: Header=BB34_4 Depth=1
	v_add_nc_u32_e32 v3, s13, v3
	s_mov_b32 s19, 0
	v_ashrrev_i32_e32 v4, 31, v3
	v_lshlrev_b64 v[8:9], 2, v[3:4]
	v_add_co_u32 v8, vcc_lo, s3, v8
	v_add_co_ci_u32_e64 v9, null, s4, v9, vcc_lo
	global_load_dword v1, v[8:9], off
	s_waitcnt vmcnt(0)
	v_cmp_class_f16_e64 s20, v1, 0x204
	s_and_saveexec_b32 s18, s20
	s_cbranch_execz .LBB34_122
; %bb.13:                               ;   in Loop: Header=BB34_4 Depth=1
	;; [unrolled: 17-line block ×28, first 2 shown]
	v_cmp_class_f16_sdwa s74, v1, v6 src0_sel:WORD_1 src1_sel:DWORD
	s_mov_b32 s73, 0
	s_and_saveexec_b32 s72, s74
	s_cbranch_execz .LBB34_69
; %bb.66:                               ;   in Loop: Header=BB34_4 Depth=1
	v_add_nc_u32_e32 v3, s13, v3
	v_ashrrev_i32_e32 v4, 31, v3
	v_lshlrev_b64 v[3:4], 2, v[3:4]
	v_add_co_u32 v3, vcc_lo, s3, v3
	v_add_co_ci_u32_e64 v4, null, s4, v4, vcc_lo
	global_load_dword v1, v[3:4], off
	s_waitcnt vmcnt(0)
	v_cmp_class_f16_e64 s75, v1, 0x204
	s_and_saveexec_b32 s74, s75
; %bb.67:                               ;   in Loop: Header=BB34_4 Depth=1
	v_cmp_class_f16_sdwa s73, v1, v6 src0_sel:WORD_1 src1_sel:DWORD
	s_and_b32 s73, s73, exec_lo
; %bb.68:                               ;   in Loop: Header=BB34_4 Depth=1
	s_or_b32 exec_lo, exec_lo, s74
	s_and_b32 s73, s73, exec_lo
.LBB34_69:                              ;   in Loop: Header=BB34_4 Depth=1
	s_or_b32 exec_lo, exec_lo, s72
	s_and_b32 s72, s73, exec_lo
.LBB34_70:                              ;   in Loop: Header=BB34_4 Depth=1
	s_or_b32 exec_lo, exec_lo, s71
	s_and_b32 s71, s72, exec_lo
.LBB34_71:                              ;   in Loop: Header=BB34_4 Depth=1
	s_or_b32 exec_lo, exec_lo, s70
	s_and_b32 s70, s71, exec_lo
.LBB34_72:                              ;   in Loop: Header=BB34_4 Depth=1
	s_or_b32 exec_lo, exec_lo, s69
	s_and_b32 s69, s70, exec_lo
.LBB34_73:                              ;   in Loop: Header=BB34_4 Depth=1
	s_or_b32 exec_lo, exec_lo, s68
	s_and_b32 s68, s69, exec_lo
.LBB34_74:                              ;   in Loop: Header=BB34_4 Depth=1
	s_or_b32 exec_lo, exec_lo, s67
	s_and_b32 s67, s68, exec_lo
.LBB34_75:                              ;   in Loop: Header=BB34_4 Depth=1
	s_or_b32 exec_lo, exec_lo, s66
	s_and_b32 s66, s67, exec_lo
.LBB34_76:                              ;   in Loop: Header=BB34_4 Depth=1
	s_or_b32 exec_lo, exec_lo, s65
	s_and_b32 s65, s66, exec_lo
.LBB34_77:                              ;   in Loop: Header=BB34_4 Depth=1
	s_or_b32 exec_lo, exec_lo, s64
	s_and_b32 s64, s65, exec_lo
.LBB34_78:                              ;   in Loop: Header=BB34_4 Depth=1
	s_or_b32 exec_lo, exec_lo, s63
	s_and_b32 s63, s64, exec_lo
.LBB34_79:                              ;   in Loop: Header=BB34_4 Depth=1
	s_or_b32 exec_lo, exec_lo, s62
	s_and_b32 s62, s63, exec_lo
.LBB34_80:                              ;   in Loop: Header=BB34_4 Depth=1
	s_or_b32 exec_lo, exec_lo, s61
	s_and_b32 s61, s62, exec_lo
.LBB34_81:                              ;   in Loop: Header=BB34_4 Depth=1
	s_or_b32 exec_lo, exec_lo, s60
	s_and_b32 s60, s61, exec_lo
.LBB34_82:                              ;   in Loop: Header=BB34_4 Depth=1
	s_or_b32 exec_lo, exec_lo, s59
	s_and_b32 s59, s60, exec_lo
.LBB34_83:                              ;   in Loop: Header=BB34_4 Depth=1
	s_or_b32 exec_lo, exec_lo, s58
	s_and_b32 s58, s59, exec_lo
.LBB34_84:                              ;   in Loop: Header=BB34_4 Depth=1
	s_or_b32 exec_lo, exec_lo, s57
	s_and_b32 s57, s58, exec_lo
.LBB34_85:                              ;   in Loop: Header=BB34_4 Depth=1
	s_or_b32 exec_lo, exec_lo, s56
	s_and_b32 s56, s57, exec_lo
.LBB34_86:                              ;   in Loop: Header=BB34_4 Depth=1
	s_or_b32 exec_lo, exec_lo, s55
	s_and_b32 s55, s56, exec_lo
.LBB34_87:                              ;   in Loop: Header=BB34_4 Depth=1
	s_or_b32 exec_lo, exec_lo, s54
	s_and_b32 s54, s55, exec_lo
.LBB34_88:                              ;   in Loop: Header=BB34_4 Depth=1
	s_or_b32 exec_lo, exec_lo, s53
	s_and_b32 s53, s54, exec_lo
.LBB34_89:                              ;   in Loop: Header=BB34_4 Depth=1
	s_or_b32 exec_lo, exec_lo, s52
	s_and_b32 s52, s53, exec_lo
.LBB34_90:                              ;   in Loop: Header=BB34_4 Depth=1
	s_or_b32 exec_lo, exec_lo, s51
	s_and_b32 s51, s52, exec_lo
.LBB34_91:                              ;   in Loop: Header=BB34_4 Depth=1
	s_or_b32 exec_lo, exec_lo, s50
	s_and_b32 s50, s51, exec_lo
.LBB34_92:                              ;   in Loop: Header=BB34_4 Depth=1
	s_or_b32 exec_lo, exec_lo, s49
	s_and_b32 s49, s50, exec_lo
.LBB34_93:                              ;   in Loop: Header=BB34_4 Depth=1
	s_or_b32 exec_lo, exec_lo, s48
	s_and_b32 s48, s49, exec_lo
.LBB34_94:                              ;   in Loop: Header=BB34_4 Depth=1
	s_or_b32 exec_lo, exec_lo, s47
	s_and_b32 s47, s48, exec_lo
.LBB34_95:                              ;   in Loop: Header=BB34_4 Depth=1
	s_or_b32 exec_lo, exec_lo, s46
	s_and_b32 s46, s47, exec_lo
.LBB34_96:                              ;   in Loop: Header=BB34_4 Depth=1
	s_or_b32 exec_lo, exec_lo, s45
	s_and_b32 s45, s46, exec_lo
.LBB34_97:                              ;   in Loop: Header=BB34_4 Depth=1
	s_or_b32 exec_lo, exec_lo, s44
	s_and_b32 s44, s45, exec_lo
.LBB34_98:                              ;   in Loop: Header=BB34_4 Depth=1
	s_or_b32 exec_lo, exec_lo, s43
	s_and_b32 s43, s44, exec_lo
.LBB34_99:                              ;   in Loop: Header=BB34_4 Depth=1
	s_or_b32 exec_lo, exec_lo, s42
	s_and_b32 s42, s43, exec_lo
.LBB34_100:                             ;   in Loop: Header=BB34_4 Depth=1
	s_or_b32 exec_lo, exec_lo, s41
	s_and_b32 s41, s42, exec_lo
.LBB34_101:                             ;   in Loop: Header=BB34_4 Depth=1
	s_or_b32 exec_lo, exec_lo, s40
	s_and_b32 s40, s41, exec_lo
.LBB34_102:                             ;   in Loop: Header=BB34_4 Depth=1
	s_or_b32 exec_lo, exec_lo, s39
	s_and_b32 s39, s40, exec_lo
.LBB34_103:                             ;   in Loop: Header=BB34_4 Depth=1
	s_or_b32 exec_lo, exec_lo, s38
	s_and_b32 s38, s39, exec_lo
.LBB34_104:                             ;   in Loop: Header=BB34_4 Depth=1
	s_or_b32 exec_lo, exec_lo, s37
	s_and_b32 s37, s38, exec_lo
.LBB34_105:                             ;   in Loop: Header=BB34_4 Depth=1
	s_or_b32 exec_lo, exec_lo, s36
	s_and_b32 s36, s37, exec_lo
.LBB34_106:                             ;   in Loop: Header=BB34_4 Depth=1
	s_or_b32 exec_lo, exec_lo, s35
	s_and_b32 s35, s36, exec_lo
.LBB34_107:                             ;   in Loop: Header=BB34_4 Depth=1
	s_or_b32 exec_lo, exec_lo, s34
	s_and_b32 s34, s35, exec_lo
.LBB34_108:                             ;   in Loop: Header=BB34_4 Depth=1
	s_or_b32 exec_lo, exec_lo, s33
	s_and_b32 s33, s34, exec_lo
.LBB34_109:                             ;   in Loop: Header=BB34_4 Depth=1
	s_or_b32 exec_lo, exec_lo, s31
	s_and_b32 s31, s33, exec_lo
.LBB34_110:                             ;   in Loop: Header=BB34_4 Depth=1
	s_or_b32 exec_lo, exec_lo, s30
	s_and_b32 s30, s31, exec_lo
.LBB34_111:                             ;   in Loop: Header=BB34_4 Depth=1
	s_or_b32 exec_lo, exec_lo, s29
	s_and_b32 s29, s30, exec_lo
.LBB34_112:                             ;   in Loop: Header=BB34_4 Depth=1
	s_or_b32 exec_lo, exec_lo, s28
	s_and_b32 s28, s29, exec_lo
.LBB34_113:                             ;   in Loop: Header=BB34_4 Depth=1
	s_or_b32 exec_lo, exec_lo, s27
	s_and_b32 s27, s28, exec_lo
.LBB34_114:                             ;   in Loop: Header=BB34_4 Depth=1
	s_or_b32 exec_lo, exec_lo, s26
	s_and_b32 s26, s27, exec_lo
.LBB34_115:                             ;   in Loop: Header=BB34_4 Depth=1
	s_or_b32 exec_lo, exec_lo, s25
	s_and_b32 s25, s26, exec_lo
.LBB34_116:                             ;   in Loop: Header=BB34_4 Depth=1
	s_or_b32 exec_lo, exec_lo, s24
	s_and_b32 s24, s25, exec_lo
.LBB34_117:                             ;   in Loop: Header=BB34_4 Depth=1
	s_or_b32 exec_lo, exec_lo, s23
	s_and_b32 s23, s24, exec_lo
.LBB34_118:                             ;   in Loop: Header=BB34_4 Depth=1
	s_or_b32 exec_lo, exec_lo, s22
	s_and_b32 s22, s23, exec_lo
.LBB34_119:                             ;   in Loop: Header=BB34_4 Depth=1
	s_or_b32 exec_lo, exec_lo, s21
	s_and_b32 s21, s22, exec_lo
.LBB34_120:                             ;   in Loop: Header=BB34_4 Depth=1
	s_or_b32 exec_lo, exec_lo, s20
	s_and_b32 s20, s21, exec_lo
.LBB34_121:                             ;   in Loop: Header=BB34_4 Depth=1
	s_or_b32 exec_lo, exec_lo, s19
	s_and_b32 s19, s20, exec_lo
.LBB34_122:                             ;   in Loop: Header=BB34_4 Depth=1
	s_or_b32 exec_lo, exec_lo, s18
	s_and_b32 s18, s19, exec_lo
.LBB34_123:                             ;   in Loop: Header=BB34_4 Depth=1
	s_or_b32 exec_lo, exec_lo, s17
	s_and_b32 s17, s18, exec_lo
.LBB34_124:                             ;   in Loop: Header=BB34_4 Depth=1
	s_or_b32 exec_lo, exec_lo, s16
	s_and_b32 s16, s17, exec_lo
.LBB34_125:                             ;   in Loop: Header=BB34_4 Depth=1
	s_or_b32 exec_lo, exec_lo, s15
	s_and_b32 s15, s16, exec_lo
.LBB34_126:                             ;   in Loop: Header=BB34_4 Depth=1
	s_or_b32 exec_lo, exec_lo, s14
	s_and_b32 s14, s15, exec_lo
.LBB34_127:                             ;   in Loop: Header=BB34_4 Depth=1
	s_or_b32 exec_lo, exec_lo, s12
	s_and_b32 s12, s14, exec_lo
.LBB34_128:                             ;   in Loop: Header=BB34_4 Depth=1
	s_or_b32 exec_lo, exec_lo, s9
	s_and_b32 s9, s12, exec_lo
.LBB34_129:                             ;   in Loop: Header=BB34_4 Depth=1
	s_or_b32 exec_lo, exec_lo, s8
	v_cndmask_b32_e64 v1, 0, 1, s9
	s_mov_b32 s12, exec_lo
	v_cmp_ne_u32_e32 vcc_lo, 0, v1
	s_and_saveexec_b32 s8, s0
	s_cbranch_execz .LBB34_3
; %bb.130:                              ;   in Loop: Header=BB34_4 Depth=1
	s_cmp_eq_u32 vcc_lo, s12
	s_cselect_b32 s9, -1, 0
	v_cndmask_b32_e64 v1, 0, 1, s9
	ds_write_b32 v5, v1
	s_branch .LBB34_3
.LBB34_131:                             ;   in Loop: Header=BB34_4 Depth=1
	s_cbranch_execz .LBB34_4
.LBB34_132:
	s_mov_b32 s0, exec_lo
	v_cmpx_eq_u32_e32 0, v0
	s_cbranch_execz .LBB34_134
; %bb.133:
	s_mul_i32 s0, s1, s7
	v_mov_b32_e32 v0, 0
	s_add_i32 s0, s0, s6
	v_mov_b32_e32 v1, s2
	s_ashr_i32 s1, s0, 31
	s_lshl_b64 s[0:1], s[0:1], 2
	s_add_u32 s0, s10, s0
	s_addc_u32 s1, s11, s1
	global_store_dword v0, v1, s[0:1]
.LBB34_134:
	s_endpgm
	.section	.rodata,"a",@progbits
	.p2align	6, 0x0
	.amdhsa_kernel _ZL25flash_attn_mask_to_KV_maxILi32EEvPK7__half2Piiii
		.amdhsa_group_segment_fixed_size 128
		.amdhsa_private_segment_fixed_size 0
		.amdhsa_kernarg_size 288
		.amdhsa_user_sgpr_count 6
		.amdhsa_user_sgpr_private_segment_buffer 1
		.amdhsa_user_sgpr_dispatch_ptr 0
		.amdhsa_user_sgpr_queue_ptr 0
		.amdhsa_user_sgpr_kernarg_segment_ptr 1
		.amdhsa_user_sgpr_dispatch_id 0
		.amdhsa_user_sgpr_flat_scratch_init 0
		.amdhsa_user_sgpr_private_segment_size 0
		.amdhsa_wavefront_size32 1
		.amdhsa_uses_dynamic_stack 0
		.amdhsa_system_sgpr_private_segment_wavefront_offset 0
		.amdhsa_system_sgpr_workgroup_id_x 1
		.amdhsa_system_sgpr_workgroup_id_y 1
		.amdhsa_system_sgpr_workgroup_id_z 0
		.amdhsa_system_sgpr_workgroup_info 0
		.amdhsa_system_vgpr_workitem_id 0
		.amdhsa_next_free_vgpr 10
		.amdhsa_next_free_sgpr 76
		.amdhsa_reserve_vcc 1
		.amdhsa_reserve_flat_scratch 0
		.amdhsa_float_round_mode_32 0
		.amdhsa_float_round_mode_16_64 0
		.amdhsa_float_denorm_mode_32 3
		.amdhsa_float_denorm_mode_16_64 3
		.amdhsa_dx10_clamp 1
		.amdhsa_ieee_mode 1
		.amdhsa_fp16_overflow 0
		.amdhsa_workgroup_processor_mode 1
		.amdhsa_memory_ordered 1
		.amdhsa_forward_progress 1
		.amdhsa_shared_vgpr_count 0
		.amdhsa_exception_fp_ieee_invalid_op 0
		.amdhsa_exception_fp_denorm_src 0
		.amdhsa_exception_fp_ieee_div_zero 0
		.amdhsa_exception_fp_ieee_overflow 0
		.amdhsa_exception_fp_ieee_underflow 0
		.amdhsa_exception_fp_ieee_inexact 0
		.amdhsa_exception_int_div_zero 0
	.end_amdhsa_kernel
	.section	.text._ZL25flash_attn_mask_to_KV_maxILi32EEvPK7__half2Piiii,"axG",@progbits,_ZL25flash_attn_mask_to_KV_maxILi32EEvPK7__half2Piiii,comdat
.Lfunc_end34:
	.size	_ZL25flash_attn_mask_to_KV_maxILi32EEvPK7__half2Piiii, .Lfunc_end34-_ZL25flash_attn_mask_to_KV_maxILi32EEvPK7__half2Piiii
                                        ; -- End function
	.set _ZL25flash_attn_mask_to_KV_maxILi32EEvPK7__half2Piiii.num_vgpr, 10
	.set _ZL25flash_attn_mask_to_KV_maxILi32EEvPK7__half2Piiii.num_agpr, 0
	.set _ZL25flash_attn_mask_to_KV_maxILi32EEvPK7__half2Piiii.numbered_sgpr, 76
	.set _ZL25flash_attn_mask_to_KV_maxILi32EEvPK7__half2Piiii.num_named_barrier, 0
	.set _ZL25flash_attn_mask_to_KV_maxILi32EEvPK7__half2Piiii.private_seg_size, 0
	.set _ZL25flash_attn_mask_to_KV_maxILi32EEvPK7__half2Piiii.uses_vcc, 1
	.set _ZL25flash_attn_mask_to_KV_maxILi32EEvPK7__half2Piiii.uses_flat_scratch, 0
	.set _ZL25flash_attn_mask_to_KV_maxILi32EEvPK7__half2Piiii.has_dyn_sized_stack, 0
	.set _ZL25flash_attn_mask_to_KV_maxILi32EEvPK7__half2Piiii.has_recursion, 0
	.set _ZL25flash_attn_mask_to_KV_maxILi32EEvPK7__half2Piiii.has_indirect_call, 0
	.section	.AMDGPU.csdata,"",@progbits
; Kernel info:
; codeLenInByte = 3620
; TotalNumSgprs: 78
; NumVgprs: 10
; ScratchSize: 0
; MemoryBound: 0
; FloatMode: 240
; IeeeMode: 1
; LDSByteSize: 128 bytes/workgroup (compile time only)
; SGPRBlocks: 0
; VGPRBlocks: 1
; NumSGPRsForWavesPerEU: 78
; NumVGPRsForWavesPerEU: 10
; Occupancy: 16
; WaveLimiterHint : 0
; COMPUTE_PGM_RSRC2:SCRATCH_EN: 0
; COMPUTE_PGM_RSRC2:USER_SGPR: 6
; COMPUTE_PGM_RSRC2:TRAP_HANDLER: 0
; COMPUTE_PGM_RSRC2:TGID_X_EN: 1
; COMPUTE_PGM_RSRC2:TGID_Y_EN: 1
; COMPUTE_PGM_RSRC2:TGID_Z_EN: 0
; COMPUTE_PGM_RSRC2:TIDIG_COMP_CNT: 0
	.section	.text._ZL33flash_attn_stream_k_fixup_uniformILi72ELi32ELi2EEvPfPK15HIP_vector_typeIfLj2EEiiiiiiS1_IjLj3EES5_S5_,"axG",@progbits,_ZL33flash_attn_stream_k_fixup_uniformILi72ELi32ELi2EEvPfPK15HIP_vector_typeIfLj2EEiiiiiiS1_IjLj3EES5_S5_,comdat
	.globl	_ZL33flash_attn_stream_k_fixup_uniformILi72ELi32ELi2EEvPfPK15HIP_vector_typeIfLj2EEiiiiiiS1_IjLj3EES5_S5_ ; -- Begin function _ZL33flash_attn_stream_k_fixup_uniformILi72ELi32ELi2EEvPfPK15HIP_vector_typeIfLj2EEiiiiiiS1_IjLj3EES5_S5_
	.p2align	8
	.type	_ZL33flash_attn_stream_k_fixup_uniformILi72ELi32ELi2EEvPfPK15HIP_vector_typeIfLj2EEiiiiiiS1_IjLj3EES5_S5_,@function
_ZL33flash_attn_stream_k_fixup_uniformILi72ELi32ELi2EEvPfPK15HIP_vector_typeIfLj2EEiiiiiiS1_IjLj3EES5_S5_: ; @_ZL33flash_attn_stream_k_fixup_uniformILi72ELi32ELi2EEvPfPK15HIP_vector_typeIfLj2EEiiiiiiS1_IjLj3EES5_S5_
; %bb.0:
	s_clause 0x2
	s_load_dwordx8 s[12:19], s[4:5], 0x1c
	s_load_dwordx4 s[20:23], s[4:5], 0x3c
	s_load_dwordx2 s[10:11], s[4:5], 0x10
	s_waitcnt lgkmcnt(0)
	s_mul_hi_u32 s0, s15, s6
	s_add_i32 s0, s6, s0
	s_lshr_b32 s0, s0, s16
	s_mul_i32 s1, s0, s17
	s_sub_i32 s1, s6, s1
	s_mul_hi_u32 s2, s1, s18
	s_add_i32 s2, s1, s2
	s_lshr_b32 s9, s2, s19
	s_mul_i32 s2, s9, s20
	s_sub_i32 s1, s1, s2
	s_mul_hi_u32 s2, s1, s21
	s_add_i32 s2, s1, s2
	s_lshr_b32 s2, s2, s22
	s_mul_i32 s3, s2, s23
	s_lshl_b32 s16, s2, 1
	s_sub_i32 s15, s1, s3
	s_lshl_b32 s1, s15, 5
	s_add_i32 s1, s1, s7
	s_cmp_lt_i32 s1, s10
	s_cselect_b32 s1, -1, 0
	s_add_i32 s16, s16, s8
	s_cmp_lt_i32 s16, s13
	s_cselect_b32 s2, -1, 0
	s_and_b32 s1, s1, s2
	s_andn2_b32 vcc_lo, exec_lo, s1
	s_cbranch_vccnz .LBB35_6
; %bb.1:
	s_mul_i32 s10, s0, s10
	s_load_dwordx4 s[0:3], s[4:5], 0x0
	s_add_i32 s4, s10, s7
	s_mul_i32 s9, s9, s13
	s_mul_i32 s4, s4, s11
	s_add_i32 s5, s16, s9
	s_mul_i32 s9, s11, s15
	s_add_i32 s4, s5, s4
	s_mulk_i32 s9, 0x900
	s_mulk_i32 s4, 0x48
	s_lshl_b32 s10, s7, 1
	v_add3_u32 v1, s4, s9, v0
	s_mul_i32 s4, s14, s6
	s_add_i32 s11, s4, s14
	v_ashrrev_i32_e32 v2, 31, v1
	v_lshlrev_b64 v[1:2], 2, v[1:2]
	s_waitcnt lgkmcnt(0)
	v_add_co_u32 v1, vcc_lo, s0, v1
	v_add_co_ci_u32_e64 v2, null, s1, v2, vcc_lo
	s_add_i32 s0, s10, s8
	s_lshl_b32 s1, s11, 6
	global_load_dword v5, v[1:2], off
	s_add_i32 s0, s0, s1
	s_sub_i32 s0, s0, 64
	s_ashr_i32 s1, s0, 31
	s_lshl_b64 s[0:1], s[0:1], 3
	s_add_u32 s0, s2, s0
	s_addc_u32 s1, s3, s1
	s_add_i32 s5, s11, -2
	s_load_dword s13, s[0:1], 0x4
	s_cmp_lt_i32 s5, s4
	s_cbranch_scc1 .LBB35_4
; %bb.2:
	s_load_dword s15, s[0:1], 0x0
	s_lshl_b32 s16, s12, 8
	s_mulk_i32 s7, 0x90
	s_ashr_i32 s17, s16, 31
	s_waitcnt lgkmcnt(0)
	v_mov_b32_e32 v6, s13
	s_lshl_b64 s[0:1], s[16:17], 2
	s_add_u32 s5, s2, s0
	s_addc_u32 s9, s3, s1
	s_add_i32 s6, s6, 1
	s_mul_i32 s0, s14, s6
	s_mul_i32 s6, s8, 0x48
	s_lshl_b32 s1, s0, 6
	s_mulk_i32 s0, 0x1200
	s_add_i32 s6, s6, s7
	s_add_i32 s1, s8, s1
	s_lshl_b32 s7, s12, 6
	s_add_i32 s6, s6, s0
	s_add_i32 s0, s1, s7
	v_add3_u32 v3, s6, v0, 0xffffdc00
	v_mov_b32_e32 v0, s15
	s_add_i32 s0, s0, s10
	s_add_i32 s6, s11, -1
	s_addk_i32 s0, 0xff80
.LBB35_3:                               ; =>This Inner Loop Header: Depth=1
	v_ashrrev_i32_e32 v4, 31, v3
	s_ashr_i32 s1, s0, 31
	s_lshl_b64 s[10:11], s[0:1], 3
	s_add_u32 s10, s2, s10
	v_lshlrev_b64 v[7:8], 2, v[3:4]
	s_addc_u32 s11, s3, s11
	v_add_nc_u32_e32 v3, 0xffffee00, v3
	s_add_i32 s6, s6, -1
	s_sub_i32 s0, s0, 64
	s_cmp_le_i32 s6, s4
	v_add_co_u32 v7, vcc_lo, s5, v7
	v_add_co_ci_u32_e64 v8, null, s9, v8, vcc_lo
	s_load_dwordx2 s[10:11], s[10:11], 0x0
	global_load_dword v4, v[7:8], off
	v_max_f32_e32 v7, v0, v0
	s_waitcnt lgkmcnt(0)
	v_max_f32_e64 v8, s10, s10
	v_max_f32_e32 v7, v7, v8
	v_sub_f32_e32 v8, s10, v7
	v_sub_f32_e32 v0, v0, v7
	v_mul_f32_e32 v9, 0x3fb8aa3b, v8
	v_mul_f32_e32 v12, 0x3fb8aa3b, v0
	v_cmp_ngt_f32_e32 vcc_lo, 0xc2ce8ed0, v8
	v_fma_f32 v10, 0x3fb8aa3b, v8, -v9
	v_rndne_f32_e32 v11, v9
	v_fma_f32 v13, 0x3fb8aa3b, v0, -v12
	v_rndne_f32_e32 v14, v12
	v_fmac_f32_e32 v10, 0x32a5705f, v8
	v_sub_f32_e32 v9, v9, v11
	v_fmac_f32_e32 v13, 0x32a5705f, v0
	v_cvt_i32_f32_e32 v11, v11
	v_add_f32_e32 v9, v9, v10
	v_sub_f32_e32 v10, v12, v14
	v_exp_f32_e32 v9, v9
	v_add_f32_e32 v10, v10, v13
	v_exp_f32_e32 v10, v10
	v_ldexp_f32 v9, v9, v11
	v_cvt_i32_f32_e32 v11, v14
	v_cndmask_b32_e32 v9, 0, v9, vcc_lo
	v_cmp_nlt_f32_e32 vcc_lo, 0x42b17218, v8
	v_ldexp_f32 v10, v10, v11
	v_mov_b32_e32 v11, v6
	v_cndmask_b32_e32 v9, 0x7f800000, v9, vcc_lo
	v_cmp_ngt_f32_e32 vcc_lo, 0xc2ce8ed0, v0
	v_cndmask_b32_e32 v10, 0, v10, vcc_lo
	v_cmp_le_f32_e32 vcc_lo, 0xc1a00000, v8
	v_cndmask_b32_e32 v8, 0, v9, vcc_lo
	v_cmp_nlt_f32_e32 vcc_lo, 0x42b17218, v0
	s_waitcnt vmcnt(1)
	v_mov_b32_e32 v9, v5
	v_cndmask_b32_e32 v5, 0x7f800000, v10, vcc_lo
	v_mul_f32_e32 v10, s11, v8
	v_cmp_le_f32_e32 vcc_lo, 0xc1a00000, v0
	v_mov_b32_e32 v0, v7
	v_mov_b32_e32 v6, v10
	v_cndmask_b32_e32 v12, 0, v5, vcc_lo
	v_fmac_f32_e32 v6, v11, v12
	s_waitcnt vmcnt(0)
	v_mul_f32_e32 v5, v4, v8
	v_fmac_f32_e32 v5, v9, v12
	s_cbranch_scc0 .LBB35_3
	s_branch .LBB35_5
.LBB35_4:
	s_waitcnt lgkmcnt(0)
	v_mov_b32_e32 v6, s13
.LBB35_5:
	s_waitcnt vmcnt(0)
	v_div_scale_f32 v0, null, v6, v6, v5
	v_rcp_f32_e32 v3, v0
	v_fma_f32 v4, -v0, v3, 1.0
	v_fmac_f32_e32 v3, v4, v3
	v_div_scale_f32 v4, vcc_lo, v5, v6, v5
	v_mul_f32_e32 v7, v4, v3
	v_fma_f32 v8, -v0, v7, v4
	v_fmac_f32_e32 v7, v8, v3
	v_fma_f32 v0, -v0, v7, v4
	v_div_fmas_f32 v0, v0, v3, v7
	v_div_fixup_f32 v0, v0, v6, v5
	global_store_dword v[1:2], v0, off
.LBB35_6:
	s_endpgm
	.section	.rodata,"a",@progbits
	.p2align	6, 0x0
	.amdhsa_kernel _ZL33flash_attn_stream_k_fixup_uniformILi72ELi32ELi2EEvPfPK15HIP_vector_typeIfLj2EEiiiiiiS1_IjLj3EES5_S5_
		.amdhsa_group_segment_fixed_size 0
		.amdhsa_private_segment_fixed_size 0
		.amdhsa_kernarg_size 76
		.amdhsa_user_sgpr_count 6
		.amdhsa_user_sgpr_private_segment_buffer 1
		.amdhsa_user_sgpr_dispatch_ptr 0
		.amdhsa_user_sgpr_queue_ptr 0
		.amdhsa_user_sgpr_kernarg_segment_ptr 1
		.amdhsa_user_sgpr_dispatch_id 0
		.amdhsa_user_sgpr_flat_scratch_init 0
		.amdhsa_user_sgpr_private_segment_size 0
		.amdhsa_wavefront_size32 1
		.amdhsa_uses_dynamic_stack 0
		.amdhsa_system_sgpr_private_segment_wavefront_offset 0
		.amdhsa_system_sgpr_workgroup_id_x 1
		.amdhsa_system_sgpr_workgroup_id_y 1
		.amdhsa_system_sgpr_workgroup_id_z 1
		.amdhsa_system_sgpr_workgroup_info 0
		.amdhsa_system_vgpr_workitem_id 0
		.amdhsa_next_free_vgpr 15
		.amdhsa_next_free_sgpr 24
		.amdhsa_reserve_vcc 1
		.amdhsa_reserve_flat_scratch 0
		.amdhsa_float_round_mode_32 0
		.amdhsa_float_round_mode_16_64 0
		.amdhsa_float_denorm_mode_32 3
		.amdhsa_float_denorm_mode_16_64 3
		.amdhsa_dx10_clamp 1
		.amdhsa_ieee_mode 1
		.amdhsa_fp16_overflow 0
		.amdhsa_workgroup_processor_mode 1
		.amdhsa_memory_ordered 1
		.amdhsa_forward_progress 1
		.amdhsa_shared_vgpr_count 0
		.amdhsa_exception_fp_ieee_invalid_op 0
		.amdhsa_exception_fp_denorm_src 0
		.amdhsa_exception_fp_ieee_div_zero 0
		.amdhsa_exception_fp_ieee_overflow 0
		.amdhsa_exception_fp_ieee_underflow 0
		.amdhsa_exception_fp_ieee_inexact 0
		.amdhsa_exception_int_div_zero 0
	.end_amdhsa_kernel
	.section	.text._ZL33flash_attn_stream_k_fixup_uniformILi72ELi32ELi2EEvPfPK15HIP_vector_typeIfLj2EEiiiiiiS1_IjLj3EES5_S5_,"axG",@progbits,_ZL33flash_attn_stream_k_fixup_uniformILi72ELi32ELi2EEvPfPK15HIP_vector_typeIfLj2EEiiiiiiS1_IjLj3EES5_S5_,comdat
.Lfunc_end35:
	.size	_ZL33flash_attn_stream_k_fixup_uniformILi72ELi32ELi2EEvPfPK15HIP_vector_typeIfLj2EEiiiiiiS1_IjLj3EES5_S5_, .Lfunc_end35-_ZL33flash_attn_stream_k_fixup_uniformILi72ELi32ELi2EEvPfPK15HIP_vector_typeIfLj2EEiiiiiiS1_IjLj3EES5_S5_
                                        ; -- End function
	.set _ZL33flash_attn_stream_k_fixup_uniformILi72ELi32ELi2EEvPfPK15HIP_vector_typeIfLj2EEiiiiiiS1_IjLj3EES5_S5_.num_vgpr, 15
	.set _ZL33flash_attn_stream_k_fixup_uniformILi72ELi32ELi2EEvPfPK15HIP_vector_typeIfLj2EEiiiiiiS1_IjLj3EES5_S5_.num_agpr, 0
	.set _ZL33flash_attn_stream_k_fixup_uniformILi72ELi32ELi2EEvPfPK15HIP_vector_typeIfLj2EEiiiiiiS1_IjLj3EES5_S5_.numbered_sgpr, 24
	.set _ZL33flash_attn_stream_k_fixup_uniformILi72ELi32ELi2EEvPfPK15HIP_vector_typeIfLj2EEiiiiiiS1_IjLj3EES5_S5_.num_named_barrier, 0
	.set _ZL33flash_attn_stream_k_fixup_uniformILi72ELi32ELi2EEvPfPK15HIP_vector_typeIfLj2EEiiiiiiS1_IjLj3EES5_S5_.private_seg_size, 0
	.set _ZL33flash_attn_stream_k_fixup_uniformILi72ELi32ELi2EEvPfPK15HIP_vector_typeIfLj2EEiiiiiiS1_IjLj3EES5_S5_.uses_vcc, 1
	.set _ZL33flash_attn_stream_k_fixup_uniformILi72ELi32ELi2EEvPfPK15HIP_vector_typeIfLj2EEiiiiiiS1_IjLj3EES5_S5_.uses_flat_scratch, 0
	.set _ZL33flash_attn_stream_k_fixup_uniformILi72ELi32ELi2EEvPfPK15HIP_vector_typeIfLj2EEiiiiiiS1_IjLj3EES5_S5_.has_dyn_sized_stack, 0
	.set _ZL33flash_attn_stream_k_fixup_uniformILi72ELi32ELi2EEvPfPK15HIP_vector_typeIfLj2EEiiiiiiS1_IjLj3EES5_S5_.has_recursion, 0
	.set _ZL33flash_attn_stream_k_fixup_uniformILi72ELi32ELi2EEvPfPK15HIP_vector_typeIfLj2EEiiiiiiS1_IjLj3EES5_S5_.has_indirect_call, 0
	.section	.AMDGPU.csdata,"",@progbits
; Kernel info:
; codeLenInByte = 848
; TotalNumSgprs: 26
; NumVgprs: 15
; ScratchSize: 0
; MemoryBound: 0
; FloatMode: 240
; IeeeMode: 1
; LDSByteSize: 0 bytes/workgroup (compile time only)
; SGPRBlocks: 0
; VGPRBlocks: 1
; NumSGPRsForWavesPerEU: 26
; NumVGPRsForWavesPerEU: 15
; Occupancy: 16
; WaveLimiterHint : 0
; COMPUTE_PGM_RSRC2:SCRATCH_EN: 0
; COMPUTE_PGM_RSRC2:USER_SGPR: 6
; COMPUTE_PGM_RSRC2:TRAP_HANDLER: 0
; COMPUTE_PGM_RSRC2:TGID_X_EN: 1
; COMPUTE_PGM_RSRC2:TGID_Y_EN: 1
; COMPUTE_PGM_RSRC2:TGID_Z_EN: 1
; COMPUTE_PGM_RSRC2:TIDIG_COMP_CNT: 0
	.section	.text._ZL33flash_attn_stream_k_fixup_generalILi72ELi32ELi2EEvPfPK15HIP_vector_typeIfLj2EEiiiiS1_IjLj3EES5_S5_S5_,"axG",@progbits,_ZL33flash_attn_stream_k_fixup_generalILi72ELi32ELi2EEvPfPK15HIP_vector_typeIfLj2EEiiiiS1_IjLj3EES5_S5_S5_,comdat
	.globl	_ZL33flash_attn_stream_k_fixup_generalILi72ELi32ELi2EEvPfPK15HIP_vector_typeIfLj2EEiiiiS1_IjLj3EES5_S5_S5_ ; -- Begin function _ZL33flash_attn_stream_k_fixup_generalILi72ELi32ELi2EEvPfPK15HIP_vector_typeIfLj2EEiiiiS1_IjLj3EES5_S5_S5_
	.p2align	8
	.type	_ZL33flash_attn_stream_k_fixup_generalILi72ELi32ELi2EEvPfPK15HIP_vector_typeIfLj2EEiiiiS1_IjLj3EES5_S5_S5_,@function
_ZL33flash_attn_stream_k_fixup_generalILi72ELi32ELi2EEvPfPK15HIP_vector_typeIfLj2EEiiiiS1_IjLj3EES5_S5_S5_: ; @_ZL33flash_attn_stream_k_fixup_generalILi72ELi32ELi2EEvPfPK15HIP_vector_typeIfLj2EEiiiiS1_IjLj3EES5_S5_S5_
; %bb.0:
	s_clause 0x1
	s_load_dwordx4 s[0:3], s[4:5], 0x10
	s_load_dword s9, s[4:5], 0x50
	s_mov_b32 s16, 0
	s_waitcnt lgkmcnt(0)
	s_mul_hi_i32 s17, s3, s6
	s_mul_i32 s18, s3, s6
	s_cmp_lg_u64 s[16:17], 0
	s_cbranch_scc0 .LBB36_21
; %bb.1:
	s_add_u32 s10, s9, 0
	s_addc_u32 s11, 0, 0
	s_xor_b64 s[10:11], s[10:11], 0
	v_cvt_f32_u32_e32 v1, s10
	v_cvt_f32_u32_e32 v2, s11
	s_sub_u32 s14, 0, s10
	s_subb_u32 s15, 0, s11
	v_fmamk_f32 v1, v2, 0x4f800000, v1
	v_rcp_f32_e32 v1, v1
	v_mul_f32_e32 v1, 0x5f7ffffc, v1
	v_mul_f32_e32 v2, 0x2f800000, v1
	v_trunc_f32_e32 v2, v2
	v_fmamk_f32 v1, v2, 0xcf800000, v1
	v_cvt_u32_f32_e32 v2, v2
	v_cvt_u32_f32_e32 v1, v1
	v_readfirstlane_b32 s12, v2
	v_readfirstlane_b32 s13, v1
	s_mul_i32 s19, s14, s12
	s_mul_hi_u32 s21, s14, s13
	s_mul_i32 s20, s15, s13
	s_add_i32 s19, s21, s19
	s_mul_i32 s22, s14, s13
	s_add_i32 s19, s19, s20
	s_mul_hi_u32 s21, s13, s22
	s_mul_i32 s24, s13, s19
	s_mul_hi_u32 s23, s12, s22
	s_mul_i32 s20, s12, s22
	s_mul_hi_u32 s22, s13, s19
	s_add_u32 s21, s21, s24
	s_addc_u32 s22, 0, s22
	s_mul_hi_u32 s25, s12, s19
	s_add_u32 s20, s21, s20
	s_mul_i32 s19, s12, s19
	s_addc_u32 s20, s22, s23
	s_addc_u32 s21, s25, 0
	s_add_u32 s19, s20, s19
	s_addc_u32 s20, 0, s21
	s_add_u32 s13, s13, s19
	s_cselect_b32 s19, -1, 0
	s_mul_hi_u32 s21, s14, s13
	s_cmp_lg_u32 s19, 0
	s_mul_i32 s19, s14, s13
	s_addc_u32 s12, s12, s20
	s_mul_i32 s15, s15, s13
	s_mul_i32 s14, s14, s12
	s_mul_hi_u32 s20, s13, s19
	s_add_i32 s14, s21, s14
	s_mul_hi_u32 s21, s12, s19
	s_add_i32 s14, s14, s15
	s_mul_i32 s15, s12, s19
	s_mul_i32 s23, s13, s14
	s_mul_hi_u32 s22, s13, s14
	s_add_u32 s20, s20, s23
	s_addc_u32 s22, 0, s22
	s_mul_hi_u32 s19, s12, s14
	s_add_u32 s15, s20, s15
	s_mul_i32 s14, s12, s14
	s_addc_u32 s15, s22, s21
	s_addc_u32 s19, s19, 0
	s_add_u32 s14, s15, s14
	s_addc_u32 s15, 0, s19
	s_add_u32 s19, s13, s14
	s_cselect_b32 s13, -1, 0
	s_cmp_lg_u32 s13, 0
	s_addc_u32 s20, s12, s15
	s_ashr_i32 s12, s17, 31
	s_add_u32 s14, s18, s12
	s_mov_b32 s13, s12
	s_addc_u32 s15, s17, s12
	s_xor_b64 s[14:15], s[14:15], s[12:13]
	s_mul_i32 s21, s14, s20
	s_mul_hi_u32 s22, s14, s19
	s_mul_hi_u32 s17, s14, s20
	;; [unrolled: 1-line block ×3, first 2 shown]
	s_mul_i32 s19, s15, s19
	s_add_u32 s21, s22, s21
	s_addc_u32 s17, 0, s17
	s_mul_hi_u32 s23, s15, s20
	s_add_u32 s19, s21, s19
	s_mul_i32 s20, s15, s20
	s_addc_u32 s17, s17, s24
	s_addc_u32 s19, s23, 0
	s_add_u32 s17, s17, s20
	s_addc_u32 s19, 0, s19
	s_mul_hi_u32 s20, s10, s17
	s_mul_i32 s21, s10, s19
	s_mul_i32 s22, s11, s17
	s_add_i32 s20, s20, s21
	s_mul_i32 s21, s10, s17
	s_add_i32 s20, s20, s22
	s_sub_i32 s22, s15, s20
	s_sub_u32 s14, s14, s21
	s_cselect_b32 s21, -1, 0
	s_cmp_lg_u32 s21, 0
	s_subb_u32 s22, s22, s11
	s_sub_u32 s23, s14, s10
	s_cselect_b32 s24, -1, 0
	s_cmp_lg_u32 s24, 0
	s_subb_u32 s22, s22, 0
	s_cmp_ge_u32 s22, s11
	s_cselect_b32 s24, -1, 0
	s_cmp_ge_u32 s23, s10
	s_cselect_b32 s23, -1, 0
	s_cmp_eq_u32 s22, s11
	s_cselect_b32 s22, s23, s24
	s_add_u32 s23, s17, 1
	s_addc_u32 s24, s19, 0
	s_add_u32 s25, s17, 2
	s_addc_u32 s26, s19, 0
	s_cmp_lg_u32 s22, 0
	s_cselect_b32 s22, s25, s23
	s_cselect_b32 s23, s26, s24
	s_cmp_lg_u32 s21, 0
	s_subb_u32 s15, s15, s20
	s_cmp_ge_u32 s15, s11
	s_cselect_b32 s20, -1, 0
	s_cmp_ge_u32 s14, s10
	s_cselect_b32 s10, -1, 0
	s_cmp_eq_u32 s15, s11
	s_cselect_b32 s10, s10, s20
	s_cmp_lg_u32 s10, 0
	s_cselect_b32 s11, s23, s19
	s_cselect_b32 s10, s22, s17
	s_xor_b64 s[12:13], s[12:13], 0
	s_xor_b64 s[10:11], s[10:11], s[12:13]
	s_sub_u32 s10, s10, s12
	s_load_dwordx4 s[12:15], s[4:5], 0x44
	s_andn2_b32 vcc_lo, exec_lo, s16
	s_cbranch_vccnz .LBB36_3
.LBB36_2:
	v_cvt_f32_u32_e32 v1, s9
	s_sub_i32 s11, 0, s9
	v_rcp_iflag_f32_e32 v1, v1
	v_mul_f32_e32 v1, 0x4f7ffffe, v1
	v_cvt_u32_f32_e32 v1, v1
	v_readfirstlane_b32 s10, v1
	s_mul_i32 s11, s11, s10
	s_mul_hi_u32 s11, s10, s11
	s_add_i32 s10, s10, s11
	s_mul_hi_u32 s10, s18, s10
	s_mul_i32 s11, s10, s9
	s_waitcnt lgkmcnt(0)
	s_add_i32 s15, s10, 1
	s_sub_i32 s11, s18, s11
	s_sub_i32 s16, s11, s9
	s_cmp_ge_u32 s11, s9
	s_cselect_b32 s10, s15, s10
	s_cselect_b32 s11, s16, s11
	s_add_i32 s15, s10, 1
	s_cmp_ge_u32 s11, s9
	s_cselect_b32 s10, s15, s10
.LBB36_3:
	s_add_i32 s11, s6, 1
	s_mov_b32 s16, 0
	s_mul_hi_i32 s17, s3, s11
	s_mul_i32 s11, s3, s11
	s_cmp_lg_u64 s[16:17], 0
	s_cbranch_scc0 .LBB36_22
; %bb.4:
	s_add_u32 s18, s9, 0
	s_addc_u32 s19, 0, 0
	s_xor_b64 s[18:19], s[18:19], 0
	v_cvt_f32_u32_e32 v1, s18
	v_cvt_f32_u32_e32 v2, s19
	s_sub_u32 s21, 0, s18
	s_subb_u32 s22, 0, s19
	v_fmamk_f32 v1, v2, 0x4f800000, v1
	v_rcp_f32_e32 v1, v1
	v_mul_f32_e32 v1, 0x5f7ffffc, v1
	v_mul_f32_e32 v2, 0x2f800000, v1
	v_trunc_f32_e32 v2, v2
	v_fmamk_f32 v1, v2, 0xcf800000, v1
	v_cvt_u32_f32_e32 v2, v2
	v_cvt_u32_f32_e32 v1, v1
	s_waitcnt lgkmcnt(0)
	v_readfirstlane_b32 s15, v2
	v_readfirstlane_b32 s20, v1
	s_mul_i32 s23, s21, s15
	s_mul_hi_u32 s25, s21, s20
	s_mul_i32 s24, s22, s20
	s_add_i32 s23, s25, s23
	s_mul_i32 s26, s21, s20
	s_add_i32 s23, s23, s24
	s_mul_hi_u32 s25, s20, s26
	s_mul_i32 s28, s20, s23
	s_mul_hi_u32 s27, s15, s26
	s_mul_i32 s24, s15, s26
	s_mul_hi_u32 s26, s20, s23
	s_add_u32 s25, s25, s28
	s_addc_u32 s26, 0, s26
	s_mul_hi_u32 s29, s15, s23
	s_add_u32 s24, s25, s24
	s_mul_i32 s23, s15, s23
	s_addc_u32 s24, s26, s27
	s_addc_u32 s25, s29, 0
	s_add_u32 s23, s24, s23
	s_addc_u32 s24, 0, s25
	s_add_u32 s20, s20, s23
	s_cselect_b32 s23, -1, 0
	s_mul_hi_u32 s25, s21, s20
	s_cmp_lg_u32 s23, 0
	s_mul_i32 s23, s21, s20
	s_addc_u32 s15, s15, s24
	s_mul_i32 s22, s22, s20
	s_mul_i32 s21, s21, s15
	s_mul_hi_u32 s24, s20, s23
	s_add_i32 s21, s25, s21
	s_mul_hi_u32 s25, s15, s23
	s_add_i32 s21, s21, s22
	s_mul_i32 s22, s15, s23
	s_mul_i32 s27, s20, s21
	s_mul_hi_u32 s26, s20, s21
	s_add_u32 s24, s24, s27
	s_addc_u32 s26, 0, s26
	s_mul_hi_u32 s23, s15, s21
	s_add_u32 s22, s24, s22
	s_mul_i32 s21, s15, s21
	s_addc_u32 s22, s26, s25
	s_addc_u32 s23, s23, 0
	s_add_u32 s21, s22, s21
	s_addc_u32 s22, 0, s23
	s_add_u32 s24, s20, s21
	s_cselect_b32 s20, -1, 0
	s_cmp_lg_u32 s20, 0
	s_addc_u32 s15, s15, s22
	s_ashr_i32 s20, s17, 31
	s_add_u32 s22, s11, s20
	s_mov_b32 s21, s20
	s_addc_u32 s23, s17, s20
	s_xor_b64 s[22:23], s[22:23], s[20:21]
	s_mul_i32 s25, s22, s15
	s_mul_hi_u32 s26, s22, s24
	s_mul_hi_u32 s17, s22, s15
	;; [unrolled: 1-line block ×3, first 2 shown]
	s_mul_i32 s24, s23, s24
	s_add_u32 s25, s26, s25
	s_addc_u32 s17, 0, s17
	s_mul_hi_u32 s27, s23, s15
	s_add_u32 s24, s25, s24
	s_mul_i32 s15, s23, s15
	s_addc_u32 s17, s17, s28
	s_addc_u32 s24, s27, 0
	s_add_u32 s15, s17, s15
	s_addc_u32 s17, 0, s24
	s_mul_hi_u32 s24, s18, s15
	s_mul_i32 s25, s18, s17
	s_mul_i32 s26, s19, s15
	s_add_i32 s24, s24, s25
	s_mul_i32 s25, s18, s15
	s_add_i32 s24, s24, s26
	s_sub_i32 s26, s23, s24
	s_sub_u32 s22, s22, s25
	s_cselect_b32 s25, -1, 0
	s_cmp_lg_u32 s25, 0
	s_subb_u32 s26, s26, s19
	s_sub_u32 s27, s22, s18
	s_cselect_b32 s28, -1, 0
	s_cmp_lg_u32 s28, 0
	s_subb_u32 s26, s26, 0
	s_cmp_ge_u32 s26, s19
	s_cselect_b32 s28, -1, 0
	s_cmp_ge_u32 s27, s18
	s_cselect_b32 s27, -1, 0
	s_cmp_eq_u32 s26, s19
	s_cselect_b32 s26, s27, s28
	s_add_u32 s27, s15, 1
	s_addc_u32 s28, s17, 0
	s_add_u32 s29, s15, 2
	s_addc_u32 s30, s17, 0
	s_cmp_lg_u32 s26, 0
	s_cselect_b32 s26, s29, s27
	s_cselect_b32 s27, s30, s28
	s_cmp_lg_u32 s25, 0
	s_subb_u32 s23, s23, s24
	s_cmp_ge_u32 s23, s19
	s_cselect_b32 s24, -1, 0
	s_cmp_ge_u32 s22, s18
	s_cselect_b32 s18, -1, 0
	s_cmp_eq_u32 s23, s19
	s_cselect_b32 s18, s18, s24
	s_cmp_lg_u32 s18, 0
	s_cselect_b32 s19, s27, s17
	s_cselect_b32 s18, s26, s15
	s_xor_b64 s[20:21], s[20:21], 0
	s_xor_b64 s[18:19], s[18:19], s[20:21]
	s_sub_u32 s18, s18, s20
	s_andn2_b32 vcc_lo, exec_lo, s16
	s_cbranch_vccnz .LBB36_6
.LBB36_5:
	v_cvt_f32_u32_e32 v1, s9
	s_sub_i32 s16, 0, s9
	v_rcp_iflag_f32_e32 v1, v1
	v_mul_f32_e32 v1, 0x4f7ffffe, v1
	v_cvt_u32_f32_e32 v1, v1
	s_waitcnt lgkmcnt(0)
	v_readfirstlane_b32 s15, v1
	s_mul_i32 s16, s16, s15
	s_mul_hi_u32 s16, s15, s16
	s_add_i32 s15, s15, s16
	s_mul_hi_u32 s15, s11, s15
	s_mul_i32 s16, s15, s9
	s_sub_i32 s11, s11, s16
	s_add_i32 s16, s15, 1
	s_sub_i32 s17, s11, s9
	s_cmp_ge_u32 s11, s9
	s_cselect_b32 s15, s16, s15
	s_cselect_b32 s11, s17, s11
	s_add_i32 s16, s15, 1
	s_cmp_ge_u32 s11, s9
	s_cselect_b32 s18, s16, s15
.LBB36_6:
	s_cmp_eq_u32 s10, s18
	s_waitcnt lgkmcnt(0)
	s_mul_hi_u32 s11, s10, s12
	s_cselect_b32 s15, -1, 0
	s_add_i32 s11, s11, s10
	s_lshr_b32 s11, s11, s13
	s_mul_i32 s16, s11, s14
	s_cmp_eq_u32 s16, s10
	s_mul_hi_u32 s16, s18, s12
	s_cselect_b32 s17, -1, 0
	s_add_i32 s16, s16, s18
	s_lshr_b32 s16, s16, s13
	s_cmp_eq_u32 s11, s16
	s_mul_i32 s16, s16, s14
	s_cselect_b32 s19, -1, 0
	s_cmp_lg_u32 s16, s18
	s_cselect_b32 s16, -1, 0
	s_or_b32 s15, s15, s17
	s_and_b32 s16, s19, s16
	s_or_b32 s15, s15, s16
	s_and_b32 vcc_lo, exec_lo, s15
	s_cbranch_vccnz .LBB36_24
; %bb.7:
	s_clause 0x1
	s_load_dwordx8 s[20:27], s[4:5], 0x20
	s_load_dword s16, s[4:5], 0x40
	s_waitcnt lgkmcnt(0)
	s_mul_hi_u32 s15, s10, s20
	s_add_i32 s15, s15, s10
	s_lshr_b32 s15, s15, s21
	s_mul_i32 s17, s15, s22
	s_sub_i32 s17, s10, s17
	s_mul_hi_u32 s18, s17, s23
	s_add_i32 s18, s17, s18
	s_lshr_b32 s21, s18, s24
	s_mul_i32 s18, s21, s25
	s_sub_i32 s17, s17, s18
	s_mul_hi_u32 s18, s17, s26
	s_add_i32 s18, s17, s18
	s_lshr_b32 s18, s18, s27
	s_mul_i32 s16, s18, s16
	s_lshl_b32 s22, s18, 1
	s_sub_i32 s16, s17, s16
	s_mul_hi_u32 s17, s16, s12
	s_add_i32 s16, s16, s17
	s_lshr_b32 s20, s16, s13
	s_lshl_b32 s16, s20, 5
	s_add_i32 s16, s16, s7
	s_cmp_lt_i32 s16, s0
	s_cselect_b32 s16, -1, 0
	s_add_i32 s22, s22, s8
	s_cmp_lt_i32 s22, s2
	s_cselect_b32 s17, -1, 0
	s_and_b32 s16, s16, s17
	s_andn2_b32 vcc_lo, exec_lo, s16
	s_cbranch_vccnz .LBB36_24
; %bb.8:
	s_load_dwordx4 s[16:19], s[4:5], 0x0
	s_mov_b32 s4, 0
	s_lshl_b32 s24, s9, 8
	s_mov_b32 s25, s4
	s_lshl_b32 s5, s7, 1
	s_lshl_b64 s[24:25], s[24:25], 2
	s_mul_i32 s21, s21, s2
	s_mul_i32 s0, s15, s0
	s_add_i32 s2, s5, s8
	v_cvt_f32_u32_e32 v3, s9
	v_rcp_iflag_f32_e32 v3, v3
	s_waitcnt lgkmcnt(0)
	s_add_u32 s8, s18, s24
	s_addc_u32 s15, s19, s25
	s_add_i32 s0, s0, s7
	s_add_i32 s5, s22, s21
	s_mul_i32 s0, s0, s1
	s_mul_i32 s1, s1, s20
	s_add_i32 s0, s5, s0
	s_mulk_i32 s1, 0x900
	s_mulk_i32 s0, 0x48
	v_mul_f32_e32 v7, 0x4f7ffffe, v3
	v_add3_u32 v1, s1, s0, v0
	s_lshl_b32 s0, s6, 6
	s_add_i32 s0, s2, s0
	v_ashrrev_i32_e32 v2, 31, v1
	s_ashr_i32 s1, s0, 31
	s_lshl_b64 s[0:1], s[0:1], 3
	v_lshlrev_b64 v[1:2], 2, v[1:2]
	s_add_u32 s0, s18, s0
	s_addc_u32 s1, s19, s1
	s_load_dwordx2 s[0:1], s[0:1], 0x0
	v_add_co_u32 v1, vcc_lo, s16, v1
	v_add_co_ci_u32_e64 v2, null, s17, v2, vcc_lo
	s_add_i32 s17, s6, -1
	v_mad_u64_u32 v[3:4], null, 0x48, s2, v[0:1]
	global_load_dword v5, v[1:2], off
	v_cvt_u32_f32_e32 v0, v7
	s_sub_i32 s16, 0, s9
	s_waitcnt lgkmcnt(0)
	v_mov_b32_e32 v4, s1
	v_mov_b32_e32 v6, s0
.LBB36_9:                               ; =>This Inner Loop Header: Depth=1
	s_mul_hi_i32 s5, s17, s3
	s_mul_i32 s6, s17, s3
	s_cmp_lg_u64 s[4:5], 0
	s_mov_b32 s7, -1
                                        ; implicit-def: $sgpr0_sgpr1
	s_cbranch_scc0 .LBB36_11
; %bb.10:                               ;   in Loop: Header=BB36_9 Depth=1
	s_add_u32 s0, s9, 0
	s_addc_u32 s1, 0, 0
	s_xor_b64 s[0:1], s[0:1], 0
	v_cvt_f32_u32_e32 v7, s0
	v_cvt_f32_u32_e32 v8, s1
	s_sub_u32 s21, 0, s0
	s_subb_u32 s22, 0, s1
	v_fmac_f32_e32 v7, 0x4f800000, v8
	v_rcp_f32_e32 v7, v7
	v_mul_f32_e32 v7, 0x5f7ffffc, v7
	v_mul_f32_e32 v8, 0x2f800000, v7
	v_trunc_f32_e32 v8, v8
	v_fmac_f32_e32 v7, 0xcf800000, v8
	v_cvt_u32_f32_e32 v8, v8
	v_cvt_u32_f32_e32 v7, v7
	v_readfirstlane_b32 s7, v8
	v_readfirstlane_b32 s20, v7
	s_mul_i32 s23, s21, s7
	s_mul_hi_u32 s25, s21, s20
	s_mul_i32 s24, s22, s20
	s_add_i32 s23, s25, s23
	s_mul_i32 s26, s21, s20
	s_add_i32 s23, s23, s24
	s_mul_hi_u32 s25, s20, s26
	s_mul_i32 s28, s20, s23
	s_mul_hi_u32 s27, s7, s26
	s_mul_i32 s24, s7, s26
	s_mul_hi_u32 s26, s20, s23
	s_add_u32 s25, s25, s28
	s_addc_u32 s26, 0, s26
	s_mul_hi_u32 s29, s7, s23
	s_add_u32 s24, s25, s24
	s_mul_i32 s23, s7, s23
	s_addc_u32 s24, s26, s27
	s_addc_u32 s25, s29, 0
	s_add_u32 s23, s24, s23
	s_addc_u32 s24, 0, s25
	s_add_u32 s20, s20, s23
	s_cselect_b32 s23, -1, 0
	s_mul_hi_u32 s25, s21, s20
	s_cmp_lg_u32 s23, 0
	s_mul_i32 s23, s21, s20
	s_addc_u32 s7, s7, s24
	s_mul_i32 s22, s22, s20
	s_mul_i32 s21, s21, s7
	s_mul_hi_u32 s24, s20, s23
	s_add_i32 s21, s25, s21
	s_mul_hi_u32 s25, s7, s23
	s_add_i32 s21, s21, s22
	s_mul_i32 s22, s7, s23
	s_mul_i32 s27, s20, s21
	s_mul_hi_u32 s26, s20, s21
	s_add_u32 s24, s24, s27
	s_addc_u32 s26, 0, s26
	s_mul_hi_u32 s23, s7, s21
	s_add_u32 s22, s24, s22
	s_mul_i32 s21, s7, s21
	s_addc_u32 s22, s26, s25
	s_addc_u32 s23, s23, 0
	s_add_u32 s21, s22, s21
	s_addc_u32 s22, 0, s23
	s_add_u32 s24, s20, s21
	s_cselect_b32 s20, -1, 0
	s_cmp_lg_u32 s20, 0
	s_addc_u32 s7, s7, s22
	s_ashr_i32 s20, s5, 31
	s_add_u32 s22, s6, s20
	s_mov_b32 s21, s20
	s_addc_u32 s23, s5, s20
	s_xor_b64 s[22:23], s[22:23], s[20:21]
	s_mul_i32 s25, s22, s7
	s_mul_hi_u32 s26, s22, s24
	s_mul_hi_u32 s5, s22, s7
	;; [unrolled: 1-line block ×3, first 2 shown]
	s_mul_i32 s24, s23, s24
	s_add_u32 s25, s26, s25
	s_addc_u32 s5, 0, s5
	s_mul_hi_u32 s27, s23, s7
	s_add_u32 s24, s25, s24
	s_mul_i32 s7, s23, s7
	s_addc_u32 s5, s5, s28
	s_addc_u32 s24, s27, 0
	s_add_u32 s5, s5, s7
	s_addc_u32 s7, 0, s24
	s_mul_hi_u32 s24, s0, s5
	s_mul_i32 s25, s0, s7
	s_mul_i32 s26, s1, s5
	s_add_i32 s24, s24, s25
	s_mul_i32 s25, s0, s5
	s_add_i32 s24, s24, s26
	s_sub_i32 s26, s23, s24
	s_sub_u32 s22, s22, s25
	s_cselect_b32 s25, -1, 0
	s_cmp_lg_u32 s25, 0
	s_subb_u32 s26, s26, s1
	s_sub_u32 s27, s22, s0
	s_cselect_b32 s28, -1, 0
	s_cmp_lg_u32 s28, 0
	s_subb_u32 s26, s26, 0
	s_cmp_ge_u32 s26, s1
	s_cselect_b32 s28, -1, 0
	s_cmp_ge_u32 s27, s0
	s_cselect_b32 s27, -1, 0
	s_cmp_eq_u32 s26, s1
	s_cselect_b32 s26, s27, s28
	s_add_u32 s27, s5, 1
	s_addc_u32 s28, s7, 0
	s_add_u32 s29, s5, 2
	s_addc_u32 s30, s7, 0
	s_cmp_lg_u32 s26, 0
	s_cselect_b32 s26, s29, s27
	s_cselect_b32 s27, s30, s28
	s_cmp_lg_u32 s25, 0
	s_subb_u32 s23, s23, s24
	s_cmp_ge_u32 s23, s1
	s_cselect_b32 s24, -1, 0
	s_cmp_ge_u32 s22, s0
	s_cselect_b32 s0, -1, 0
	s_cmp_eq_u32 s23, s1
	s_cselect_b32 s0, s0, s24
	s_cmp_lg_u32 s0, 0
	s_cselect_b32 s1, s27, s7
	s_cselect_b32 s0, s26, s5
	s_xor_b64 s[20:21], s[20:21], 0
	s_mov_b32 s7, 0
	s_xor_b64 s[0:1], s[0:1], s[20:21]
	s_sub_u32 s0, s0, s20
.LBB36_11:                              ;   in Loop: Header=BB36_9 Depth=1
	s_andn2_b32 vcc_lo, exec_lo, s7
	s_cbranch_vccnz .LBB36_13
; %bb.12:                               ;   in Loop: Header=BB36_9 Depth=1
	v_readfirstlane_b32 s0, v0
	s_mul_i32 s1, s16, s0
	s_mul_hi_u32 s1, s0, s1
	s_add_i32 s0, s0, s1
	s_mul_hi_u32 s0, s6, s0
	s_mul_i32 s1, s0, s9
	s_add_i32 s5, s0, 1
	s_sub_i32 s1, s6, s1
	s_sub_i32 s6, s1, s9
	s_cmp_ge_u32 s1, s9
	s_cselect_b32 s0, s5, s0
	s_cselect_b32 s1, s6, s1
	s_add_i32 s5, s0, 1
	s_cmp_ge_u32 s1, s9
	s_cselect_b32 s0, s5, s0
.LBB36_13:                              ;   in Loop: Header=BB36_9 Depth=1
	s_cmp_lg_u32 s10, s0
	s_mov_b32 s6, -1
                                        ; implicit-def: $sgpr5
                                        ; implicit-def: $vgpr8
                                        ; implicit-def: $vgpr7
                                        ; implicit-def: $vgpr9
                                        ; implicit-def: $sgpr1
                                        ; implicit-def: $sgpr20
	s_cbranch_scc0 .LBB36_18
; %bb.14:                               ;   in Loop: Header=BB36_9 Depth=1
	s_add_i32 s1, s17, s9
	s_mov_b32 s7, s4
	s_lshl_b32 s1, s1, 6
	s_mov_b32 s20, s10
	s_add_i32 s6, s1, s2
	s_mul_hi_u32 s1, s0, s12
	s_lshl_b64 s[6:7], s[6:7], 3
	s_add_u32 s6, s18, s6
	s_addc_u32 s7, s19, s7
	s_add_i32 s1, s1, s0
	s_lshr_b32 s1, s1, s13
	s_mul_i32 s5, s1, s14
	s_cmp_eq_u32 s5, s0
	s_cselect_b32 s5, -1, 0
	s_cmp_lt_u32 s1, s11
	s_cselect_b32 s1, -1, 0
	s_or_b32 s1, s1, s5
	s_mov_b32 s5, -1
	s_and_b32 vcc_lo, exec_lo, s1
	s_mov_b32 s1, s17
	s_cbranch_vccnz .LBB36_16
; %bb.15:                               ;   in Loop: Header=BB36_9 Depth=1
	s_add_i32 s1, s17, -1
	s_mov_b32 s5, 0
	s_mov_b32 s20, s0
.LBB36_16:                              ;   in Loop: Header=BB36_9 Depth=1
	v_mad_u64_u32 v[7:8], null, 0x1200, s17, v[3:4]
	s_load_dwordx2 s[6:7], s[6:7], 0x0
	v_ashrrev_i32_e32 v8, 31, v7
	v_lshlrev_b64 v[7:8], 2, v[7:8]
	v_add_co_u32 v7, vcc_lo, s8, v7
	v_add_co_ci_u32_e64 v8, null, s15, v8, vcc_lo
	s_waitcnt lgkmcnt(0)
	v_max_f32_e64 v9, s6, s6
	global_load_dword v8, v[7:8], off
	v_max_f32_e32 v7, v6, v6
	v_max_f32_e32 v7, v7, v9
	v_sub_f32_e32 v9, s6, v7
	v_sub_f32_e32 v10, v6, v7
	v_mul_f32_e32 v11, 0x3fb8aa3b, v9
	v_mul_f32_e32 v12, 0x3fb8aa3b, v10
	v_cmp_ngt_f32_e32 vcc_lo, 0xc2ce8ed0, v9
	v_fma_f32 v13, 0x3fb8aa3b, v9, -v11
	v_rndne_f32_e32 v14, v11
	v_fma_f32 v15, 0x3fb8aa3b, v10, -v12
	v_rndne_f32_e32 v16, v12
	v_fmac_f32_e32 v13, 0x32a5705f, v9
	v_sub_f32_e32 v11, v11, v14
	v_fmac_f32_e32 v15, 0x32a5705f, v10
	v_sub_f32_e32 v12, v12, v16
	v_add_f32_e32 v11, v11, v13
	v_cvt_i32_f32_e32 v13, v14
	v_add_f32_e32 v12, v12, v15
	v_cvt_i32_f32_e32 v14, v16
	v_exp_f32_e32 v11, v11
	v_exp_f32_e32 v12, v12
	v_ldexp_f32 v11, v11, v13
	v_ldexp_f32 v12, v12, v14
	v_cndmask_b32_e32 v11, 0, v11, vcc_lo
	v_cmp_ngt_f32_e32 vcc_lo, 0xc2ce8ed0, v10
	v_cndmask_b32_e32 v12, 0, v12, vcc_lo
	v_cmp_nlt_f32_e32 vcc_lo, 0x42b17218, v9
	v_cndmask_b32_e32 v11, 0x7f800000, v11, vcc_lo
	v_cmp_nlt_f32_e32 vcc_lo, 0x42b17218, v10
	v_cndmask_b32_e32 v12, 0x7f800000, v12, vcc_lo
	v_cmp_le_f32_e32 vcc_lo, 0xc1a00000, v9
	v_cndmask_b32_e32 v9, 0, v11, vcc_lo
	v_cmp_le_f32_e32 vcc_lo, 0xc1a00000, v10
	v_cndmask_b32_e32 v10, 0, v12, vcc_lo
	s_waitcnt vmcnt(0)
	v_mul_f32_e32 v8, v8, v9
	v_mul_f32_e32 v9, s7, v9
	v_fmac_f32_e32 v8, v5, v10
	v_fmac_f32_e32 v9, v4, v10
	s_cbranch_execz .LBB36_19
.LBB36_17:                              ;   in Loop: Header=BB36_9 Depth=1
	s_andn2_b32 vcc_lo, exec_lo, s5
	s_cbranch_vccnz .LBB36_20
	s_branch .LBB36_23
.LBB36_18:                              ;   in Loop: Header=BB36_9 Depth=1
	s_andn2_b32 vcc_lo, exec_lo, s6
	s_cbranch_vccnz .LBB36_17
.LBB36_19:                              ;   in Loop: Header=BB36_9 Depth=1
	v_mov_b32_e32 v9, v4
	v_mov_b32_e32 v7, v6
	s_waitcnt vmcnt(0)
	v_mov_b32_e32 v8, v5
	s_add_i32 s1, s17, -1
	s_mov_b32 s20, s10
	s_cbranch_execz .LBB36_23
.LBB36_20:                              ;   in Loop: Header=BB36_9 Depth=1
	v_mov_b32_e32 v4, v9
	v_mov_b32_e32 v6, v7
	s_waitcnt vmcnt(0)
	v_mov_b32_e32 v5, v8
	s_mov_b32 s10, s20
	s_mov_b32 s17, s1
	s_branch .LBB36_9
.LBB36_21:
                                        ; implicit-def: $sgpr10_sgpr11
	s_load_dwordx4 s[12:15], s[4:5], 0x44
	s_branch .LBB36_2
.LBB36_22:
                                        ; implicit-def: $sgpr18_sgpr19
	s_branch .LBB36_5
.LBB36_23:
	v_div_scale_f32 v0, null, v9, v9, v8
	v_rcp_f32_e32 v3, v0
	v_fma_f32 v4, -v0, v3, 1.0
	v_fmac_f32_e32 v3, v4, v3
	v_div_scale_f32 v4, vcc_lo, v8, v9, v8
	s_waitcnt vmcnt(0)
	v_mul_f32_e32 v5, v4, v3
	v_fma_f32 v6, -v0, v5, v4
	v_fmac_f32_e32 v5, v6, v3
	v_fma_f32 v0, -v0, v5, v4
	v_div_fmas_f32 v0, v0, v3, v5
	v_div_fixup_f32 v0, v0, v9, v8
	global_store_dword v[1:2], v0, off
.LBB36_24:
	s_endpgm
	.section	.rodata,"a",@progbits
	.p2align	6, 0x0
	.amdhsa_kernel _ZL33flash_attn_stream_k_fixup_generalILi72ELi32ELi2EEvPfPK15HIP_vector_typeIfLj2EEiiiiS1_IjLj3EES5_S5_S5_
		.amdhsa_group_segment_fixed_size 0
		.amdhsa_private_segment_fixed_size 0
		.amdhsa_kernarg_size 336
		.amdhsa_user_sgpr_count 6
		.amdhsa_user_sgpr_private_segment_buffer 1
		.amdhsa_user_sgpr_dispatch_ptr 0
		.amdhsa_user_sgpr_queue_ptr 0
		.amdhsa_user_sgpr_kernarg_segment_ptr 1
		.amdhsa_user_sgpr_dispatch_id 0
		.amdhsa_user_sgpr_flat_scratch_init 0
		.amdhsa_user_sgpr_private_segment_size 0
		.amdhsa_wavefront_size32 1
		.amdhsa_uses_dynamic_stack 0
		.amdhsa_system_sgpr_private_segment_wavefront_offset 0
		.amdhsa_system_sgpr_workgroup_id_x 1
		.amdhsa_system_sgpr_workgroup_id_y 1
		.amdhsa_system_sgpr_workgroup_id_z 1
		.amdhsa_system_sgpr_workgroup_info 0
		.amdhsa_system_vgpr_workitem_id 0
		.amdhsa_next_free_vgpr 17
		.amdhsa_next_free_sgpr 31
		.amdhsa_reserve_vcc 1
		.amdhsa_reserve_flat_scratch 0
		.amdhsa_float_round_mode_32 0
		.amdhsa_float_round_mode_16_64 0
		.amdhsa_float_denorm_mode_32 3
		.amdhsa_float_denorm_mode_16_64 3
		.amdhsa_dx10_clamp 1
		.amdhsa_ieee_mode 1
		.amdhsa_fp16_overflow 0
		.amdhsa_workgroup_processor_mode 1
		.amdhsa_memory_ordered 1
		.amdhsa_forward_progress 1
		.amdhsa_shared_vgpr_count 0
		.amdhsa_exception_fp_ieee_invalid_op 0
		.amdhsa_exception_fp_denorm_src 0
		.amdhsa_exception_fp_ieee_div_zero 0
		.amdhsa_exception_fp_ieee_overflow 0
		.amdhsa_exception_fp_ieee_underflow 0
		.amdhsa_exception_fp_ieee_inexact 0
		.amdhsa_exception_int_div_zero 0
	.end_amdhsa_kernel
	.section	.text._ZL33flash_attn_stream_k_fixup_generalILi72ELi32ELi2EEvPfPK15HIP_vector_typeIfLj2EEiiiiS1_IjLj3EES5_S5_S5_,"axG",@progbits,_ZL33flash_attn_stream_k_fixup_generalILi72ELi32ELi2EEvPfPK15HIP_vector_typeIfLj2EEiiiiS1_IjLj3EES5_S5_S5_,comdat
.Lfunc_end36:
	.size	_ZL33flash_attn_stream_k_fixup_generalILi72ELi32ELi2EEvPfPK15HIP_vector_typeIfLj2EEiiiiS1_IjLj3EES5_S5_S5_, .Lfunc_end36-_ZL33flash_attn_stream_k_fixup_generalILi72ELi32ELi2EEvPfPK15HIP_vector_typeIfLj2EEiiiiS1_IjLj3EES5_S5_S5_
                                        ; -- End function
	.set _ZL33flash_attn_stream_k_fixup_generalILi72ELi32ELi2EEvPfPK15HIP_vector_typeIfLj2EEiiiiS1_IjLj3EES5_S5_S5_.num_vgpr, 17
	.set _ZL33flash_attn_stream_k_fixup_generalILi72ELi32ELi2EEvPfPK15HIP_vector_typeIfLj2EEiiiiS1_IjLj3EES5_S5_S5_.num_agpr, 0
	.set _ZL33flash_attn_stream_k_fixup_generalILi72ELi32ELi2EEvPfPK15HIP_vector_typeIfLj2EEiiiiS1_IjLj3EES5_S5_S5_.numbered_sgpr, 31
	.set _ZL33flash_attn_stream_k_fixup_generalILi72ELi32ELi2EEvPfPK15HIP_vector_typeIfLj2EEiiiiS1_IjLj3EES5_S5_S5_.num_named_barrier, 0
	.set _ZL33flash_attn_stream_k_fixup_generalILi72ELi32ELi2EEvPfPK15HIP_vector_typeIfLj2EEiiiiS1_IjLj3EES5_S5_S5_.private_seg_size, 0
	.set _ZL33flash_attn_stream_k_fixup_generalILi72ELi32ELi2EEvPfPK15HIP_vector_typeIfLj2EEiiiiS1_IjLj3EES5_S5_S5_.uses_vcc, 1
	.set _ZL33flash_attn_stream_k_fixup_generalILi72ELi32ELi2EEvPfPK15HIP_vector_typeIfLj2EEiiiiS1_IjLj3EES5_S5_S5_.uses_flat_scratch, 0
	.set _ZL33flash_attn_stream_k_fixup_generalILi72ELi32ELi2EEvPfPK15HIP_vector_typeIfLj2EEiiiiS1_IjLj3EES5_S5_S5_.has_dyn_sized_stack, 0
	.set _ZL33flash_attn_stream_k_fixup_generalILi72ELi32ELi2EEvPfPK15HIP_vector_typeIfLj2EEiiiiS1_IjLj3EES5_S5_S5_.has_recursion, 0
	.set _ZL33flash_attn_stream_k_fixup_generalILi72ELi32ELi2EEvPfPK15HIP_vector_typeIfLj2EEiiiiS1_IjLj3EES5_S5_S5_.has_indirect_call, 0
	.section	.AMDGPU.csdata,"",@progbits
; Kernel info:
; codeLenInByte = 2948
; TotalNumSgprs: 33
; NumVgprs: 17
; ScratchSize: 0
; MemoryBound: 0
; FloatMode: 240
; IeeeMode: 1
; LDSByteSize: 0 bytes/workgroup (compile time only)
; SGPRBlocks: 0
; VGPRBlocks: 2
; NumSGPRsForWavesPerEU: 33
; NumVGPRsForWavesPerEU: 17
; Occupancy: 16
; WaveLimiterHint : 0
; COMPUTE_PGM_RSRC2:SCRATCH_EN: 0
; COMPUTE_PGM_RSRC2:USER_SGPR: 6
; COMPUTE_PGM_RSRC2:TRAP_HANDLER: 0
; COMPUTE_PGM_RSRC2:TGID_X_EN: 1
; COMPUTE_PGM_RSRC2:TGID_Y_EN: 1
; COMPUTE_PGM_RSRC2:TGID_Z_EN: 1
; COMPUTE_PGM_RSRC2:TIDIG_COMP_CNT: 0
	.section	.text._ZL15flash_attn_tileILi72ELi72ELi16ELi2ELb0EEvPKcS1_S1_S1_S1_PKiPfP15HIP_vector_typeIfLj2EEffffjfiS5_IjLj3EEiiiiiiiiiiiliiliiiiil,"axG",@progbits,_ZL15flash_attn_tileILi72ELi72ELi16ELi2ELb0EEvPKcS1_S1_S1_S1_PKiPfP15HIP_vector_typeIfLj2EEffffjfiS5_IjLj3EEiiiiiiiiiiiliiliiiiil,comdat
	.globl	_ZL15flash_attn_tileILi72ELi72ELi16ELi2ELb0EEvPKcS1_S1_S1_S1_PKiPfP15HIP_vector_typeIfLj2EEffffjfiS5_IjLj3EEiiiiiiiiiiiliiliiiiil ; -- Begin function _ZL15flash_attn_tileILi72ELi72ELi16ELi2ELb0EEvPKcS1_S1_S1_S1_PKiPfP15HIP_vector_typeIfLj2EEffffjfiS5_IjLj3EEiiiiiiiiiiiliiliiiiil
	.p2align	8
	.type	_ZL15flash_attn_tileILi72ELi72ELi16ELi2ELb0EEvPKcS1_S1_S1_S1_PKiPfP15HIP_vector_typeIfLj2EEffffjfiS5_IjLj3EEiiiiiiiiiiiliiliiiiil,@function
_ZL15flash_attn_tileILi72ELi72ELi16ELi2ELb0EEvPKcS1_S1_S1_S1_PKiPfP15HIP_vector_typeIfLj2EEffffjfiS5_IjLj3EEiiiiiiiiiiiliiliiiiil: ; @_ZL15flash_attn_tileILi72ELi72ELi16ELi2ELb0EEvPKcS1_S1_S1_S1_PKiPfP15HIP_vector_typeIfLj2EEffffjfiS5_IjLj3EEiiiiiiiiiiiliiliiiiil
; %bb.0:
	s_clause 0x1
	s_load_dwordx4 s[24:27], s[4:5], 0x5c
	s_load_dwordx2 s[38:39], s[4:5], 0x80
	s_mov_b32 s34, s7
	s_mov_b64 s[40:41], 0
	s_waitcnt lgkmcnt(0)
	s_lshr_b32 s0, s27, 31
	s_add_i32 s0, s27, s0
	s_ashr_i32 s0, s0, 1
	v_cvt_f32_u32_e32 v2, s0
	s_sub_i32 s2, 0, s0
	v_rcp_iflag_f32_e32 v2, v2
	v_mul_f32_e32 v2, 0x4f7ffffe, v2
	v_cvt_u32_f32_e32 v2, v2
	v_readfirstlane_b32 s1, v2
	s_mul_i32 s2, s2, s1
	s_mul_hi_u32 s2, s1, s2
	s_add_i32 s1, s1, s2
	s_mul_hi_u32 s1, s8, s1
	s_mul_i32 s2, s1, s0
	s_add_i32 s3, s1, 1
	s_sub_i32 s2, s8, s2
	s_sub_i32 s7, s2, s0
	s_cmp_ge_u32 s2, s0
	s_cselect_b32 s1, s3, s1
	s_cselect_b32 s2, s7, s2
	s_add_i32 s3, s1, 1
	s_cmp_ge_u32 s2, s0
	s_cselect_b32 s33, s3, s1
	s_abs_i32 s0, s39
	s_lshl_b32 s3, s8, 1
	v_cvt_f32_u32_e32 v2, s0
	s_sub_i32 s2, 0, s0
	s_abs_i32 s8, s27
	s_mul_i32 s7, s33, s27
	v_rcp_iflag_f32_e32 v2, v2
	s_sub_i32 s36, s3, s7
	v_mul_f32_e32 v2, 0x4f7ffffe, v2
	v_cvt_u32_f32_e32 v2, v2
	v_readfirstlane_b32 s1, v2
	s_mul_i32 s2, s2, s1
	s_mul_hi_u32 s2, s1, s2
	s_add_i32 s1, s1, s2
	s_xor_b32 s2, s27, s39
	s_mul_hi_u32 s1, s8, s1
	s_ashr_i32 s2, s2, 31
	s_mul_i32 s3, s1, s0
	s_add_i32 s7, s1, 1
	s_sub_i32 s3, s8, s3
	s_sub_i32 s8, s3, s0
	s_cmp_ge_u32 s3, s0
	s_cselect_b32 s1, s7, s1
	s_cselect_b32 s3, s8, s3
	s_add_i32 s7, s1, 1
	s_cmp_ge_u32 s3, s0
	s_cselect_b32 s0, s7, s1
	s_xor_b32 s0, s0, s2
	s_sub_i32 s35, s0, s2
	s_clause 0x1
	s_load_dwordx16 s[8:23], s[4:5], 0x0
	s_load_dwordx2 s[0:1], s[4:5], 0xb8
	s_abs_i32 s7, s35
	v_cvt_f32_u32_e32 v2, s7
	v_rcp_iflag_f32_e32 v2, v2
	v_mul_f32_e32 v2, 0x4f7ffffe, v2
	s_waitcnt lgkmcnt(0)
	s_cmp_eq_u64 s[14:15], 0
	v_cvt_u32_f32_e32 v2, v2
	v_readfirstlane_b32 s37, v2
	s_cbranch_scc1 .LBB37_2
; %bb.1:
	s_abs_i32 s0, s0
	s_abs_i32 s28, s33
	v_cvt_f32_u32_e32 v2, s0
	s_sub_i32 s3, 0, s0
	v_rcp_iflag_f32_e32 v2, v2
	v_mul_f32_e32 v2, 0x4f7ffffe, v2
	v_cvt_u32_f32_e32 v2, v2
	v_readfirstlane_b32 s2, v2
	s_mul_i32 s3, s3, s2
	s_mul_hi_u32 s3, s2, s3
	s_add_i32 s2, s2, s3
	s_mul_hi_u32 s29, s28, s2
	s_load_dwordx2 s[2:3], s[4:5], 0xc8
	s_mul_i32 s29, s29, s0
	s_sub_i32 s28, s28, s29
	s_ashr_i32 s29, s33, 31
	s_sub_i32 s30, s28, s0
	s_cmp_ge_u32 s28, s0
	s_cselect_b32 s28, s30, s28
	s_sub_i32 s30, s28, s0
	s_cmp_ge_u32 s28, s0
	s_cselect_b32 s0, s30, s28
	s_xor_b32 s0, s0, s29
	s_sub_i32 s0, s0, s29
	s_ashr_i32 s28, s0, 31
	s_waitcnt lgkmcnt(0)
	s_mul_hi_u32 s29, s2, s0
	s_mul_i32 s28, s2, s28
	s_mul_i32 s3, s3, s0
	s_add_i32 s28, s29, s28
	s_mul_i32 s0, s2, s0
	s_add_i32 s28, s28, s3
	s_add_u32 s40, s14, s0
	s_addc_u32 s41, s15, s28
.LBB37_2:
	s_clause 0x1
	s_load_dwordx4 s[44:47], s[4:5], 0x70
	s_load_dword s15, s[4:5], 0x40
	v_lshlrev_b32_e32 v27, 3, v0
	v_lshlrev_b32_e32 v14, 2, v0
	s_lshl_b32 s14, s6, 4
	v_cmp_gt_u32_e64 s0, 18, v0
	v_lshl_add_u32 v2, v1, 1, s14
	v_add_nc_u32_e32 v4, 0x14e0, v27
	v_lshlrev_b32_e32 v5, 2, v14
	s_waitcnt lgkmcnt(0)
	s_mul_i32 s3, s33, s46
	s_mul_i32 s28, s36, s45
	s_ashr_i32 s29, s3, 31
	s_add_u32 s3, s8, s3
	s_addc_u32 s8, s9, s29
	s_ashr_i32 s9, s28, 31
	s_add_u32 s28, s3, s28
	s_mov_b32 s2, s45
	s_addc_u32 s29, s8, s9
	s_ashr_i32 s3, s45, 31
	s_ashr_i32 s45, s44, 31
	s_lshr_b64 s[2:3], s[2:3], 2
	s_lshr_b64 s[8:9], s[44:45], 2
	s_and_saveexec_b32 s30, s0
	s_cbranch_execz .LBB37_4
; %bb.3:
	v_mul_hi_u32 v3, v2, s24
	s_lshl_b64 s[42:43], s[2:3], 2
	s_add_u32 s31, s28, s42
	s_addc_u32 s39, s29, s43
	v_add_nc_u32_e32 v3, v2, v3
	v_lshrrev_b32_e32 v3, s25, v3
	v_mul_lo_u32 v3, v3, s26
	v_sub_nc_u32_e32 v8, v2, v3
	v_mad_u64_u32 v[6:7], null, s8, v8, 0
	v_mov_b32_e32 v3, v7
	v_mad_u64_u32 v[7:8], null, s9, v8, v[3:4]
	v_lshlrev_b64 v[6:7], 2, v[6:7]
	v_add_co_u32 v3, vcc_lo, s28, v6
	v_add_co_ci_u32_e64 v8, null, s29, v7, vcc_lo
	v_add_co_u32 v9, vcc_lo, s31, v6
	v_add_co_ci_u32_e64 v11, null, s39, v7, vcc_lo
	;; [unrolled: 2-line block ×4, first 2 shown]
	s_clause 0x1
	global_load_dwordx4 v[6:9], v[6:7], off
	global_load_dwordx4 v[10:13], v[10:11], off
	s_waitcnt vmcnt(1)
	v_fma_mixlo_f16 v3, s15, v6, 0
	v_fma_mixlo_f16 v6, s15, v7, 0
	;; [unrolled: 1-line block ×4, first 2 shown]
	s_waitcnt vmcnt(0)
	v_fma_mixlo_f16 v9, s15, v10, 0
	v_fma_mixlo_f16 v10, s15, v11, 0
	;; [unrolled: 1-line block ×4, first 2 shown]
	v_lshlrev_b32_e32 v6, 16, v6
	v_and_b32_e32 v3, 0xffff, v3
	v_lshlrev_b32_e32 v10, 16, v10
	v_and_b32_e32 v9, 0xffff, v9
	;; [unrolled: 2-line block ×4, first 2 shown]
	v_or_b32_e32 v3, v6, v3
	v_or_b32_e32 v10, v10, v9
	v_mad_u32_u24 v13, 0x240, v1, v4
	v_or3_b32 v7, v8, v7, 0
	v_or3_b32 v9, v12, v11, 0
	;; [unrolled: 1-line block ×4, first 2 shown]
	ds_write2_b64 v13, v[6:7], v[8:9] offset1:18
.LBB37_4:
	s_or_b32 exec_lo, exec_lo, s30
	v_lshlrev_b32_e32 v3, 2, v1
	v_or_b32_e32 v6, 2, v3
	v_lshrrev_b32_e32 v24, 1, v6
	s_and_saveexec_b32 s30, s0
	s_cbranch_execz .LBB37_6
; %bb.5:
	v_add_nc_u32_e32 v7, s14, v24
	v_mad_u32_u24 v11, 0x90, v6, v4
	v_mul_hi_u32 v8, v7, s24
	v_add_nc_u32_e32 v8, v7, v8
	v_lshrrev_b32_e32 v8, s25, v8
	v_mul_lo_u32 v8, v8, s26
	v_sub_nc_u32_e32 v9, v7, v8
	v_mad_u64_u32 v[7:8], null, s8, v9, 0
	v_mad_u64_u32 v[8:9], null, s9, v9, v[8:9]
	v_lshlrev_b64 v[7:8], 2, v[7:8]
	v_add_co_u32 v7, vcc_lo, s28, v7
	v_add_co_ci_u32_e64 v8, null, s29, v8, vcc_lo
	v_add_co_u32 v7, vcc_lo, v7, v5
	v_add_co_ci_u32_e64 v8, null, 0, v8, vcc_lo
	global_load_dwordx4 v[7:10], v[7:8], off
	s_waitcnt vmcnt(0)
	v_fma_mixlo_f16 v8, s15, v8, 0
	v_fma_mixlo_f16 v7, s15, v7, 0
	;; [unrolled: 1-line block ×4, first 2 shown]
	v_lshlrev_b32_e32 v8, 16, v8
	v_and_b32_e32 v7, 0xffff, v7
	v_and_b32_e32 v9, 0xffff, v9
	v_lshlrev_b32_e32 v10, 16, v10
	v_or_b32_e32 v8, v8, v7
	v_or3_b32 v7, v10, v9, 0
	v_or3_b32 v6, 0, 0, v8
	ds_write_b64 v11, v[6:7]
.LBB37_6:
	s_or_b32 exec_lo, exec_lo, s30
	v_or_b32_e32 v23, 3, v3
	s_and_saveexec_b32 s30, s0
	s_cbranch_execz .LBB37_8
; %bb.7:
	v_lshrrev_b32_e32 v6, 1, v23
	s_lshl_b64 s[2:3], s[2:3], 2
	v_mad_u32_u24 v9, 0x90, v23, v4
	s_add_u32 s2, s28, s2
	s_addc_u32 s3, s29, s3
	v_add_nc_u32_e32 v6, s14, v6
	v_mul_hi_u32 v7, v6, s24
	v_add_nc_u32_e32 v7, v6, v7
	v_lshrrev_b32_e32 v7, s25, v7
	v_mul_lo_u32 v7, v7, s26
	v_sub_nc_u32_e32 v8, v6, v7
	v_mad_u64_u32 v[6:7], null, s8, v8, 0
	v_mad_u64_u32 v[7:8], null, s9, v8, v[7:8]
	v_lshlrev_b64 v[6:7], 2, v[6:7]
	v_add_co_u32 v6, vcc_lo, s2, v6
	v_add_co_ci_u32_e64 v7, null, s3, v7, vcc_lo
	v_add_co_u32 v5, vcc_lo, v6, v5
	v_add_co_ci_u32_e64 v6, null, 0, v7, vcc_lo
	global_load_dwordx4 v[5:8], v[5:6], off
	s_waitcnt vmcnt(0)
	v_fma_mixlo_f16 v6, s15, v6, 0
	v_fma_mixlo_f16 v5, s15, v5, 0
	;; [unrolled: 1-line block ×4, first 2 shown]
	v_lshlrev_b32_e32 v6, 16, v6
	v_and_b32_e32 v5, 0xffff, v5
	v_and_b32_e32 v7, 0xffff, v7
	v_lshlrev_b32_e32 v8, 16, v8
	v_or_b32_e32 v6, v6, v5
	v_or3_b32 v5, v8, v7, 0
	v_or3_b32 v4, 0, 0, v6
	ds_write_b64 v9, v[4:5]
.LBB37_8:
	s_or_b32 exec_lo, exec_lo, s30
	s_cmp_eq_u64 s[18:19], 0
	s_waitcnt lgkmcnt(0)
	s_barrier
	buffer_gl0_inv
	s_cbranch_scc1 .LBB37_10
; %bb.9:
	s_load_dword s2, s[4:5], 0xd0
	s_mov_b32 s3, 0
	s_waitcnt lgkmcnt(0)
	s_mul_i32 s2, s2, s33
	s_add_i32 s2, s2, s6
	s_lshl_b64 s[2:3], s[2:3], 2
	s_add_u32 s2, s18, s2
	s_addc_u32 s3, s19, s3
	s_load_dword s38, s[2:3], 0x0
.LBB37_10:
	v_mbcnt_lo_u32_b32 v32, -1, 0
	s_lshl_b32 s15, s34, 5
	s_waitcnt lgkmcnt(0)
	s_cmp_lt_i32 s15, s38
	s_cbranch_scc1 .LBB37_13
; %bb.11:
	v_mbcnt_lo_u32_b32 v6, -1, 0
	v_mov_b32_e32 v35, 32
	v_xor_b32_e32 v40, 16, v6
	v_xor_b32_e32 v39, 8, v6
	;; [unrolled: 1-line block ×5, first 2 shown]
	s_cbranch_execz .LBB37_14
; %bb.12:
	v_mov_b32_e32 v33, 0
	v_mov_b32_e32 v57, 0
	;; [unrolled: 1-line block ×16, first 2 shown]
	s_branch .LBB37_22
.LBB37_13:
                                        ; implicit-def: $vgpr6
                                        ; implicit-def: $vgpr35
                                        ; implicit-def: $vgpr40
                                        ; implicit-def: $vgpr39
                                        ; implicit-def: $vgpr38
                                        ; implicit-def: $vgpr37
                                        ; implicit-def: $vgpr36
.LBB37_14:
	s_clause 0x1
	s_load_dwordx4 s[28:31], s[4:5], 0x98
	s_load_dwordx2 s[2:3], s[4:5], 0x8c
	s_sub_i32 s6, 0, s7
	v_add_nc_u32_e32 v5, 1, v2
	s_mul_i32 s6, s6, s37
	s_abs_i32 s39, s36
	s_mul_hi_u32 s6, s37, s6
	v_mul_hi_u32 v4, s24, v2
	s_add_i32 s37, s37, s6
	v_mul_hi_u32 v6, s24, v5
	s_mul_hi_u32 s6, s39, s37
	s_ashr_i32 s37, s33, 31
	s_ashr_i32 s42, s36, 31
	;; [unrolled: 1-line block ×3, first 2 shown]
	s_load_dwordx2 s[8:9], s[4:5], 0xa8
	s_ashr_i32 s1, s1, 1
	s_mul_i32 s43, s6, s7
	v_add_nc_u32_e32 v4, v2, v4
	v_add_nc_u32_e32 v6, v5, v6
	v_lshrrev_b32_e32 v7, 3, v0
	s_waitcnt lgkmcnt(0)
	s_ashr_i32 s18, s30, 2
	s_ashr_i32 s19, s2, 2
	s_mul_hi_u32 s2, s28, s33
	s_mul_i32 s30, s28, s37
	s_mul_i32 s29, s29, s33
	s_add_i32 s2, s2, s30
	s_mul_i32 s28, s28, s33
	s_add_i32 s2, s2, s29
	s_add_u32 s10, s10, s28
	s_addc_u32 s2, s11, s2
	s_sub_i32 s28, s39, s43
	s_xor_b32 s11, s42, s35
	s_add_i32 s29, s6, 1
	s_sub_i32 s30, s28, s7
	s_cmp_ge_u32 s28, s7
	v_lshrrev_b32_e32 v4, s25, v4
	s_cselect_b32 s6, s29, s6
	s_cselect_b32 s28, s30, s28
	s_add_i32 s29, s6, 1
	v_lshrrev_b32_e32 v6, s25, v6
	s_cmp_ge_u32 s28, s7
	v_mul_lo_u32 v9, v4, s26
	s_cselect_b32 s6, s29, s6
	v_lshl_add_u32 v12, v1, 5, v0
	s_xor_b32 s6, s6, s11
	v_mul_lo_u32 v6, v6, s26
	s_sub_i32 s6, s6, s11
	v_add_nc_u32_e32 v13, v7, v3
	s_mul_i32 s3, s6, s3
	s_mul_hi_u32 s7, s8, s33
	s_mul_i32 s30, s8, s37
	s_ashr_i32 s11, s3, 31
	s_add_u32 s28, s10, s3
	v_mul_lo_u32 v3, s19, v13
	v_mul_lo_u32 v7, s19, v12
	v_sub_nc_u32_e32 v2, v2, v9
	v_mul_lo_u32 v9, s18, v12
	v_mul_lo_u32 v11, s18, v13
	s_mul_i32 s9, s9, s33
	s_addc_u32 s29, s2, s11
	s_add_i32 s2, s7, s30
	v_sub_nc_u32_e32 v5, v5, v6
	s_mul_i32 s8, s8, s33
	s_mul_i32 s6, s6, s31
	s_add_i32 s2, s2, s9
	v_and_b32_e32 v19, 28, v14
	s_add_u32 s3, s12, s8
	s_addc_u32 s2, s13, s2
	s_ashr_i32 s7, s6, 31
	s_add_u32 s24, s3, s6
	s_movk_i32 s3, 0x80
	v_mul_lo_u32 v45, v2, s1
	v_mul_lo_u32 v46, v5, s1
	s_movk_i32 s1, 0x90
	v_cmp_gt_u32_e32 vcc_lo, 32, v12
	v_lshlrev_b32_e32 v15, 2, v19
	v_ashrrev_i32_e32 v4, 31, v3
	v_ashrrev_i32_e32 v8, 31, v7
	v_mad_u32_u24 v43, 0xa0, v12, s3
	v_ashrrev_i32_e32 v10, 31, v9
	v_mad_u32_u24 v48, v12, s1, 0x80
	v_ashrrev_i32_e32 v12, 31, v11
	v_lshl_add_u32 v47, v1, 8, 0x26e0
	s_movk_i32 s3, 0x240
	v_mad_u32_u24 v41, 0xa0, v13, v15
	v_mad_u32_u24 v49, 0x90, v13, v15
	v_lshlrev_b64 v[15:16], 2, v[7:8]
	v_lshlrev_b64 v[17:18], 2, v[3:4]
	v_lshlrev_b32_e32 v50, 2, v19
	v_lshlrev_b64 v[19:20], 2, v[9:10]
	v_lshlrev_b64 v[21:22], 2, v[11:12]
	v_mov_b32_e32 v25, 0
	v_mul_u32_u24_e32 v42, 0xa0, v0
	v_mad_u32_u24 v44, v1, s3, 0x14e0
	v_mov_b32_e32 v6, 0xfeffffff
	v_mov_b32_e32 v35, 32
	v_xor_b32_e32 v40, 16, v32
	v_xor_b32_e32 v39, 8, v32
	;; [unrolled: 1-line block ×5, first 2 shown]
	v_add_nc_u32_e32 v51, v47, v27
	v_mov_b32_e32 v52, 0x10001
	v_mov_b32_e32 v26, 0
	v_mov_b32_e32 v29, 0
	v_mov_b32_e32 v28, 0
	v_mov_b32_e32 v31, 0
	v_mov_b32_e32 v30, 0
	v_mov_b32_e32 v34, 0
	v_mov_b32_e32 v33, 0
	v_mov_b32_e32 v8, 0xfeffffff
	v_mov_b32_e32 v9, 0xfeffffff
	v_mov_b32_e32 v7, 0xfeffffff
	v_mov_b32_e32 v56, 0
	v_mov_b32_e32 v55, 0
	v_mov_b32_e32 v54, 0
	v_mov_b32_e32 v53, 0
	s_addc_u32 s25, s2, s7
	s_add_u32 s12, s4, 0xd0
	s_addc_u32 s13, s5, 0
.LBB37_15:                              ; =>This Inner Loop Header: Depth=1
	s_mul_hi_i32 s3, s15, s19
	s_mul_i32 s2, s15, s19
	s_lshl_b64 s[2:3], s[2:3], 2
	s_add_u32 s2, s28, s2
	s_addc_u32 s3, s29, s3
	s_and_saveexec_b32 s6, vcc_lo
	s_cbranch_execz .LBB37_17
; %bb.16:                               ;   in Loop: Header=BB37_15 Depth=1
	v_add_co_u32 v2, s1, s2, v15
	v_add_co_ci_u32_e64 v3, null, s3, v16, s1
	global_load_dwordx4 v[2:5], v[2:3], off offset:128
	s_waitcnt vmcnt(0)
	ds_write_b128 v43, v[2:5]
.LBB37_17:                              ;   in Loop: Header=BB37_15 Depth=1
	s_or_b32 exec_lo, exec_lo, s6
	v_add_co_u32 v2, s1, s2, v17
	v_add_co_ci_u32_e64 v3, null, s3, v18, s1
	v_add_nc_u32_e32 v74, s15, v0
	v_add_co_u32 v2, s1, v2, v50
	v_add_co_ci_u32_e64 v3, null, 0, v3, s1
	v_add_nc_u32_e32 v73, v74, v45
	v_add_nc_u32_e32 v75, v74, v46
	s_mul_hi_i32 s31, s15, s18
	global_load_dwordx4 v[2:5], v[2:3], off
	s_mul_i32 s30, s15, s18
	v_ashrrev_i32_e32 v74, 31, v73
	v_ashrrev_i32_e32 v76, 31, v75
	s_lshl_b64 s[30:31], s[30:31], 2
	s_add_u32 s30, s24, s30
	v_lshlrev_b64 v[73:74], 1, v[73:74]
	v_lshlrev_b64 v[75:76], 1, v[75:76]
	s_addc_u32 s31, s25, s31
	v_add_co_u32 v73, s1, s40, v73
	v_add_co_ci_u32_e64 v74, null, s41, v74, s1
	v_add_co_u32 v75, s1, s40, v75
	v_add_co_ci_u32_e64 v76, null, s41, v76, s1
	v_cmp_gt_i32_e64 s1, 32, v40
	s_waitcnt vmcnt(0)
	ds_write_b128 v41, v[2:5]
	s_waitcnt lgkmcnt(0)
	s_barrier
	buffer_gl0_inv
	ds_read_b128 v[10:13], v42
	ds_read_b128 v[57:60], v44
	ds_read_b128 v[61:64], v44 offset:144
	ds_read_b128 v[65:68], v44 offset:288
	;; [unrolled: 1-line block ×3, first 2 shown]
	v_mov_b32_e32 v3, 0
	v_mov_b32_e32 v2, 0
	;; [unrolled: 1-line block ×4, first 2 shown]
	s_waitcnt lgkmcnt(3)
	;;#ASMSTART
	v_dot2_f32_f16 v3, v10, v57, v3
	;;#ASMEND
	;;#ASMSTART
	v_dot2_f32_f16 v3, v11, v58, v3
	;;#ASMEND
	;;#ASMSTART
	v_dot2_f32_f16 v3, v12, v59, v3
	;;#ASMEND
	;;#ASMSTART
	v_dot2_f32_f16 v3, v13, v60, v3
	;;#ASMEND
	s_waitcnt lgkmcnt(2)
	;;#ASMSTART
	v_dot2_f32_f16 v2, v10, v61, v2
	;;#ASMEND
	;;#ASMSTART
	v_dot2_f32_f16 v2, v11, v62, v2
	;;#ASMEND
	;;#ASMSTART
	v_dot2_f32_f16 v2, v12, v63, v2
	;;#ASMEND
	;;#ASMSTART
	v_dot2_f32_f16 v2, v13, v64, v2
	;;#ASMEND
	s_waitcnt lgkmcnt(1)
	;;#ASMSTART
	v_dot2_f32_f16 v4, v10, v65, v4
	;;#ASMEND
	;;#ASMSTART
	v_dot2_f32_f16 v4, v11, v66, v4
	;;#ASMEND
	;;#ASMSTART
	v_dot2_f32_f16 v4, v12, v67, v4
	;;#ASMEND
	;;#ASMSTART
	v_dot2_f32_f16 v4, v13, v68, v4
	;;#ASMEND
	s_waitcnt lgkmcnt(0)
	;;#ASMSTART
	v_dot2_f32_f16 v5, v10, v69, v5
	;;#ASMEND
	;;#ASMSTART
	v_dot2_f32_f16 v5, v11, v70, v5
	;;#ASMEND
	;;#ASMSTART
	v_dot2_f32_f16 v5, v12, v71, v5
	;;#ASMEND
	;;#ASMSTART
	v_dot2_f32_f16 v5, v13, v72, v5
	;;#ASMEND
	ds_read_b128 v[10:13], v42 offset:16
	ds_read_b128 v[57:60], v44 offset:16
	ds_read_b128 v[61:64], v44 offset:160
	ds_read_b128 v[65:68], v44 offset:304
	ds_read_b128 v[69:72], v44 offset:448
	s_waitcnt lgkmcnt(3)
	;;#ASMSTART
	v_dot2_f32_f16 v3, v10, v57, v3
	;;#ASMEND
	;;#ASMSTART
	v_dot2_f32_f16 v3, v11, v58, v3
	;;#ASMEND
	;;#ASMSTART
	v_dot2_f32_f16 v3, v12, v59, v3
	;;#ASMEND
	;;#ASMSTART
	v_dot2_f32_f16 v3, v13, v60, v3
	;;#ASMEND
	s_waitcnt lgkmcnt(2)
	;;#ASMSTART
	v_dot2_f32_f16 v2, v10, v61, v2
	;;#ASMEND
	;;#ASMSTART
	v_dot2_f32_f16 v2, v11, v62, v2
	;;#ASMEND
	;;#ASMSTART
	v_dot2_f32_f16 v2, v12, v63, v2
	;;#ASMEND
	;;#ASMSTART
	v_dot2_f32_f16 v2, v13, v64, v2
	;;#ASMEND
	s_waitcnt lgkmcnt(1)
	;;#ASMSTART
	v_dot2_f32_f16 v4, v10, v65, v4
	;;#ASMEND
	;;#ASMSTART
	v_dot2_f32_f16 v4, v11, v66, v4
	;;#ASMEND
	;;#ASMSTART
	v_dot2_f32_f16 v4, v12, v67, v4
	;;#ASMEND
	;;#ASMSTART
	v_dot2_f32_f16 v4, v13, v68, v4
	;;#ASMEND
	s_waitcnt lgkmcnt(0)
	;;#ASMSTART
	v_dot2_f32_f16 v5, v10, v69, v5
	;;#ASMEND
	;;#ASMSTART
	v_dot2_f32_f16 v5, v11, v70, v5
	;;#ASMEND
	;;#ASMSTART
	v_dot2_f32_f16 v5, v12, v71, v5
	;;#ASMEND
	;;#ASMSTART
	v_dot2_f32_f16 v5, v13, v72, v5
	;;#ASMEND
	ds_read_b128 v[10:13], v42 offset:32
	ds_read_b128 v[57:60], v44 offset:32
	ds_read_b128 v[61:64], v44 offset:176
	ds_read_b128 v[65:68], v44 offset:320
	ds_read_b128 v[69:72], v44 offset:464
	;; [unrolled: 57-line block ×8, first 2 shown]
	s_waitcnt lgkmcnt(3)
	;;#ASMSTART
	v_dot2_f32_f16 v3, v10, v57, v3
	;;#ASMEND
	;;#ASMSTART
	v_dot2_f32_f16 v3, v11, v58, v3
	;;#ASMEND
	;;#ASMSTART
	v_dot2_f32_f16 v3, v12, v59, v3
	;;#ASMEND
	;;#ASMSTART
	v_dot2_f32_f16 v3, v13, v60, v3
	;;#ASMEND
	s_waitcnt lgkmcnt(2)
	;;#ASMSTART
	v_dot2_f32_f16 v2, v10, v61, v2
	;;#ASMEND
	;;#ASMSTART
	v_dot2_f32_f16 v2, v11, v62, v2
	;;#ASMEND
	;;#ASMSTART
	v_dot2_f32_f16 v2, v12, v63, v2
	;;#ASMEND
	;;#ASMSTART
	v_dot2_f32_f16 v2, v13, v64, v2
	;;#ASMEND
	;; [unrolled: 13-line block ×4, first 2 shown]
	s_clause 0x1
	global_load_ushort v10, v[73:74], off
	global_load_ushort v11, v[75:76], off
	v_cndmask_b32_e64 v12, v32, v40, s1
	v_max_f32_e32 v13, v6, v6
	v_max_f32_e32 v57, v8, v8
	;; [unrolled: 1-line block ×3, first 2 shown]
	v_cmp_gt_i32_e64 s1, 32, v39
	s_waitcnt vmcnt(0)
	s_barrier
	buffer_gl0_inv
	v_cvt_f32_f16_e32 v10, v10
	v_cvt_f32_f16_e32 v11, v11
	v_add_f32_e32 v59, v3, v10
	v_add_f32_e32 v10, v2, v10
	;; [unrolled: 1-line block ×4, first 2 shown]
	v_max_f32_e32 v3, v7, v7
	v_add_f32_e32 v2, 0x40051340, v59
	v_lshlrev_b32_e32 v4, 2, v12
	v_add_f32_e32 v5, 0x40051340, v10
	v_add_f32_e32 v12, 0x40051340, v60
	;; [unrolled: 1-line block ×3, first 2 shown]
	v_max_f32_e32 v2, v13, v2
	v_max_f32_e32 v5, v57, v5
	;; [unrolled: 1-line block ×4, first 2 shown]
	ds_bpermute_b32 v13, v4, v2
	v_cndmask_b32_e64 v61, v32, v39, s1
	ds_bpermute_b32 v57, v4, v5
	ds_bpermute_b32 v58, v4, v12
	;; [unrolled: 1-line block ×3, first 2 shown]
	v_cmp_gt_i32_e64 s1, 32, v38
	v_lshlrev_b32_e32 v61, 2, v61
	s_waitcnt lgkmcnt(3)
	v_max_f32_e32 v13, v13, v13
	s_waitcnt lgkmcnt(2)
	v_max_f32_e32 v57, v57, v57
	s_waitcnt lgkmcnt(1)
	v_max_f32_e32 v58, v58, v58
	s_waitcnt lgkmcnt(0)
	v_max_f32_e32 v4, v4, v4
	v_max_f32_e32 v2, v2, v13
	v_max_f32_e32 v5, v5, v57
	v_max_f32_e32 v12, v12, v58
	v_max_f32_e32 v3, v3, v4
	ds_bpermute_b32 v4, v61, v2
	ds_bpermute_b32 v13, v61, v5
	ds_bpermute_b32 v57, v61, v12
	ds_bpermute_b32 v58, v61, v3
	v_cndmask_b32_e64 v61, v32, v38, s1
	v_cmp_gt_i32_e64 s1, 32, v37
	v_lshlrev_b32_e32 v61, 2, v61
	s_waitcnt lgkmcnt(3)
	v_max_f32_e32 v4, v4, v4
	s_waitcnt lgkmcnt(2)
	v_max_f32_e32 v13, v13, v13
	s_waitcnt lgkmcnt(1)
	v_max_f32_e32 v57, v57, v57
	s_waitcnt lgkmcnt(0)
	v_max_f32_e32 v58, v58, v58
	v_max_f32_e32 v2, v2, v4
	v_max_f32_e32 v4, v5, v13
	v_max_f32_e32 v5, v12, v57
	v_max_f32_e32 v3, v3, v58
	ds_bpermute_b32 v12, v61, v2
	ds_bpermute_b32 v13, v61, v4
	ds_bpermute_b32 v57, v61, v5
	ds_bpermute_b32 v58, v61, v3
	v_cndmask_b32_e64 v61, v32, v37, s1
	;; [unrolled: 19-line block ×3, first 2 shown]
	v_lshlrev_b32_e32 v61, 2, v61
	s_waitcnt lgkmcnt(3)
	v_max_f32_e32 v12, v12, v12
	s_waitcnt lgkmcnt(2)
	v_max_f32_e32 v13, v13, v13
	;; [unrolled: 2-line block ×4, first 2 shown]
	v_max_f32_e32 v2, v2, v12
	v_max_f32_e32 v4, v4, v13
	;; [unrolled: 1-line block ×4, first 2 shown]
	ds_bpermute_b32 v3, v61, v2
	ds_bpermute_b32 v13, v61, v4
	ds_bpermute_b32 v57, v61, v5
	ds_bpermute_b32 v58, v61, v12
	s_waitcnt lgkmcnt(3)
	v_max_f32_e32 v3, v3, v3
	s_waitcnt lgkmcnt(2)
	v_max_f32_e32 v13, v13, v13
	;; [unrolled: 2-line block ×4, first 2 shown]
	v_max_f32_e32 v2, v2, v3
	v_max_f32_e32 v3, v4, v13
	;; [unrolled: 1-line block ×4, first 2 shown]
	v_sub_f32_e32 v64, v6, v2
	v_sub_f32_e32 v6, v59, v2
	;; [unrolled: 1-line block ×6, first 2 shown]
	v_mul_f32_e32 v11, 0x3fb8aa3b, v6
	v_sub_f32_e32 v9, v60, v4
	v_sub_f32_e32 v63, v7, v5
	v_mul_f32_e32 v7, 0x3fb8aa3b, v8
	v_mul_f32_e32 v13, 0x3fb8aa3b, v10
	v_fma_f32 v57, 0x3fb8aa3b, v6, -v11
	v_rndne_f32_e32 v58, v11
	v_mul_f32_e32 v12, 0x3fb8aa3b, v9
	v_fma_f32 v59, 0x3fb8aa3b, v8, -v7
	v_rndne_f32_e32 v60, v7
	v_fmac_f32_e32 v57, 0x32a5705f, v6
	v_sub_f32_e32 v11, v11, v58
	v_fma_f32 v65, 0x3fb8aa3b, v9, -v12
	v_rndne_f32_e32 v66, v12
	v_fmac_f32_e32 v59, 0x32a5705f, v8
	v_sub_f32_e32 v7, v7, v60
	v_add_f32_e32 v11, v11, v57
	v_fma_f32 v67, 0x3fb8aa3b, v10, -v13
	v_rndne_f32_e32 v68, v13
	v_fmac_f32_e32 v65, 0x32a5705f, v9
	v_sub_f32_e32 v12, v12, v66
	v_add_f32_e32 v7, v7, v59
	v_exp_f32_e32 v11, v11
	v_fmac_f32_e32 v67, 0x32a5705f, v10
	v_sub_f32_e32 v13, v13, v68
	v_add_f32_e32 v12, v12, v65
	v_exp_f32_e32 v7, v7
	v_cvt_i32_f32_e32 v57, v58
	v_cvt_i32_f32_e32 v58, v60
	v_add_f32_e32 v13, v13, v67
	v_exp_f32_e32 v12, v12
	v_cmp_ngt_f32_e64 s7, 0xc2ce8ed0, v6
	v_ldexp_f32 v11, v11, v57
	v_cvt_i32_f32_e32 v59, v66
	v_exp_f32_e32 v13, v13
	v_cvt_i32_f32_e32 v60, v68
	v_ldexp_f32 v7, v7, v58
	v_cndmask_b32_e64 v11, 0, v11, s7
	v_cmp_ngt_f32_e64 s7, 0xc2ce8ed0, v8
	v_cmp_ngt_f32_e64 s1, 0xc2ce8ed0, v64
	v_ldexp_f32 v12, v12, v59
	v_cmp_nlt_f32_e64 s2, 0x42b17218, v64
	v_cmp_ngt_f32_e64 s3, 0xc2ce8ed0, v62
	v_cndmask_b32_e64 v7, 0, v7, s7
	v_cmp_ngt_f32_e64 s7, 0xc2ce8ed0, v9
	v_ldexp_f32 v13, v13, v60
	v_cmp_nlt_f32_e64 s6, 0x42b17218, v62
	v_cmp_nlt_f32_e64 s10, 0x42b17218, v61
	v_cmp_ngt_f32_e64 s8, 0xc2ce8ed0, v63
	v_cndmask_b32_e64 v12, 0, v12, s7
	v_cmp_ngt_f32_e64 s7, 0xc2ce8ed0, v10
	v_cmp_nlt_f32_e64 s9, 0x42b17218, v63
	v_cndmask_b32_e64 v13, 0, v13, s7
	v_cmp_nlt_f32_e64 s7, 0x42b17218, v6
	v_cndmask_b32_e64 v59, 0x7f800000, v11, s7
	v_cmp_nlt_f32_e64 s7, 0x42b17218, v9
	v_cvt_f16_f32_e32 v6, v59
	v_cndmask_b32_e64 v58, 0x7f800000, v12, s7
	v_cmp_nlt_f32_e64 s7, 0x42b17218, v10
	v_cndmask_b32_e64 v57, 0x7f800000, v13, s7
	v_cmp_nlt_f32_e64 s7, 0x42b17218, v8
	v_cvt_f16_f32_e32 v8, v57
	v_cndmask_b32_e64 v60, 0x7f800000, v7, s7
	v_cvt_f16_f32_e32 v7, v58
	v_cmp_ngt_f32_e64 s7, 0xc2ce8ed0, v61
	v_cvt_f16_f32_e32 v9, v60
	v_pack_b32_f16 v7, v7, v8
	v_pack_b32_f16 v6, v6, v9
	ds_write_b64 v51, v[6:7]
	s_and_saveexec_b32 s35, vcc_lo
	s_cbranch_execz .LBB37_19
; %bb.18:                               ;   in Loop: Header=BB37_15 Depth=1
	v_add_co_u32 v6, s11, s30, v19
	v_add_co_ci_u32_e64 v7, null, s31, v20, s11
	global_load_dwordx4 v[6:9], v[6:7], off offset:128
	s_waitcnt vmcnt(0)
	ds_write_b128 v48, v[6:9]
.LBB37_19:                              ;   in Loop: Header=BB37_15 Depth=1
	s_or_b32 exec_lo, exec_lo, s35
	v_add_co_u32 v6, s11, s30, v21
	v_add_co_ci_u32_e64 v7, null, s31, v22, s11
	v_add_co_u32 v6, s11, v6, v50
	v_add_co_ci_u32_e64 v7, null, 0, v7, s11
	global_load_dwordx4 v[6:9], v[6:7], off
	s_waitcnt vmcnt(0)
	ds_write_b128 v49, v[6:9]
	s_waitcnt lgkmcnt(0)
	s_barrier
	buffer_gl0_inv
	ds_read_b128 v[6:9], v47
	ds_read_b128 v[10:13], v47 offset:16
	ds_read_b128 v[65:68], v47 offset:32
	;; [unrolled: 1-line block ×13, first 2 shown]
	s_waitcnt lgkmcnt(13)
	v_mul_u32_u24_sdwa v113, v6, v52 dst_sel:DWORD dst_unused:UNUSED_PAD src0_sel:WORD_0 src1_sel:DWORD
	v_mul_u32_u24_sdwa v114, v6, v52 dst_sel:DWORD dst_unused:UNUSED_PAD src0_sel:WORD_1 src1_sel:DWORD
	v_mul_u32_u24_sdwa v115, v7, v52 dst_sel:DWORD dst_unused:UNUSED_PAD src0_sel:WORD_0 src1_sel:DWORD
	v_mul_u32_u24_sdwa v116, v7, v52 dst_sel:DWORD dst_unused:UNUSED_PAD src0_sel:WORD_1 src1_sel:DWORD
	v_mul_u32_u24_sdwa v117, v8, v52 dst_sel:DWORD dst_unused:UNUSED_PAD src0_sel:WORD_0 src1_sel:DWORD
	v_mul_u32_u24_sdwa v118, v8, v52 dst_sel:DWORD dst_unused:UNUSED_PAD src0_sel:WORD_1 src1_sel:DWORD
	v_mul_u32_u24_sdwa v119, v9, v52 dst_sel:DWORD dst_unused:UNUSED_PAD src0_sel:WORD_0 src1_sel:DWORD
	v_mul_u32_u24_sdwa v120, v9, v52 dst_sel:DWORD dst_unused:UNUSED_PAD src0_sel:WORD_1 src1_sel:DWORD
	s_waitcnt lgkmcnt(12)
	v_mul_u32_u24_sdwa v121, v10, v52 dst_sel:DWORD dst_unused:UNUSED_PAD src0_sel:WORD_0 src1_sel:DWORD
	v_mul_u32_u24_sdwa v122, v10, v52 dst_sel:DWORD dst_unused:UNUSED_PAD src0_sel:WORD_1 src1_sel:DWORD
	v_mul_u32_u24_sdwa v123, v11, v52 dst_sel:DWORD dst_unused:UNUSED_PAD src0_sel:WORD_0 src1_sel:DWORD
	v_mul_u32_u24_sdwa v124, v11, v52 dst_sel:DWORD dst_unused:UNUSED_PAD src0_sel:WORD_1 src1_sel:DWORD
	;; [unrolled: 2-line block ×4, first 2 shown]
	ds_read_b128 v[6:9], v47 offset:224
	ds_read_b128 v[10:13], v47 offset:240
	s_waitcnt lgkmcnt(12)
	v_mul_u32_u24_sdwa v135, v71, v52 dst_sel:DWORD dst_unused:UNUSED_PAD src0_sel:WORD_0 src1_sel:DWORD
	v_mul_u32_u24_sdwa v136, v71, v52 dst_sel:DWORD dst_unused:UNUSED_PAD src0_sel:WORD_1 src1_sel:DWORD
	v_mul_u32_u24_sdwa v137, v72, v52 dst_sel:DWORD dst_unused:UNUSED_PAD src0_sel:WORD_0 src1_sel:DWORD
	v_mul_u32_u24_sdwa v71, v72, v52 dst_sel:DWORD dst_unused:UNUSED_PAD src0_sel:WORD_1 src1_sel:DWORD
	;; [unrolled: 2-line block ×8, first 2 shown]
	s_waitcnt lgkmcnt(11)
	v_mul_u32_u24_sdwa v138, v73, v52 dst_sel:DWORD dst_unused:UNUSED_PAD src0_sel:WORD_0 src1_sel:DWORD
	v_mul_u32_u24_sdwa v139, v73, v52 dst_sel:DWORD dst_unused:UNUSED_PAD src0_sel:WORD_1 src1_sel:DWORD
	s_waitcnt lgkmcnt(1)
	v_mul_u32_u24_sdwa v197, v8, v52 dst_sel:DWORD dst_unused:UNUSED_PAD src0_sel:WORD_0 src1_sel:DWORD
	v_mul_u32_u24_sdwa v198, v8, v52 dst_sel:DWORD dst_unused:UNUSED_PAD src0_sel:WORD_1 src1_sel:DWORD
	v_mul_f32_e32 v8, 0x3fb8aa3b, v62
	v_mul_u32_u24_sdwa v193, v6, v52 dst_sel:DWORD dst_unused:UNUSED_PAD src0_sel:WORD_0 src1_sel:DWORD
	v_mul_u32_u24_sdwa v194, v6, v52 dst_sel:DWORD dst_unused:UNUSED_PAD src0_sel:WORD_1 src1_sel:DWORD
	v_mul_u32_u24_sdwa v199, v9, v52 dst_sel:DWORD dst_unused:UNUSED_PAD src0_sel:WORD_0 src1_sel:DWORD
	v_mul_u32_u24_sdwa v200, v9, v52 dst_sel:DWORD dst_unused:UNUSED_PAD src0_sel:WORD_1 src1_sel:DWORD
	v_mul_f32_e32 v6, 0x3fb8aa3b, v64
	v_fma_f32 v9, 0x3fb8aa3b, v62, -v8
	v_mul_u32_u24_sdwa v195, v7, v52 dst_sel:DWORD dst_unused:UNUSED_PAD src0_sel:WORD_0 src1_sel:DWORD
	v_mul_u32_u24_sdwa v196, v7, v52 dst_sel:DWORD dst_unused:UNUSED_PAD src0_sel:WORD_1 src1_sel:DWORD
	v_mul_u32_u24_sdwa v140, v74, v52 dst_sel:DWORD dst_unused:UNUSED_PAD src0_sel:WORD_0 src1_sel:DWORD
	v_fma_f32 v7, 0x3fb8aa3b, v64, -v6
	v_fmac_f32_e32 v9, 0x32a5705f, v62
	v_mul_f32_e32 v62, 0x3fb8aa3b, v61
	v_mul_u32_u24_sdwa v73, v74, v52 dst_sel:DWORD dst_unused:UNUSED_PAD src0_sel:WORD_1 src1_sel:DWORD
	v_mul_u32_u24_sdwa v141, v75, v52 dst_sel:DWORD dst_unused:UNUSED_PAD src0_sel:WORD_0 src1_sel:DWORD
	v_fmac_f32_e32 v7, 0x32a5705f, v64
	v_mul_u32_u24_sdwa v142, v75, v52 dst_sel:DWORD dst_unused:UNUSED_PAD src0_sel:WORD_1 src1_sel:DWORD
	v_fma_f32 v64, 0x3fb8aa3b, v61, -v62
	v_mul_u32_u24_sdwa v143, v76, v52 dst_sel:DWORD dst_unused:UNUSED_PAD src0_sel:WORD_0 src1_sel:DWORD
	v_mul_u32_u24_sdwa v144, v76, v52 dst_sel:DWORD dst_unused:UNUSED_PAD src0_sel:WORD_1 src1_sel:DWORD
	v_mul_u32_u24_sdwa v145, v77, v52 dst_sel:DWORD dst_unused:UNUSED_PAD src0_sel:WORD_0 src1_sel:DWORD
	v_mul_u32_u24_sdwa v146, v77, v52 dst_sel:DWORD dst_unused:UNUSED_PAD src0_sel:WORD_1 src1_sel:DWORD
	v_fmac_f32_e32 v64, 0x32a5705f, v61
	v_mul_f32_e32 v61, 0x3fb8aa3b, v63
	v_mul_u32_u24_sdwa v147, v78, v52 dst_sel:DWORD dst_unused:UNUSED_PAD src0_sel:WORD_0 src1_sel:DWORD
	v_mul_u32_u24_sdwa v148, v78, v52 dst_sel:DWORD dst_unused:UNUSED_PAD src0_sel:WORD_1 src1_sel:DWORD
	v_mul_u32_u24_sdwa v149, v79, v52 dst_sel:DWORD dst_unused:UNUSED_PAD src0_sel:WORD_0 src1_sel:DWORD
	v_mul_u32_u24_sdwa v150, v79, v52 dst_sel:DWORD dst_unused:UNUSED_PAD src0_sel:WORD_1 src1_sel:DWORD
	v_fma_f32 v72, 0x3fb8aa3b, v63, -v61
	v_mul_u32_u24_sdwa v151, v80, v52 dst_sel:DWORD dst_unused:UNUSED_PAD src0_sel:WORD_0 src1_sel:DWORD
	v_mul_u32_u24_sdwa v152, v80, v52 dst_sel:DWORD dst_unused:UNUSED_PAD src0_sel:WORD_1 src1_sel:DWORD
	v_mul_u32_u24_sdwa v155, v82, v52 dst_sel:DWORD dst_unused:UNUSED_PAD src0_sel:WORD_0 src1_sel:DWORD
	v_mul_u32_u24_sdwa v156, v82, v52 dst_sel:DWORD dst_unused:UNUSED_PAD src0_sel:WORD_1 src1_sel:DWORD
	v_fmac_f32_e32 v72, 0x32a5705f, v63
	v_rndne_f32_e32 v63, v6
	v_mul_u32_u24_sdwa v157, v83, v52 dst_sel:DWORD dst_unused:UNUSED_PAD src0_sel:WORD_0 src1_sel:DWORD
	v_mul_u32_u24_sdwa v158, v83, v52 dst_sel:DWORD dst_unused:UNUSED_PAD src0_sel:WORD_1 src1_sel:DWORD
	v_mul_u32_u24_sdwa v163, v86, v52 dst_sel:DWORD dst_unused:UNUSED_PAD src0_sel:WORD_0 src1_sel:DWORD
	v_mul_u32_u24_sdwa v164, v86, v52 dst_sel:DWORD dst_unused:UNUSED_PAD src0_sel:WORD_1 src1_sel:DWORD
	v_sub_f32_e32 v6, v6, v63
	v_cvt_i32_f32_e32 v63, v63
	v_mul_u32_u24_sdwa v165, v87, v52 dst_sel:DWORD dst_unused:UNUSED_PAD src0_sel:WORD_0 src1_sel:DWORD
	v_mul_u32_u24_sdwa v166, v87, v52 dst_sel:DWORD dst_unused:UNUSED_PAD src0_sel:WORD_1 src1_sel:DWORD
	v_mul_u32_u24_sdwa v167, v88, v52 dst_sel:DWORD dst_unused:UNUSED_PAD src0_sel:WORD_0 src1_sel:DWORD
	v_add_f32_e32 v6, v6, v7
	v_rndne_f32_e32 v7, v8
	v_mul_u32_u24_sdwa v168, v88, v52 dst_sel:DWORD dst_unused:UNUSED_PAD src0_sel:WORD_1 src1_sel:DWORD
	v_mul_u32_u24_sdwa v153, v81, v52 dst_sel:DWORD dst_unused:UNUSED_PAD src0_sel:WORD_0 src1_sel:DWORD
	v_mul_u32_u24_sdwa v154, v81, v52 dst_sel:DWORD dst_unused:UNUSED_PAD src0_sel:WORD_1 src1_sel:DWORD
	v_exp_f32_e32 v6, v6
	v_sub_f32_e32 v8, v8, v7
	v_cvt_i32_f32_e32 v7, v7
	v_add_nc_u32_e32 v81, 0x800, v27
	v_mul_u32_u24_sdwa v159, v84, v52 dst_sel:DWORD dst_unused:UNUSED_PAD src0_sel:WORD_0 src1_sel:DWORD
	v_mul_u32_u24_sdwa v160, v84, v52 dst_sel:DWORD dst_unused:UNUSED_PAD src0_sel:WORD_1 src1_sel:DWORD
	v_add_f32_e32 v8, v8, v9
	v_rndne_f32_e32 v9, v62
	v_mul_u32_u24_sdwa v161, v85, v52 dst_sel:DWORD dst_unused:UNUSED_PAD src0_sel:WORD_0 src1_sel:DWORD
	v_mul_u32_u24_sdwa v162, v85, v52 dst_sel:DWORD dst_unused:UNUSED_PAD src0_sel:WORD_1 src1_sel:DWORD
	v_ldexp_f32 v6, v6, v63
	v_exp_f32_e32 v8, v8
	v_sub_f32_e32 v62, v62, v9
	v_cvt_i32_f32_e32 v9, v9
	v_mul_u32_u24_sdwa v169, v89, v52 dst_sel:DWORD dst_unused:UNUSED_PAD src0_sel:WORD_0 src1_sel:DWORD
	v_cndmask_b32_e64 v6, 0, v6, s1
	v_mul_u32_u24_sdwa v89, v89, v52 dst_sel:DWORD dst_unused:UNUSED_PAD src0_sel:WORD_1 src1_sel:DWORD
	v_add_f32_e32 v62, v62, v64
	v_rndne_f32_e32 v64, v61
	v_mul_u32_u24_sdwa v170, v90, v52 dst_sel:DWORD dst_unused:UNUSED_PAD src0_sel:WORD_0 src1_sel:DWORD
	v_cndmask_b32_e64 v6, 0x7f800000, v6, s2
	v_ldexp_f32 v7, v8, v7
	v_exp_f32_e32 v8, v62
	v_sub_f32_e32 v61, v61, v64
	v_mul_u32_u24_sdwa v90, v90, v52 dst_sel:DWORD dst_unused:UNUSED_PAD src0_sel:WORD_1 src1_sel:DWORD
	v_fmac_f32_e32 v59, v56, v6
	v_cndmask_b32_e64 v7, 0, v7, s3
	v_cvt_f16_f32_e32 v6, v6
	v_add_f32_e32 v61, v61, v72
	v_mul_u32_u24_sdwa v171, v91, v52 dst_sel:DWORD dst_unused:UNUSED_PAD src0_sel:WORD_0 src1_sel:DWORD
	v_mul_u32_u24_sdwa v91, v91, v52 dst_sel:DWORD dst_unused:UNUSED_PAD src0_sel:WORD_1 src1_sel:DWORD
	v_cndmask_b32_e64 v56, 0x7f800000, v7, s6
	v_ldexp_f32 v8, v8, v9
	v_exp_f32_e32 v9, v61
	v_cvt_i32_f32_e32 v61, v64
	v_mul_u32_u24_sdwa v172, v92, v52 dst_sel:DWORD dst_unused:UNUSED_PAD src0_sel:WORD_0 src1_sel:DWORD
	v_fmac_f32_e32 v60, v55, v56
	v_cndmask_b32_e64 v7, 0, v8, s7
	v_mul_u32_u24_sdwa v92, v92, v52 dst_sel:DWORD dst_unused:UNUSED_PAD src0_sel:WORD_1 src1_sel:DWORD
	v_mul_u32_u24_sdwa v173, v93, v52 dst_sel:DWORD dst_unused:UNUSED_PAD src0_sel:WORD_0 src1_sel:DWORD
	v_mul_u32_u24_sdwa v93, v93, v52 dst_sel:DWORD dst_unused:UNUSED_PAD src0_sel:WORD_1 src1_sel:DWORD
	v_mul_u32_u24_sdwa v174, v94, v52 dst_sel:DWORD dst_unused:UNUSED_PAD src0_sel:WORD_0 src1_sel:DWORD
	v_cndmask_b32_e64 v55, 0x7f800000, v7, s10
	v_ldexp_f32 v9, v9, v61
	v_mul_u32_u24_sdwa v94, v94, v52 dst_sel:DWORD dst_unused:UNUSED_PAD src0_sel:WORD_1 src1_sel:DWORD
	v_mul_u32_u24_sdwa v175, v95, v52 dst_sel:DWORD dst_unused:UNUSED_PAD src0_sel:WORD_0 src1_sel:DWORD
	v_mul_u32_u24_sdwa v95, v95, v52 dst_sel:DWORD dst_unused:UNUSED_PAD src0_sel:WORD_1 src1_sel:DWORD
	v_fmac_f32_e32 v58, v54, v55
	v_cndmask_b32_e64 v7, 0, v9, s8
	v_mul_u32_u24_sdwa v176, v96, v52 dst_sel:DWORD dst_unused:UNUSED_PAD src0_sel:WORD_0 src1_sel:DWORD
	v_mul_u32_u24_sdwa v96, v96, v52 dst_sel:DWORD dst_unused:UNUSED_PAD src0_sel:WORD_1 src1_sel:DWORD
	v_mul_u32_u24_sdwa v177, v97, v52 dst_sel:DWORD dst_unused:UNUSED_PAD src0_sel:WORD_0 src1_sel:DWORD
	v_mul_u32_u24_sdwa v97, v97, v52 dst_sel:DWORD dst_unused:UNUSED_PAD src0_sel:WORD_1 src1_sel:DWORD
	v_cndmask_b32_e64 v54, 0x7f800000, v7, s9
	v_mul_u32_u24_sdwa v178, v98, v52 dst_sel:DWORD dst_unused:UNUSED_PAD src0_sel:WORD_0 src1_sel:DWORD
	v_mul_u32_u24_sdwa v98, v98, v52 dst_sel:DWORD dst_unused:UNUSED_PAD src0_sel:WORD_1 src1_sel:DWORD
	v_mul_u32_u24_sdwa v179, v99, v52 dst_sel:DWORD dst_unused:UNUSED_PAD src0_sel:WORD_0 src1_sel:DWORD
	v_mul_u32_u24_sdwa v99, v99, v52 dst_sel:DWORD dst_unused:UNUSED_PAD src0_sel:WORD_1 src1_sel:DWORD
	v_fmac_f32_e32 v57, v53, v54
	v_mul_u32_u24_sdwa v53, v6, v52 dst_sel:DWORD dst_unused:UNUSED_PAD src0_sel:WORD_0 src1_sel:DWORD
	ds_read2_b64 v[6:9], v27 offset1:18
	v_mul_u32_u24_sdwa v180, v100, v52 dst_sel:DWORD dst_unused:UNUSED_PAD src0_sel:WORD_0 src1_sel:DWORD
	v_mul_u32_u24_sdwa v100, v100, v52 dst_sel:DWORD dst_unused:UNUSED_PAD src0_sel:WORD_1 src1_sel:DWORD
	v_mul_u32_u24_sdwa v181, v101, v52 dst_sel:DWORD dst_unused:UNUSED_PAD src0_sel:WORD_0 src1_sel:DWORD
	v_pk_mul_f16 v34, v34, v53
	v_mul_u32_u24_sdwa v101, v101, v52 dst_sel:DWORD dst_unused:UNUSED_PAD src0_sel:WORD_1 src1_sel:DWORD
	v_mul_u32_u24_sdwa v182, v102, v52 dst_sel:DWORD dst_unused:UNUSED_PAD src0_sel:WORD_0 src1_sel:DWORD
	v_mul_u32_u24_sdwa v102, v102, v52 dst_sel:DWORD dst_unused:UNUSED_PAD src0_sel:WORD_1 src1_sel:DWORD
	v_mul_u32_u24_sdwa v183, v103, v52 dst_sel:DWORD dst_unused:UNUSED_PAD src0_sel:WORD_0 src1_sel:DWORD
	v_mul_u32_u24_sdwa v103, v103, v52 dst_sel:DWORD dst_unused:UNUSED_PAD src0_sel:WORD_1 src1_sel:DWORD
	v_mul_u32_u24_sdwa v184, v104, v52 dst_sel:DWORD dst_unused:UNUSED_PAD src0_sel:WORD_0 src1_sel:DWORD
	v_mul_u32_u24_sdwa v104, v104, v52 dst_sel:DWORD dst_unused:UNUSED_PAD src0_sel:WORD_1 src1_sel:DWORD
	v_mul_u32_u24_sdwa v185, v105, v52 dst_sel:DWORD dst_unused:UNUSED_PAD src0_sel:WORD_0 src1_sel:DWORD
	v_mul_u32_u24_sdwa v105, v105, v52 dst_sel:DWORD dst_unused:UNUSED_PAD src0_sel:WORD_1 src1_sel:DWORD
	v_mul_u32_u24_sdwa v186, v106, v52 dst_sel:DWORD dst_unused:UNUSED_PAD src0_sel:WORD_0 src1_sel:DWORD
	v_mul_u32_u24_sdwa v106, v106, v52 dst_sel:DWORD dst_unused:UNUSED_PAD src0_sel:WORD_1 src1_sel:DWORD
	v_add_nc_u32_e32 v85, 0xc00, v27
	v_mul_u32_u24_sdwa v187, v107, v52 dst_sel:DWORD dst_unused:UNUSED_PAD src0_sel:WORD_0 src1_sel:DWORD
	v_mul_u32_u24_sdwa v107, v107, v52 dst_sel:DWORD dst_unused:UNUSED_PAD src0_sel:WORD_1 src1_sel:DWORD
	v_mul_u32_u24_sdwa v188, v108, v52 dst_sel:DWORD dst_unused:UNUSED_PAD src0_sel:WORD_0 src1_sel:DWORD
	s_waitcnt lgkmcnt(0)
	v_pk_mul_f16 v61, v6, v113
	v_mul_u32_u24_sdwa v108, v108, v52 dst_sel:DWORD dst_unused:UNUSED_PAD src0_sel:WORD_1 src1_sel:DWORD
	v_mul_u32_u24_sdwa v189, v109, v52 dst_sel:DWORD dst_unused:UNUSED_PAD src0_sel:WORD_0 src1_sel:DWORD
	v_mul_u32_u24_sdwa v109, v109, v52 dst_sel:DWORD dst_unused:UNUSED_PAD src0_sel:WORD_1 src1_sel:DWORD
	v_mul_u32_u24_sdwa v190, v110, v52 dst_sel:DWORD dst_unused:UNUSED_PAD src0_sel:WORD_0 src1_sel:DWORD
	v_pk_fma_f16 v33, v33, v53, v61
	v_cvt_f16_f32_e32 v53, v54
	v_pk_mul_f16 v54, v6, v114
	v_mul_u32_u24_sdwa v110, v110, v52 dst_sel:DWORD dst_unused:UNUSED_PAD src0_sel:WORD_1 src1_sel:DWORD
	v_mul_u32_u24_sdwa v191, v111, v52 dst_sel:DWORD dst_unused:UNUSED_PAD src0_sel:WORD_0 src1_sel:DWORD
	v_pk_fma_f16 v33, v8, v117, v33
	v_mul_u32_u24_sdwa v53, v53, v52 dst_sel:DWORD dst_unused:UNUSED_PAD src0_sel:WORD_0 src1_sel:DWORD
	v_mul_u32_u24_sdwa v111, v111, v52 dst_sel:DWORD dst_unused:UNUSED_PAD src0_sel:WORD_1 src1_sel:DWORD
	v_mul_u32_u24_sdwa v192, v112, v52 dst_sel:DWORD dst_unused:UNUSED_PAD src0_sel:WORD_0 src1_sel:DWORD
	v_mul_u32_u24_sdwa v112, v112, v52 dst_sel:DWORD dst_unused:UNUSED_PAD src0_sel:WORD_1 src1_sel:DWORD
	v_pk_mul_f16 v26, v26, v53
	v_pk_mul_f16 v25, v25, v53
	v_cvt_f16_f32_e32 v53, v56
	v_pk_fma_f16 v25, v7, v116, v25
	v_mul_u32_u24_sdwa v53, v53, v52 dst_sel:DWORD dst_unused:UNUSED_PAD src0_sel:WORD_0 src1_sel:DWORD
	v_pk_fma_f16 v25, v9, v120, v25
	v_pk_fma_f16 v30, v30, v53, v54
	v_pk_mul_f16 v31, v31, v53
	v_cvt_f16_f32_e32 v53, v55
	v_pk_mul_f16 v54, v6, v115
	v_pk_fma_f16 v6, v6, v116, v26
	v_pk_fma_f16 v26, v7, v113, v34
	;; [unrolled: 1-line block ×3, first 2 shown]
	v_mul_u32_u24_sdwa v53, v53, v52 dst_sel:DWORD dst_unused:UNUSED_PAD src0_sel:WORD_0 src1_sel:DWORD
	v_pk_fma_f16 v30, v8, v118, v30
	v_add_nc_u32_e32 v113, 0x1000, v27
	v_pk_fma_f16 v26, v9, v117, v26
	v_pk_fma_f16 v31, v9, v118, v31
	v_pk_mul_f16 v29, v29, v53
	v_pk_fma_f16 v28, v28, v53, v54
	v_mul_u32_u24_sdwa v116, v10, v52 dst_sel:DWORD dst_unused:UNUSED_PAD src0_sel:WORD_0 src1_sel:DWORD
	v_mul_u32_u24_sdwa v117, v10, v52 dst_sel:DWORD dst_unused:UNUSED_PAD src0_sel:WORD_1 src1_sel:DWORD
	v_mul_u32_u24_sdwa v118, v11, v52 dst_sel:DWORD dst_unused:UNUSED_PAD src0_sel:WORD_0 src1_sel:DWORD
	v_pk_fma_f16 v7, v7, v115, v29
	v_pk_fma_f16 v29, v8, v120, v6
	;; [unrolled: 1-line block ×3, first 2 shown]
	v_mul_u32_u24_sdwa v120, v13, v52 dst_sel:DWORD dst_unused:UNUSED_PAD src0_sel:WORD_0 src1_sel:DWORD
	v_pk_fma_f16 v34, v9, v119, v7
	ds_read2_b64 v[6:9], v27 offset0:36 offset1:54
	v_mul_u32_u24_sdwa v119, v12, v52 dst_sel:DWORD dst_unused:UNUSED_PAD src0_sel:WORD_1 src1_sel:DWORD
	s_waitcnt lgkmcnt(0)
	v_pk_fma_f16 v54, v6, v124, v29
	v_pk_fma_f16 v55, v7, v122, v31
	;; [unrolled: 1-line block ×3, first 2 shown]
	ds_read2_b64 v[28:31], v27 offset0:72 offset1:90
	v_pk_fma_f16 v25, v7, v124, v25
	v_pk_fma_f16 v26, v7, v121, v26
	;; [unrolled: 1-line block ×13, first 2 shown]
	ds_read2_b64 v[6:9], v27 offset0:108 offset1:126
	v_add_nc_u32_e32 v34, 0x400, v27
	v_mul_u32_u24_sdwa v121, v13, v52 dst_sel:DWORD dst_unused:UNUSED_PAD src0_sel:WORD_1 src1_sel:DWORD
	s_waitcnt lgkmcnt(1)
	v_pk_fma_f16 v63, v28, v66, v53
	v_pk_fma_f16 v25, v29, v66, v25
	;; [unrolled: 1-line block ×6, first 2 shown]
	ds_read2_b64 v[53:56], v27 offset0:144 offset1:162
	v_pk_fma_f16 v29, v29, v130, v61
	v_pk_fma_f16 v28, v28, v130, v62
	;; [unrolled: 1-line block ×10, first 2 shown]
	ds_read2_b64 v[61:64], v27 offset0:180 offset1:198
	s_waitcnt lgkmcnt(2)
	v_pk_fma_f16 v77, v6, v70, v66
	v_pk_fma_f16 v25, v7, v70, v25
	;; [unrolled: 1-line block ×4, first 2 shown]
	ds_read2_b64 v[65:68], v34 offset0:124 offset1:142
	v_pk_fma_f16 v34, v7, v69, v72
	v_pk_fma_f16 v7, v7, v134, v75
	;; [unrolled: 1-line block ×12, first 2 shown]
	ds_read2_b64 v[28:31], v27 offset0:216 offset1:234
	s_waitcnt lgkmcnt(3)
	v_pk_fma_f16 v80, v53, v73, v75
	v_pk_fma_f16 v25, v54, v73, v25
	;; [unrolled: 1-line block ×16, first 2 shown]
	s_waitcnt lgkmcnt(2)
	v_pk_fma_f16 v114, v61, v148, v83
	v_pk_fma_f16 v25, v62, v148, v25
	;; [unrolled: 1-line block ×16, first 2 shown]
	ds_read2_b64 v[69:72], v81 offset0:32 offset1:50
	v_mul_u32_u24_sdwa v63, v11, v52 dst_sel:DWORD dst_unused:UNUSED_PAD src0_sel:WORD_1 src1_sel:DWORD
	v_mul_u32_u24_sdwa v64, v12, v52 dst_sel:DWORD dst_unused:UNUSED_PAD src0_sel:WORD_0 src1_sel:DWORD
	ds_read2_b64 v[10:13], v113 offset0:28 offset1:46
	s_waitcnt lgkmcnt(2)
	v_pk_fma_f16 v113, v28, v156, v114
	v_pk_fma_f16 v25, v29, v156, v25
	;; [unrolled: 1-line block ×16, first 2 shown]
	ds_read2_b64 v[6:9], v81 offset0:68 offset1:86
	v_pk_fma_f16 v30, v65, v164, v61
	v_pk_fma_f16 v25, v66, v164, v25
	v_pk_fma_f16 v26, v66, v161, v26
	v_pk_fma_f16 v34, v66, v162, v34
	v_pk_fma_f16 v29, v66, v163, v29
	v_pk_fma_f16 v31, v65, v161, v31
	v_pk_fma_f16 v33, v65, v162, v33
	v_pk_fma_f16 v28, v65, v163, v28
	v_pk_fma_f16 v30, v67, v168, v30
	v_pk_fma_f16 v25, v68, v168, v25
	v_pk_fma_f16 v26, v68, v165, v26
	v_pk_fma_f16 v34, v68, v166, v34
	v_pk_fma_f16 v29, v68, v167, v29
	v_pk_fma_f16 v31, v67, v165, v31
	v_pk_fma_f16 v33, v67, v166, v33
	v_pk_fma_f16 v28, v67, v167, v28
	ds_read2_b64 v[73:76], v81 offset0:104 offset1:122
	s_waitcnt lgkmcnt(3)
	v_pk_fma_f16 v30, v69, v90, v30
	v_pk_fma_f16 v25, v70, v90, v25
	v_pk_fma_f16 v26, v70, v169, v26
	v_pk_fma_f16 v34, v70, v89, v34
	v_pk_fma_f16 v29, v70, v170, v29
	v_pk_fma_f16 v31, v69, v169, v31
	v_pk_fma_f16 v33, v69, v89, v33
	v_pk_fma_f16 v28, v69, v170, v28
	v_pk_fma_f16 v30, v71, v92, v30
	v_pk_fma_f16 v25, v72, v92, v25
	v_pk_fma_f16 v26, v72, v171, v26
	v_pk_fma_f16 v34, v72, v91, v34
	v_pk_fma_f16 v29, v72, v172, v29
	v_pk_fma_f16 v31, v71, v171, v31
	v_pk_fma_f16 v33, v71, v91, v33
	v_pk_fma_f16 v28, v71, v172, v28
	ds_read2_b64 v[77:80], v81 offset0:140 offset1:158
	s_waitcnt lgkmcnt(2)
	;; [unrolled: 18-line block ×5, first 2 shown]
	v_pk_fma_f16 v8, v53, v106, v8
	v_pk_fma_f16 v26, v54, v185, v26
	;; [unrolled: 1-line block ×16, first 2 shown]
	s_waitcnt lgkmcnt(1)
	v_pk_fma_f16 v8, v81, v110, v8
	v_pk_fma_f16 v26, v82, v189, v26
	;; [unrolled: 1-line block ×8, first 2 shown]
	s_waitcnt lgkmcnt(0)
	s_barrier
	buffer_gl0_inv
	s_load_dword s1, s[12:13], 0x4
	v_pk_fma_f16 v8, v83, v112, v8
	v_pk_fma_f16 v26, v84, v191, v26
	;; [unrolled: 1-line block ×32, first 2 shown]
	s_waitcnt lgkmcnt(0)
	s_lshl_b32 s1, s1, 5
	v_pk_fma_f16 v26, v12, v121, v8
	v_pk_fma_f16 v34, v13, v64, v30
	v_pk_fma_f16 v31, v13, v119, v28
	v_pk_fma_f16 v29, v13, v120, v7
	v_pk_fma_f16 v25, v13, v121, v11
	v_pk_fma_f16 v33, v12, v64, v9
	v_pk_fma_f16 v30, v12, v119, v53
	v_pk_fma_f16 v28, v12, v120, v6
	s_add_i32 s15, s1, s15
	s_cmp_ge_i32 s15, s38
	s_cbranch_scc1 .LBB37_21
; %bb.20:                               ;   in Loop: Header=BB37_15 Depth=1
	v_mov_b32_e32 v6, v2
	v_mov_b32_e32 v8, v3
	v_mov_b32_e32 v9, v4
	v_mov_b32_e32 v7, v5
	v_mov_b32_e32 v56, v59
	v_mov_b32_e32 v55, v60
	v_mov_b32_e32 v54, v58
	v_mov_b32_e32 v53, v57
	s_branch .LBB37_15
.LBB37_21:
	v_mov_b32_e32 v6, v32
.LBB37_22:
	v_cmp_lt_i32_e32 vcc_lo, v40, v35
	s_cmp_lg_u64 s[16:17], 0
	s_cselect_b32 s1, -1, 0
	s_cmp_eq_u32 s34, 0
	v_cndmask_b32_e32 v7, v6, v40, vcc_lo
	v_cmp_lt_i32_e32 vcc_lo, v39, v35
	s_cselect_b32 s2, -1, 0
	s_and_b32 s1, s2, s1
	v_lshlrev_b32_e32 v7, 2, v7
	v_cndmask_b32_e32 v11, v6, v39, vcc_lo
	v_cmp_lt_i32_e32 vcc_lo, v38, v35
	ds_bpermute_b32 v8, v7, v59
	ds_bpermute_b32 v9, v7, v60
	;; [unrolled: 1-line block ×4, first 2 shown]
	v_lshlrev_b32_e32 v11, 2, v11
	v_cndmask_b32_e32 v16, v6, v38, vcc_lo
	v_cmp_lt_i32_e32 vcc_lo, v37, v35
	v_lshlrev_b32_e32 v16, 2, v16
	s_waitcnt lgkmcnt(3)
	v_add_f32_e32 v8, v59, v8
	s_waitcnt lgkmcnt(2)
	v_add_f32_e32 v9, v60, v9
	;; [unrolled: 2-line block ×4, first 2 shown]
	ds_bpermute_b32 v12, v11, v8
	ds_bpermute_b32 v13, v11, v9
	;; [unrolled: 1-line block ×4, first 2 shown]
	s_waitcnt lgkmcnt(3)
	v_add_f32_e32 v8, v8, v12
	s_waitcnt lgkmcnt(2)
	v_add_f32_e32 v9, v9, v13
	;; [unrolled: 2-line block ×4, first 2 shown]
	ds_bpermute_b32 v11, v16, v8
	ds_bpermute_b32 v12, v16, v9
	;; [unrolled: 1-line block ×4, first 2 shown]
	v_cndmask_b32_e32 v16, v6, v37, vcc_lo
	v_cmp_lt_i32_e32 vcc_lo, v36, v35
	v_lshlrev_b32_e32 v16, 2, v16
	v_cndmask_b32_e32 v6, v6, v36, vcc_lo
	s_and_b32 vcc_lo, exec_lo, s1
	v_lshlrev_b32_e32 v6, 2, v6
	s_waitcnt lgkmcnt(3)
	v_add_f32_e32 v8, v8, v11
	s_waitcnt lgkmcnt(2)
	v_add_f32_e32 v9, v9, v12
	;; [unrolled: 2-line block ×4, first 2 shown]
	ds_bpermute_b32 v11, v16, v8
	ds_bpermute_b32 v12, v16, v9
	;; [unrolled: 1-line block ×4, first 2 shown]
	s_waitcnt lgkmcnt(3)
	v_add_f32_e32 v8, v8, v11
	s_waitcnt lgkmcnt(2)
	v_add_f32_e32 v9, v9, v12
	;; [unrolled: 2-line block ×4, first 2 shown]
	ds_bpermute_b32 v7, v6, v8
	ds_bpermute_b32 v12, v6, v9
	;; [unrolled: 1-line block ×4, first 2 shown]
	s_waitcnt lgkmcnt(3)
	v_add_f32_e32 v6, v8, v7
	s_waitcnt lgkmcnt(2)
	v_add_f32_e32 v7, v9, v12
	;; [unrolled: 2-line block ×4, first 2 shown]
	s_cbranch_vccz .LBB37_24
; %bb.23:
	s_ashr_i32 s37, s36, 31
	v_mov_b32_e32 v10, 0
	s_lshl_b64 s[2:3], s[36:37], 2
	v_max_f32_e32 v11, v3, v3
	s_add_u32 s2, s16, s2
	s_addc_u32 s3, s17, s3
	v_max_f32_e32 v17, v4, v4
	global_load_dwordx2 v[15:16], v10, s[2:3]
	v_max_f32_e32 v10, v2, v2
	v_max_f32_e32 v18, v5, v5
	v_mov_b32_e32 v19, 0x10001
	s_waitcnt vmcnt(0)
	v_max_f32_e32 v12, v15, v15
	v_max_f32_e32 v13, v16, v16
	;; [unrolled: 1-line block ×6, first 2 shown]
	v_sub_f32_e32 v17, v2, v10
	v_sub_f32_e32 v20, v3, v11
	;; [unrolled: 1-line block ×4, first 2 shown]
	v_mov_b32_e32 v2, v10
	v_sub_f32_e32 v18, v15, v10
	v_mov_b32_e32 v3, v11
	v_mov_b32_e32 v4, v12
	;; [unrolled: 1-line block ×3, first 2 shown]
	v_mul_f32_e32 v10, 0x3fb8aa3b, v17
	v_sub_f32_e32 v21, v16, v11
	v_mul_f32_e32 v11, 0x3fb8aa3b, v18
	v_sub_f32_e32 v15, v15, v12
	v_mul_f32_e32 v12, 0x3fb8aa3b, v20
	v_fma_f32 v38, 0x3fb8aa3b, v17, -v10
	v_rndne_f32_e32 v39, v10
	v_fma_f32 v40, 0x3fb8aa3b, v18, -v11
	v_rndne_f32_e32 v41, v11
	v_sub_f32_e32 v16, v16, v13
	v_fmac_f32_e32 v38, 0x32a5705f, v17
	v_sub_f32_e32 v10, v10, v39
	v_mul_f32_e32 v13, 0x3fb8aa3b, v21
	v_fma_f32 v42, 0x3fb8aa3b, v20, -v12
	v_rndne_f32_e32 v43, v12
	v_fmac_f32_e32 v40, 0x32a5705f, v18
	v_sub_f32_e32 v11, v11, v41
	v_add_f32_e32 v10, v10, v38
	v_mul_f32_e32 v32, 0x3fb8aa3b, v22
	v_fma_f32 v44, 0x3fb8aa3b, v21, -v13
	v_rndne_f32_e32 v45, v13
	v_fmac_f32_e32 v42, 0x32a5705f, v20
	v_sub_f32_e32 v12, v12, v43
	v_add_f32_e32 v11, v11, v40
	v_exp_f32_e32 v10, v10
	v_mul_f32_e32 v35, 0x3fb8aa3b, v15
	v_fma_f32 v46, 0x3fb8aa3b, v22, -v32
	v_rndne_f32_e32 v47, v32
	v_cvt_i32_f32_e32 v39, v39
	v_fmac_f32_e32 v44, 0x32a5705f, v21
	v_sub_f32_e32 v13, v13, v45
	v_add_f32_e32 v12, v12, v42
	v_exp_f32_e32 v11, v11
	v_mul_f32_e32 v36, 0x3fb8aa3b, v27
	v_fma_f32 v48, 0x3fb8aa3b, v15, -v35
	v_rndne_f32_e32 v49, v35
	v_cvt_i32_f32_e32 v41, v41
	v_fmac_f32_e32 v46, 0x32a5705f, v22
	v_sub_f32_e32 v32, v32, v47
	v_add_f32_e32 v13, v13, v44
	v_exp_f32_e32 v12, v12
	v_ldexp_f32 v10, v10, v39
	v_cmp_ngt_f32_e32 vcc_lo, 0xc2ce8ed0, v17
	v_mul_f32_e32 v37, 0x3fb8aa3b, v16
	v_fma_f32 v50, 0x3fb8aa3b, v27, -v36
	v_rndne_f32_e32 v51, v36
	v_cvt_i32_f32_e32 v43, v43
	v_fmac_f32_e32 v48, 0x32a5705f, v15
	v_sub_f32_e32 v35, v35, v49
	v_add_f32_e32 v32, v32, v46
	v_exp_f32_e32 v13, v13
	v_ldexp_f32 v11, v11, v41
	v_cndmask_b32_e32 v10, 0, v10, vcc_lo
	v_cmp_ngt_f32_e32 vcc_lo, 0xc2ce8ed0, v18
	v_fma_f32 v52, 0x3fb8aa3b, v16, -v37
	v_rndne_f32_e32 v53, v37
	v_cvt_i32_f32_e32 v45, v45
	v_fmac_f32_e32 v50, 0x32a5705f, v27
	v_sub_f32_e32 v36, v36, v51
	v_add_f32_e32 v35, v35, v48
	v_exp_f32_e32 v32, v32
	v_ldexp_f32 v12, v12, v43
	v_cndmask_b32_e32 v11, 0, v11, vcc_lo
	v_cmp_ngt_f32_e32 vcc_lo, 0xc2ce8ed0, v20
	v_cvt_i32_f32_e32 v47, v47
	v_fmac_f32_e32 v52, 0x32a5705f, v16
	v_sub_f32_e32 v37, v37, v53
	v_add_f32_e32 v36, v36, v50
	v_exp_f32_e32 v35, v35
	v_ldexp_f32 v13, v13, v45
	v_cndmask_b32_e32 v12, 0, v12, vcc_lo
	v_cmp_ngt_f32_e32 vcc_lo, 0xc2ce8ed0, v21
	v_cvt_i32_f32_e32 v49, v49
	v_add_f32_e32 v37, v37, v52
	v_exp_f32_e32 v36, v36
	v_ldexp_f32 v32, v32, v47
	v_cndmask_b32_e32 v13, 0, v13, vcc_lo
	v_cmp_ngt_f32_e32 vcc_lo, 0xc2ce8ed0, v22
	v_exp_f32_e32 v37, v37
	v_cvt_i32_f32_e32 v38, v51
	v_ldexp_f32 v35, v35, v49
	v_cvt_i32_f32_e32 v40, v53
	v_cndmask_b32_e32 v32, 0, v32, vcc_lo
	v_cmp_ngt_f32_e32 vcc_lo, 0xc2ce8ed0, v15
	v_ldexp_f32 v36, v36, v38
	v_cndmask_b32_e32 v35, 0, v35, vcc_lo
	v_cmp_ngt_f32_e32 vcc_lo, 0xc2ce8ed0, v27
	v_ldexp_f32 v37, v37, v40
	v_cndmask_b32_e32 v36, 0, v36, vcc_lo
	v_cmp_ngt_f32_e32 vcc_lo, 0xc2ce8ed0, v16
	v_cndmask_b32_e32 v37, 0, v37, vcc_lo
	v_cmp_nlt_f32_e32 vcc_lo, 0x42b17218, v17
	v_cndmask_b32_e32 v17, 0x7f800000, v10, vcc_lo
	v_cmp_nlt_f32_e32 vcc_lo, 0x42b17218, v18
	;; [unrolled: 2-line block ×3, first 2 shown]
	v_fmac_f32_e32 v10, v6, v17
	v_cndmask_b32_e32 v18, 0x7f800000, v12, vcc_lo
	v_cmp_nlt_f32_e32 vcc_lo, 0x42b17218, v21
	v_cvt_f16_f32_e32 v6, v17
	v_cndmask_b32_e32 v11, 0x7f800000, v13, vcc_lo
	v_cmp_nlt_f32_e32 vcc_lo, 0x42b17218, v22
	v_fmac_f32_e32 v11, v7, v18
	v_cndmask_b32_e32 v20, 0x7f800000, v32, vcc_lo
	v_cmp_nlt_f32_e32 vcc_lo, 0x42b17218, v15
	v_cvt_f16_f32_e32 v7, v18
	v_cndmask_b32_e32 v12, 0x7f800000, v35, vcc_lo
	v_cmp_nlt_f32_e32 vcc_lo, 0x42b17218, v27
	v_fmac_f32_e32 v12, v8, v20
	v_cndmask_b32_e32 v15, 0x7f800000, v36, vcc_lo
	v_cmp_nlt_f32_e32 vcc_lo, 0x42b17218, v16
	v_cvt_f16_f32_e32 v8, v20
	v_cvt_f16_f32_e32 v16, v15
	v_cndmask_b32_e32 v13, 0x7f800000, v37, vcc_lo
	v_mul_u32_u24_sdwa v17, v8, v19 dst_sel:DWORD dst_unused:UNUSED_PAD src0_sel:WORD_0 src1_sel:DWORD
	v_mov_b32_e32 v8, v12
	v_mul_u32_u24_sdwa v16, v16, v19 dst_sel:DWORD dst_unused:UNUSED_PAD src0_sel:WORD_0 src1_sel:DWORD
	v_fmac_f32_e32 v13, v9, v15
	v_mul_u32_u24_sdwa v9, v6, v19 dst_sel:DWORD dst_unused:UNUSED_PAD src0_sel:WORD_0 src1_sel:DWORD
	v_mul_u32_u24_sdwa v15, v7, v19 dst_sel:DWORD dst_unused:UNUSED_PAD src0_sel:WORD_0 src1_sel:DWORD
	v_mov_b32_e32 v6, v10
	v_mov_b32_e32 v7, v11
	v_pk_mul_f16 v28, v28, v17
	v_pk_mul_f16 v33, v33, v9
	;; [unrolled: 1-line block ×8, first 2 shown]
	v_mov_b32_e32 v9, v13
	s_branch .LBB37_25
.LBB37_24:
	v_mov_b32_e32 v13, v9
	v_mov_b32_e32 v12, v8
	;; [unrolled: 1-line block ×4, first 2 shown]
.LBB37_25:
	v_lshlrev_b32_e32 v1, 1, v1
	s_mov_b32 s1, exec_lo
	v_add_nc_u32_e32 v15, s14, v1
	v_cmpx_gt_i32_e64 s26, v15
	s_cbranch_execz .LBB37_52
; %bb.26:
	s_load_dword s1, s[4:5], 0xd4
	v_mov_b32_e32 v17, 1.0
	s_waitcnt lgkmcnt(0)
	s_cmp_lg_u32 s1, 1
	s_cselect_b32 s4, -1, 0
	s_cmp_eq_u32 s1, 1
	s_cselect_b32 s2, -1, 0
	s_and_b32 vcc_lo, exec_lo, s4
	s_cbranch_vccnz .LBB37_28
; %bb.27:
	v_div_scale_f32 v15, null, v6, v6, 1.0
	v_rcp_f32_e32 v16, v15
	v_fma_f32 v17, -v15, v16, 1.0
	v_fmac_f32_e32 v16, v17, v16
	v_div_scale_f32 v17, vcc_lo, 1.0, v6, 1.0
	v_mul_f32_e32 v18, v17, v16
	v_fma_f32 v19, -v15, v18, v17
	v_fmac_f32_e32 v18, v19, v16
	v_fma_f32 v15, -v15, v18, v17
	v_div_fmas_f32 v15, v15, v16, v18
	v_div_fixup_f32 v17, v15, v6, 1.0
.LBB37_28:
	s_mul_i32 s3, s33, s26
	s_add_i32 s3, s3, s14
	v_add_nc_u32_e32 v1, s3, v1
	v_mul_lo_u32 v1, v1, s27
	v_add_nc_u32_e32 v6, s36, v1
	v_mad_u64_u32 v[15:16], null, s1, v6, s[34:35]
	s_and_saveexec_b32 s5, s0
	s_cbranch_execz .LBB37_30
; %bb.29:
	v_mad_u64_u32 v[18:19], null, 0x48, v15, v[14:15]
	v_mov_b32_e32 v19, 0
	v_cvt_f32_f16_sdwa v6, v34 dst_sel:DWORD dst_unused:UNUSED_PAD src0_sel:WORD_1
	v_cvt_f32_f16_e32 v16, v34
	v_cvt_f32_f16_sdwa v27, v33 dst_sel:DWORD dst_unused:UNUSED_PAD src0_sel:WORD_1
	v_cvt_f32_f16_e32 v32, v33
	v_mul_f32_e32 v20, v17, v6
	v_lshlrev_b64 v[21:22], 2, v[18:19]
	v_mul_f32_e32 v19, v17, v16
	v_mul_f32_e32 v18, v17, v27
	;; [unrolled: 1-line block ×3, first 2 shown]
	v_add_co_u32 v21, vcc_lo, s20, v21
	v_add_co_ci_u32_e64 v22, null, s21, v22, vcc_lo
	global_store_dwordx4 v[21:22], v[17:20], off
.LBB37_30:
	s_or_b32 exec_lo, exec_lo, s5
	v_cmp_eq_u32_e32 vcc_lo, 0, v0
	s_and_b32 s4, vcc_lo, s4
	s_and_saveexec_b32 s5, s4
	s_cbranch_execz .LBB37_32
; %bb.31:
	v_ashrrev_i32_e32 v16, 31, v15
	v_mov_b32_e32 v17, v2
	v_mov_b32_e32 v18, v10
	v_lshlrev_b64 v[15:16], 3, v[15:16]
	v_add_co_u32 v15, vcc_lo, s22, v15
	v_add_co_ci_u32_e64 v16, null, s23, v16, vcc_lo
	global_store_dwordx2 v[15:16], v[17:18], off
.LBB37_32:
	s_or_b32 exec_lo, exec_lo, s5
	v_cndmask_b32_e64 v2, 0, 1, s2
	v_mov_b32_e32 v6, 1.0
	s_andn2_b32 vcc_lo, exec_lo, s2
	s_cbranch_vccnz .LBB37_34
; %bb.33:
	v_div_scale_f32 v0, null, v7, v7, 1.0
	v_rcp_f32_e32 v6, v0
	v_fma_f32 v10, -v0, v6, 1.0
	v_fmac_f32_e32 v6, v10, v6
	v_div_scale_f32 v10, vcc_lo, 1.0, v7, 1.0
	v_mul_f32_e32 v15, v10, v6
	v_fma_f32 v16, -v0, v15, v10
	v_fmac_f32_e32 v15, v16, v6
	v_fma_f32 v0, -v0, v15, v10
	v_div_fmas_f32 v0, v0, v6, v15
	v_div_fixup_f32 v6, v0, v7, 1.0
.LBB37_34:
	s_add_i32 s2, s36, 1
	v_add_nc_u32_e32 v0, s2, v1
	v_mad_u64_u32 v[0:1], null, s1, v0, s[34:35]
	s_and_saveexec_b32 s5, s0
	s_cbranch_execz .LBB37_36
; %bb.35:
	v_mad_u64_u32 v[15:16], null, 0x48, v0, v[14:15]
	v_mov_b32_e32 v16, 0
	v_cvt_f32_f16_sdwa v1, v31 dst_sel:DWORD dst_unused:UNUSED_PAD src0_sel:WORD_1
	v_cvt_f32_f16_e32 v7, v31
	v_cvt_f32_f16_sdwa v10, v30 dst_sel:DWORD dst_unused:UNUSED_PAD src0_sel:WORD_1
	v_mul_f32_e32 v18, v6, v1
	v_lshlrev_b64 v[19:20], 2, v[15:16]
	v_cvt_f32_f16_e32 v15, v30
	v_mul_f32_e32 v17, v6, v7
	v_mul_f32_e32 v16, v6, v10
	;; [unrolled: 1-line block ×3, first 2 shown]
	v_add_co_u32 v19, vcc_lo, s20, v19
	v_add_co_ci_u32_e64 v20, null, s21, v20, vcc_lo
	global_store_dwordx4 v[19:20], v[15:18], off
.LBB37_36:
	s_or_b32 exec_lo, exec_lo, s5
	s_and_saveexec_b32 s5, s4
	s_cbranch_execz .LBB37_38
; %bb.37:
	v_ashrrev_i32_e32 v1, 31, v0
	v_mov_b32_e32 v10, v3
	v_lshlrev_b64 v[0:1], 3, v[0:1]
	v_add_co_u32 v0, vcc_lo, s22, v0
	v_add_co_ci_u32_e64 v1, null, s23, v1, vcc_lo
	global_store_dwordx2 v[0:1], v[10:11], off
.LBB37_38:
	s_or_b32 exec_lo, exec_lo, s5
	v_add_nc_u32_e32 v0, s14, v24
	v_cmp_gt_i32_e32 vcc_lo, s26, v0
	s_and_b32 exec_lo, exec_lo, vcc_lo
	s_cbranch_execz .LBB37_52
; %bb.39:
	v_cmp_ne_u32_e32 vcc_lo, 1, v2
	v_mov_b32_e32 v3, 1.0
	s_cbranch_vccnz .LBB37_41
; %bb.40:
	v_div_scale_f32 v0, null, v8, v8, 1.0
	v_rcp_f32_e32 v1, v0
	v_fma_f32 v3, -v0, v1, 1.0
	v_fmac_f32_e32 v1, v3, v1
	v_div_scale_f32 v3, vcc_lo, 1.0, v8, 1.0
	v_mul_f32_e32 v6, v3, v1
	v_fma_f32 v7, -v0, v6, v3
	v_fmac_f32_e32 v6, v7, v1
	v_fma_f32 v0, -v0, v6, v3
	v_div_fmas_f32 v0, v0, v1, v6
	v_div_fixup_f32 v3, v0, v8, 1.0
.LBB37_41:
	v_add_nc_u32_e32 v0, s3, v24
	v_mad_u64_u32 v[0:1], null, v0, s27, s[36:37]
	v_mad_u64_u32 v[0:1], null, s1, v0, s[34:35]
	s_and_saveexec_b32 s5, s0
	s_cbranch_execz .LBB37_43
; %bb.42:
	v_mad_u64_u32 v[6:7], null, 0x48, v0, v[14:15]
	v_mov_b32_e32 v7, 0
	v_cvt_f32_f16_sdwa v1, v29 dst_sel:DWORD dst_unused:UNUSED_PAD src0_sel:WORD_1
	v_cvt_f32_f16_e32 v8, v29
	v_cvt_f32_f16_sdwa v10, v28 dst_sel:DWORD dst_unused:UNUSED_PAD src0_sel:WORD_1
	v_cvt_f32_f16_e32 v11, v28
	v_mul_f32_e32 v18, v3, v1
	v_lshlrev_b64 v[6:7], 2, v[6:7]
	v_mul_f32_e32 v17, v3, v8
	v_mul_f32_e32 v16, v3, v10
	;; [unrolled: 1-line block ×3, first 2 shown]
	v_add_co_u32 v6, vcc_lo, s20, v6
	v_add_co_ci_u32_e64 v7, null, s21, v7, vcc_lo
	global_store_dwordx4 v[6:7], v[15:18], off
.LBB37_43:
	s_or_b32 exec_lo, exec_lo, s5
	s_and_saveexec_b32 s5, s4
	s_cbranch_execz .LBB37_45
; %bb.44:
	v_ashrrev_i32_e32 v1, 31, v0
	v_mov_b32_e32 v11, v4
	v_lshlrev_b64 v[0:1], 3, v[0:1]
	v_add_co_u32 v0, vcc_lo, s22, v0
	v_add_co_ci_u32_e64 v1, null, s23, v1, vcc_lo
	global_store_dwordx2 v[0:1], v[11:12], off
.LBB37_45:
	s_or_b32 exec_lo, exec_lo, s5
	v_lshrrev_b32_e32 v0, 1, v23
	v_add_nc_u32_e32 v1, s14, v0
	v_cmp_gt_i32_e32 vcc_lo, s26, v1
	s_and_b32 exec_lo, exec_lo, vcc_lo
	s_cbranch_execz .LBB37_52
; %bb.46:
	v_cmp_ne_u32_e32 vcc_lo, 1, v2
	v_mov_b32_e32 v2, 1.0
	s_cbranch_vccnz .LBB37_48
; %bb.47:
	v_div_scale_f32 v1, null, v9, v9, 1.0
	v_rcp_f32_e32 v2, v1
	v_fma_f32 v3, -v1, v2, 1.0
	v_fmac_f32_e32 v2, v3, v2
	v_div_scale_f32 v3, vcc_lo, 1.0, v9, 1.0
	v_mul_f32_e32 v4, v3, v2
	v_fma_f32 v6, -v1, v4, v3
	v_fmac_f32_e32 v4, v6, v2
	v_fma_f32 v1, -v1, v4, v3
	v_div_fmas_f32 v1, v1, v2, v4
	v_div_fixup_f32 v2, v1, v9, 1.0
.LBB37_48:
	v_add_nc_u32_e32 v0, s3, v0
	v_mad_u64_u32 v[0:1], null, v0, s27, s[2:3]
	v_mad_u64_u32 v[0:1], null, s1, v0, s[34:35]
	s_and_saveexec_b32 s1, s0
	s_cbranch_execz .LBB37_50
; %bb.49:
	v_mad_u64_u32 v[3:4], null, 0x48, v0, v[14:15]
	v_mov_b32_e32 v4, 0
	v_cvt_f32_f16_sdwa v1, v25 dst_sel:DWORD dst_unused:UNUSED_PAD src0_sel:WORD_1
	v_cvt_f32_f16_e32 v6, v25
	v_cvt_f32_f16_sdwa v7, v26 dst_sel:DWORD dst_unused:UNUSED_PAD src0_sel:WORD_1
	v_cvt_f32_f16_e32 v10, v26
	v_mul_f32_e32 v9, v2, v1
	v_lshlrev_b64 v[3:4], 2, v[3:4]
	v_mul_f32_e32 v8, v2, v6
	v_mul_f32_e32 v7, v2, v7
	;; [unrolled: 1-line block ×3, first 2 shown]
	v_add_co_u32 v3, vcc_lo, s20, v3
	v_add_co_ci_u32_e64 v4, null, s21, v4, vcc_lo
	global_store_dwordx4 v[3:4], v[6:9], off
.LBB37_50:
	s_or_b32 exec_lo, exec_lo, s1
	s_and_b32 exec_lo, exec_lo, s4
	s_cbranch_execz .LBB37_52
; %bb.51:
	v_ashrrev_i32_e32 v1, 31, v0
	v_mov_b32_e32 v12, v5
	v_lshlrev_b64 v[0:1], 3, v[0:1]
	v_add_co_u32 v0, vcc_lo, s22, v0
	v_add_co_ci_u32_e64 v1, null, s23, v1, vcc_lo
	global_store_dwordx2 v[0:1], v[12:13], off
.LBB37_52:
	s_endpgm
	.section	.rodata,"a",@progbits
	.p2align	6, 0x0
	.amdhsa_kernel _ZL15flash_attn_tileILi72ELi72ELi16ELi2ELb0EEvPKcS1_S1_S1_S1_PKiPfP15HIP_vector_typeIfLj2EEffffjfiS5_IjLj3EEiiiiiiiiiiiliiliiiiil
		.amdhsa_group_segment_fixed_size 12000
		.amdhsa_private_segment_fixed_size 0
		.amdhsa_kernarg_size 464
		.amdhsa_user_sgpr_count 6
		.amdhsa_user_sgpr_private_segment_buffer 1
		.amdhsa_user_sgpr_dispatch_ptr 0
		.amdhsa_user_sgpr_queue_ptr 0
		.amdhsa_user_sgpr_kernarg_segment_ptr 1
		.amdhsa_user_sgpr_dispatch_id 0
		.amdhsa_user_sgpr_flat_scratch_init 0
		.amdhsa_user_sgpr_private_segment_size 0
		.amdhsa_wavefront_size32 1
		.amdhsa_uses_dynamic_stack 0
		.amdhsa_system_sgpr_private_segment_wavefront_offset 0
		.amdhsa_system_sgpr_workgroup_id_x 1
		.amdhsa_system_sgpr_workgroup_id_y 1
		.amdhsa_system_sgpr_workgroup_id_z 1
		.amdhsa_system_sgpr_workgroup_info 0
		.amdhsa_system_vgpr_workitem_id 1
		.amdhsa_next_free_vgpr 201
		.amdhsa_next_free_sgpr 48
		.amdhsa_reserve_vcc 1
		.amdhsa_reserve_flat_scratch 0
		.amdhsa_float_round_mode_32 0
		.amdhsa_float_round_mode_16_64 0
		.amdhsa_float_denorm_mode_32 3
		.amdhsa_float_denorm_mode_16_64 3
		.amdhsa_dx10_clamp 1
		.amdhsa_ieee_mode 1
		.amdhsa_fp16_overflow 0
		.amdhsa_workgroup_processor_mode 1
		.amdhsa_memory_ordered 1
		.amdhsa_forward_progress 1
		.amdhsa_shared_vgpr_count 0
		.amdhsa_exception_fp_ieee_invalid_op 0
		.amdhsa_exception_fp_denorm_src 0
		.amdhsa_exception_fp_ieee_div_zero 0
		.amdhsa_exception_fp_ieee_overflow 0
		.amdhsa_exception_fp_ieee_underflow 0
		.amdhsa_exception_fp_ieee_inexact 0
		.amdhsa_exception_int_div_zero 0
	.end_amdhsa_kernel
	.section	.text._ZL15flash_attn_tileILi72ELi72ELi16ELi2ELb0EEvPKcS1_S1_S1_S1_PKiPfP15HIP_vector_typeIfLj2EEffffjfiS5_IjLj3EEiiiiiiiiiiiliiliiiiil,"axG",@progbits,_ZL15flash_attn_tileILi72ELi72ELi16ELi2ELb0EEvPKcS1_S1_S1_S1_PKiPfP15HIP_vector_typeIfLj2EEffffjfiS5_IjLj3EEiiiiiiiiiiiliiliiiiil,comdat
.Lfunc_end37:
	.size	_ZL15flash_attn_tileILi72ELi72ELi16ELi2ELb0EEvPKcS1_S1_S1_S1_PKiPfP15HIP_vector_typeIfLj2EEffffjfiS5_IjLj3EEiiiiiiiiiiiliiliiiiil, .Lfunc_end37-_ZL15flash_attn_tileILi72ELi72ELi16ELi2ELb0EEvPKcS1_S1_S1_S1_PKiPfP15HIP_vector_typeIfLj2EEffffjfiS5_IjLj3EEiiiiiiiiiiiliiliiiiil
                                        ; -- End function
	.set _ZL15flash_attn_tileILi72ELi72ELi16ELi2ELb0EEvPKcS1_S1_S1_S1_PKiPfP15HIP_vector_typeIfLj2EEffffjfiS5_IjLj3EEiiiiiiiiiiiliiliiiiil.num_vgpr, 201
	.set _ZL15flash_attn_tileILi72ELi72ELi16ELi2ELb0EEvPKcS1_S1_S1_S1_PKiPfP15HIP_vector_typeIfLj2EEffffjfiS5_IjLj3EEiiiiiiiiiiiliiliiiiil.num_agpr, 0
	.set _ZL15flash_attn_tileILi72ELi72ELi16ELi2ELb0EEvPKcS1_S1_S1_S1_PKiPfP15HIP_vector_typeIfLj2EEffffjfiS5_IjLj3EEiiiiiiiiiiiliiliiiiil.numbered_sgpr, 48
	.set _ZL15flash_attn_tileILi72ELi72ELi16ELi2ELb0EEvPKcS1_S1_S1_S1_PKiPfP15HIP_vector_typeIfLj2EEffffjfiS5_IjLj3EEiiiiiiiiiiiliiliiiiil.num_named_barrier, 0
	.set _ZL15flash_attn_tileILi72ELi72ELi16ELi2ELb0EEvPKcS1_S1_S1_S1_PKiPfP15HIP_vector_typeIfLj2EEffffjfiS5_IjLj3EEiiiiiiiiiiiliiliiiiil.private_seg_size, 0
	.set _ZL15flash_attn_tileILi72ELi72ELi16ELi2ELb0EEvPKcS1_S1_S1_S1_PKiPfP15HIP_vector_typeIfLj2EEffffjfiS5_IjLj3EEiiiiiiiiiiiliiliiiiil.uses_vcc, 1
	.set _ZL15flash_attn_tileILi72ELi72ELi16ELi2ELb0EEvPKcS1_S1_S1_S1_PKiPfP15HIP_vector_typeIfLj2EEffffjfiS5_IjLj3EEiiiiiiiiiiiliiliiiiil.uses_flat_scratch, 0
	.set _ZL15flash_attn_tileILi72ELi72ELi16ELi2ELb0EEvPKcS1_S1_S1_S1_PKiPfP15HIP_vector_typeIfLj2EEffffjfiS5_IjLj3EEiiiiiiiiiiiliiliiiiil.has_dyn_sized_stack, 0
	.set _ZL15flash_attn_tileILi72ELi72ELi16ELi2ELb0EEvPKcS1_S1_S1_S1_PKiPfP15HIP_vector_typeIfLj2EEffffjfiS5_IjLj3EEiiiiiiiiiiiliiliiiiil.has_recursion, 0
	.set _ZL15flash_attn_tileILi72ELi72ELi16ELi2ELb0EEvPKcS1_S1_S1_S1_PKiPfP15HIP_vector_typeIfLj2EEffffjfiS5_IjLj3EEiiiiiiiiiiiliiliiiiil.has_indirect_call, 0
	.section	.AMDGPU.csdata,"",@progbits
; Kernel info:
; codeLenInByte = 13600
; TotalNumSgprs: 50
; NumVgprs: 201
; ScratchSize: 0
; MemoryBound: 0
; FloatMode: 240
; IeeeMode: 1
; LDSByteSize: 12000 bytes/workgroup (compile time only)
; SGPRBlocks: 0
; VGPRBlocks: 25
; NumSGPRsForWavesPerEU: 50
; NumVGPRsForWavesPerEU: 201
; Occupancy: 4
; WaveLimiterHint : 1
; COMPUTE_PGM_RSRC2:SCRATCH_EN: 0
; COMPUTE_PGM_RSRC2:USER_SGPR: 6
; COMPUTE_PGM_RSRC2:TRAP_HANDLER: 0
; COMPUTE_PGM_RSRC2:TGID_X_EN: 1
; COMPUTE_PGM_RSRC2:TGID_Y_EN: 1
; COMPUTE_PGM_RSRC2:TGID_Z_EN: 1
; COMPUTE_PGM_RSRC2:TIDIG_COMP_CNT: 1
	.section	.text._ZL33flash_attn_stream_k_fixup_uniformILi72ELi16ELi2EEvPfPK15HIP_vector_typeIfLj2EEiiiiiiS1_IjLj3EES5_S5_,"axG",@progbits,_ZL33flash_attn_stream_k_fixup_uniformILi72ELi16ELi2EEvPfPK15HIP_vector_typeIfLj2EEiiiiiiS1_IjLj3EES5_S5_,comdat
	.globl	_ZL33flash_attn_stream_k_fixup_uniformILi72ELi16ELi2EEvPfPK15HIP_vector_typeIfLj2EEiiiiiiS1_IjLj3EES5_S5_ ; -- Begin function _ZL33flash_attn_stream_k_fixup_uniformILi72ELi16ELi2EEvPfPK15HIP_vector_typeIfLj2EEiiiiiiS1_IjLj3EES5_S5_
	.p2align	8
	.type	_ZL33flash_attn_stream_k_fixup_uniformILi72ELi16ELi2EEvPfPK15HIP_vector_typeIfLj2EEiiiiiiS1_IjLj3EES5_S5_,@function
_ZL33flash_attn_stream_k_fixup_uniformILi72ELi16ELi2EEvPfPK15HIP_vector_typeIfLj2EEiiiiiiS1_IjLj3EES5_S5_: ; @_ZL33flash_attn_stream_k_fixup_uniformILi72ELi16ELi2EEvPfPK15HIP_vector_typeIfLj2EEiiiiiiS1_IjLj3EES5_S5_
; %bb.0:
	s_clause 0x2
	s_load_dwordx8 s[12:19], s[4:5], 0x1c
	s_load_dwordx4 s[20:23], s[4:5], 0x3c
	s_load_dwordx2 s[10:11], s[4:5], 0x10
	s_waitcnt lgkmcnt(0)
	s_mul_hi_u32 s0, s15, s6
	s_add_i32 s0, s6, s0
	s_lshr_b32 s0, s0, s16
	s_mul_i32 s1, s0, s17
	s_sub_i32 s1, s6, s1
	s_mul_hi_u32 s2, s1, s18
	s_add_i32 s2, s1, s2
	s_lshr_b32 s9, s2, s19
	s_mul_i32 s2, s9, s20
	s_sub_i32 s1, s1, s2
	s_mul_hi_u32 s2, s1, s21
	s_add_i32 s2, s1, s2
	s_lshr_b32 s2, s2, s22
	s_mul_i32 s3, s2, s23
	s_lshl_b32 s16, s2, 1
	s_sub_i32 s15, s1, s3
	s_lshl_b32 s1, s15, 4
	s_add_i32 s1, s1, s7
	s_cmp_lt_i32 s1, s10
	s_cselect_b32 s1, -1, 0
	s_add_i32 s16, s16, s8
	s_cmp_lt_i32 s16, s13
	s_cselect_b32 s2, -1, 0
	s_and_b32 s1, s1, s2
	s_andn2_b32 vcc_lo, exec_lo, s1
	s_cbranch_vccnz .LBB38_6
; %bb.1:
	s_mul_i32 s10, s0, s10
	s_load_dwordx4 s[0:3], s[4:5], 0x0
	s_add_i32 s4, s10, s7
	s_mul_i32 s9, s9, s13
	s_mul_i32 s4, s4, s11
	s_add_i32 s5, s16, s9
	s_mul_i32 s9, s11, s15
	s_add_i32 s4, s5, s4
	s_mulk_i32 s9, 0x480
	s_mulk_i32 s4, 0x48
	s_lshl_b32 s10, s7, 1
	v_add3_u32 v1, s4, s9, v0
	s_mul_i32 s4, s14, s6
	s_add_i32 s11, s4, s14
	v_ashrrev_i32_e32 v2, 31, v1
	v_lshlrev_b64 v[1:2], 2, v[1:2]
	s_waitcnt lgkmcnt(0)
	v_add_co_u32 v1, vcc_lo, s0, v1
	v_add_co_ci_u32_e64 v2, null, s1, v2, vcc_lo
	s_add_i32 s0, s10, s8
	s_lshl_b32 s1, s11, 5
	global_load_dword v5, v[1:2], off
	s_add_i32 s0, s0, s1
	s_sub_i32 s0, s0, 32
	s_ashr_i32 s1, s0, 31
	s_lshl_b64 s[0:1], s[0:1], 3
	s_add_u32 s0, s2, s0
	s_addc_u32 s1, s3, s1
	s_add_i32 s5, s11, -2
	s_load_dword s13, s[0:1], 0x4
	s_cmp_lt_i32 s5, s4
	s_cbranch_scc1 .LBB38_4
; %bb.2:
	s_load_dword s15, s[0:1], 0x0
	s_lshl_b32 s16, s12, 7
	s_mulk_i32 s7, 0x90
	s_ashr_i32 s17, s16, 31
	s_waitcnt lgkmcnt(0)
	v_mov_b32_e32 v6, s13
	s_lshl_b64 s[0:1], s[16:17], 2
	s_add_u32 s5, s2, s0
	s_addc_u32 s9, s3, s1
	s_add_i32 s6, s6, 1
	s_mul_i32 s0, s14, s6
	s_mul_i32 s6, s8, 0x48
	s_lshl_b32 s1, s0, 5
	s_mulk_i32 s0, 0x900
	s_add_i32 s6, s6, s7
	s_add_i32 s1, s8, s1
	s_lshl_b32 s7, s12, 5
	s_add_i32 s6, s6, s0
	s_add_i32 s0, s1, s7
	v_add3_u32 v3, s6, v0, 0xffffee00
	v_mov_b32_e32 v0, s15
	s_add_i32 s0, s0, s10
	s_add_i32 s6, s11, -1
	s_sub_i32 s0, s0, 64
.LBB38_3:                               ; =>This Inner Loop Header: Depth=1
	v_ashrrev_i32_e32 v4, 31, v3
	s_ashr_i32 s1, s0, 31
	s_lshl_b64 s[10:11], s[0:1], 3
	s_add_u32 s10, s2, s10
	v_lshlrev_b64 v[7:8], 2, v[3:4]
	s_addc_u32 s11, s3, s11
	v_add_nc_u32_e32 v3, 0xfffff700, v3
	s_add_i32 s6, s6, -1
	s_sub_i32 s0, s0, 32
	s_cmp_le_i32 s6, s4
	v_add_co_u32 v7, vcc_lo, s5, v7
	v_add_co_ci_u32_e64 v8, null, s9, v8, vcc_lo
	s_load_dwordx2 s[10:11], s[10:11], 0x0
	global_load_dword v4, v[7:8], off
	v_max_f32_e32 v7, v0, v0
	s_waitcnt lgkmcnt(0)
	v_max_f32_e64 v8, s10, s10
	v_max_f32_e32 v7, v7, v8
	v_sub_f32_e32 v8, s10, v7
	v_sub_f32_e32 v0, v0, v7
	v_mul_f32_e32 v9, 0x3fb8aa3b, v8
	v_mul_f32_e32 v12, 0x3fb8aa3b, v0
	v_cmp_ngt_f32_e32 vcc_lo, 0xc2ce8ed0, v8
	v_fma_f32 v10, 0x3fb8aa3b, v8, -v9
	v_rndne_f32_e32 v11, v9
	v_fma_f32 v13, 0x3fb8aa3b, v0, -v12
	v_rndne_f32_e32 v14, v12
	v_fmac_f32_e32 v10, 0x32a5705f, v8
	v_sub_f32_e32 v9, v9, v11
	v_fmac_f32_e32 v13, 0x32a5705f, v0
	v_cvt_i32_f32_e32 v11, v11
	v_add_f32_e32 v9, v9, v10
	v_sub_f32_e32 v10, v12, v14
	v_exp_f32_e32 v9, v9
	v_add_f32_e32 v10, v10, v13
	v_exp_f32_e32 v10, v10
	v_ldexp_f32 v9, v9, v11
	v_cvt_i32_f32_e32 v11, v14
	v_cndmask_b32_e32 v9, 0, v9, vcc_lo
	v_cmp_nlt_f32_e32 vcc_lo, 0x42b17218, v8
	v_ldexp_f32 v10, v10, v11
	v_mov_b32_e32 v11, v6
	v_cndmask_b32_e32 v9, 0x7f800000, v9, vcc_lo
	v_cmp_ngt_f32_e32 vcc_lo, 0xc2ce8ed0, v0
	v_cndmask_b32_e32 v10, 0, v10, vcc_lo
	v_cmp_le_f32_e32 vcc_lo, 0xc1a00000, v8
	v_cndmask_b32_e32 v8, 0, v9, vcc_lo
	v_cmp_nlt_f32_e32 vcc_lo, 0x42b17218, v0
	s_waitcnt vmcnt(1)
	v_mov_b32_e32 v9, v5
	v_cndmask_b32_e32 v5, 0x7f800000, v10, vcc_lo
	v_mul_f32_e32 v10, s11, v8
	v_cmp_le_f32_e32 vcc_lo, 0xc1a00000, v0
	v_mov_b32_e32 v0, v7
	v_mov_b32_e32 v6, v10
	v_cndmask_b32_e32 v12, 0, v5, vcc_lo
	v_fmac_f32_e32 v6, v11, v12
	s_waitcnt vmcnt(0)
	v_mul_f32_e32 v5, v4, v8
	v_fmac_f32_e32 v5, v9, v12
	s_cbranch_scc0 .LBB38_3
	s_branch .LBB38_5
.LBB38_4:
	s_waitcnt lgkmcnt(0)
	v_mov_b32_e32 v6, s13
.LBB38_5:
	s_waitcnt vmcnt(0)
	v_div_scale_f32 v0, null, v6, v6, v5
	v_rcp_f32_e32 v3, v0
	v_fma_f32 v4, -v0, v3, 1.0
	v_fmac_f32_e32 v3, v4, v3
	v_div_scale_f32 v4, vcc_lo, v5, v6, v5
	v_mul_f32_e32 v7, v4, v3
	v_fma_f32 v8, -v0, v7, v4
	v_fmac_f32_e32 v7, v8, v3
	v_fma_f32 v0, -v0, v7, v4
	v_div_fmas_f32 v0, v0, v3, v7
	v_div_fixup_f32 v0, v0, v6, v5
	global_store_dword v[1:2], v0, off
.LBB38_6:
	s_endpgm
	.section	.rodata,"a",@progbits
	.p2align	6, 0x0
	.amdhsa_kernel _ZL33flash_attn_stream_k_fixup_uniformILi72ELi16ELi2EEvPfPK15HIP_vector_typeIfLj2EEiiiiiiS1_IjLj3EES5_S5_
		.amdhsa_group_segment_fixed_size 0
		.amdhsa_private_segment_fixed_size 0
		.amdhsa_kernarg_size 76
		.amdhsa_user_sgpr_count 6
		.amdhsa_user_sgpr_private_segment_buffer 1
		.amdhsa_user_sgpr_dispatch_ptr 0
		.amdhsa_user_sgpr_queue_ptr 0
		.amdhsa_user_sgpr_kernarg_segment_ptr 1
		.amdhsa_user_sgpr_dispatch_id 0
		.amdhsa_user_sgpr_flat_scratch_init 0
		.amdhsa_user_sgpr_private_segment_size 0
		.amdhsa_wavefront_size32 1
		.amdhsa_uses_dynamic_stack 0
		.amdhsa_system_sgpr_private_segment_wavefront_offset 0
		.amdhsa_system_sgpr_workgroup_id_x 1
		.amdhsa_system_sgpr_workgroup_id_y 1
		.amdhsa_system_sgpr_workgroup_id_z 1
		.amdhsa_system_sgpr_workgroup_info 0
		.amdhsa_system_vgpr_workitem_id 0
		.amdhsa_next_free_vgpr 15
		.amdhsa_next_free_sgpr 24
		.amdhsa_reserve_vcc 1
		.amdhsa_reserve_flat_scratch 0
		.amdhsa_float_round_mode_32 0
		.amdhsa_float_round_mode_16_64 0
		.amdhsa_float_denorm_mode_32 3
		.amdhsa_float_denorm_mode_16_64 3
		.amdhsa_dx10_clamp 1
		.amdhsa_ieee_mode 1
		.amdhsa_fp16_overflow 0
		.amdhsa_workgroup_processor_mode 1
		.amdhsa_memory_ordered 1
		.amdhsa_forward_progress 1
		.amdhsa_shared_vgpr_count 0
		.amdhsa_exception_fp_ieee_invalid_op 0
		.amdhsa_exception_fp_denorm_src 0
		.amdhsa_exception_fp_ieee_div_zero 0
		.amdhsa_exception_fp_ieee_overflow 0
		.amdhsa_exception_fp_ieee_underflow 0
		.amdhsa_exception_fp_ieee_inexact 0
		.amdhsa_exception_int_div_zero 0
	.end_amdhsa_kernel
	.section	.text._ZL33flash_attn_stream_k_fixup_uniformILi72ELi16ELi2EEvPfPK15HIP_vector_typeIfLj2EEiiiiiiS1_IjLj3EES5_S5_,"axG",@progbits,_ZL33flash_attn_stream_k_fixup_uniformILi72ELi16ELi2EEvPfPK15HIP_vector_typeIfLj2EEiiiiiiS1_IjLj3EES5_S5_,comdat
.Lfunc_end38:
	.size	_ZL33flash_attn_stream_k_fixup_uniformILi72ELi16ELi2EEvPfPK15HIP_vector_typeIfLj2EEiiiiiiS1_IjLj3EES5_S5_, .Lfunc_end38-_ZL33flash_attn_stream_k_fixup_uniformILi72ELi16ELi2EEvPfPK15HIP_vector_typeIfLj2EEiiiiiiS1_IjLj3EES5_S5_
                                        ; -- End function
	.set _ZL33flash_attn_stream_k_fixup_uniformILi72ELi16ELi2EEvPfPK15HIP_vector_typeIfLj2EEiiiiiiS1_IjLj3EES5_S5_.num_vgpr, 15
	.set _ZL33flash_attn_stream_k_fixup_uniformILi72ELi16ELi2EEvPfPK15HIP_vector_typeIfLj2EEiiiiiiS1_IjLj3EES5_S5_.num_agpr, 0
	.set _ZL33flash_attn_stream_k_fixup_uniformILi72ELi16ELi2EEvPfPK15HIP_vector_typeIfLj2EEiiiiiiS1_IjLj3EES5_S5_.numbered_sgpr, 24
	.set _ZL33flash_attn_stream_k_fixup_uniformILi72ELi16ELi2EEvPfPK15HIP_vector_typeIfLj2EEiiiiiiS1_IjLj3EES5_S5_.num_named_barrier, 0
	.set _ZL33flash_attn_stream_k_fixup_uniformILi72ELi16ELi2EEvPfPK15HIP_vector_typeIfLj2EEiiiiiiS1_IjLj3EES5_S5_.private_seg_size, 0
	.set _ZL33flash_attn_stream_k_fixup_uniformILi72ELi16ELi2EEvPfPK15HIP_vector_typeIfLj2EEiiiiiiS1_IjLj3EES5_S5_.uses_vcc, 1
	.set _ZL33flash_attn_stream_k_fixup_uniformILi72ELi16ELi2EEvPfPK15HIP_vector_typeIfLj2EEiiiiiiS1_IjLj3EES5_S5_.uses_flat_scratch, 0
	.set _ZL33flash_attn_stream_k_fixup_uniformILi72ELi16ELi2EEvPfPK15HIP_vector_typeIfLj2EEiiiiiiS1_IjLj3EES5_S5_.has_dyn_sized_stack, 0
	.set _ZL33flash_attn_stream_k_fixup_uniformILi72ELi16ELi2EEvPfPK15HIP_vector_typeIfLj2EEiiiiiiS1_IjLj3EES5_S5_.has_recursion, 0
	.set _ZL33flash_attn_stream_k_fixup_uniformILi72ELi16ELi2EEvPfPK15HIP_vector_typeIfLj2EEiiiiiiS1_IjLj3EES5_S5_.has_indirect_call, 0
	.section	.AMDGPU.csdata,"",@progbits
; Kernel info:
; codeLenInByte = 848
; TotalNumSgprs: 26
; NumVgprs: 15
; ScratchSize: 0
; MemoryBound: 0
; FloatMode: 240
; IeeeMode: 1
; LDSByteSize: 0 bytes/workgroup (compile time only)
; SGPRBlocks: 0
; VGPRBlocks: 1
; NumSGPRsForWavesPerEU: 26
; NumVGPRsForWavesPerEU: 15
; Occupancy: 16
; WaveLimiterHint : 0
; COMPUTE_PGM_RSRC2:SCRATCH_EN: 0
; COMPUTE_PGM_RSRC2:USER_SGPR: 6
; COMPUTE_PGM_RSRC2:TRAP_HANDLER: 0
; COMPUTE_PGM_RSRC2:TGID_X_EN: 1
; COMPUTE_PGM_RSRC2:TGID_Y_EN: 1
; COMPUTE_PGM_RSRC2:TGID_Z_EN: 1
; COMPUTE_PGM_RSRC2:TIDIG_COMP_CNT: 0
	.section	.text._ZL33flash_attn_stream_k_fixup_generalILi72ELi16ELi2EEvPfPK15HIP_vector_typeIfLj2EEiiiiS1_IjLj3EES5_S5_S5_,"axG",@progbits,_ZL33flash_attn_stream_k_fixup_generalILi72ELi16ELi2EEvPfPK15HIP_vector_typeIfLj2EEiiiiS1_IjLj3EES5_S5_S5_,comdat
	.globl	_ZL33flash_attn_stream_k_fixup_generalILi72ELi16ELi2EEvPfPK15HIP_vector_typeIfLj2EEiiiiS1_IjLj3EES5_S5_S5_ ; -- Begin function _ZL33flash_attn_stream_k_fixup_generalILi72ELi16ELi2EEvPfPK15HIP_vector_typeIfLj2EEiiiiS1_IjLj3EES5_S5_S5_
	.p2align	8
	.type	_ZL33flash_attn_stream_k_fixup_generalILi72ELi16ELi2EEvPfPK15HIP_vector_typeIfLj2EEiiiiS1_IjLj3EES5_S5_S5_,@function
_ZL33flash_attn_stream_k_fixup_generalILi72ELi16ELi2EEvPfPK15HIP_vector_typeIfLj2EEiiiiS1_IjLj3EES5_S5_S5_: ; @_ZL33flash_attn_stream_k_fixup_generalILi72ELi16ELi2EEvPfPK15HIP_vector_typeIfLj2EEiiiiS1_IjLj3EES5_S5_S5_
; %bb.0:
	s_clause 0x1
	s_load_dwordx4 s[0:3], s[4:5], 0x10
	s_load_dword s9, s[4:5], 0x50
	s_mov_b32 s16, 0
	s_waitcnt lgkmcnt(0)
	s_mul_hi_i32 s17, s3, s6
	s_mul_i32 s18, s3, s6
	s_cmp_lg_u64 s[16:17], 0
	s_cbranch_scc0 .LBB39_21
; %bb.1:
	s_add_u32 s10, s9, 0
	s_addc_u32 s11, 0, 0
	s_xor_b64 s[10:11], s[10:11], 0
	v_cvt_f32_u32_e32 v1, s10
	v_cvt_f32_u32_e32 v2, s11
	s_sub_u32 s14, 0, s10
	s_subb_u32 s15, 0, s11
	v_fmamk_f32 v1, v2, 0x4f800000, v1
	v_rcp_f32_e32 v1, v1
	v_mul_f32_e32 v1, 0x5f7ffffc, v1
	v_mul_f32_e32 v2, 0x2f800000, v1
	v_trunc_f32_e32 v2, v2
	v_fmamk_f32 v1, v2, 0xcf800000, v1
	v_cvt_u32_f32_e32 v2, v2
	v_cvt_u32_f32_e32 v1, v1
	v_readfirstlane_b32 s12, v2
	v_readfirstlane_b32 s13, v1
	s_mul_i32 s19, s14, s12
	s_mul_hi_u32 s21, s14, s13
	s_mul_i32 s20, s15, s13
	s_add_i32 s19, s21, s19
	s_mul_i32 s22, s14, s13
	s_add_i32 s19, s19, s20
	s_mul_hi_u32 s21, s13, s22
	s_mul_i32 s24, s13, s19
	s_mul_hi_u32 s23, s12, s22
	s_mul_i32 s20, s12, s22
	s_mul_hi_u32 s22, s13, s19
	s_add_u32 s21, s21, s24
	s_addc_u32 s22, 0, s22
	s_mul_hi_u32 s25, s12, s19
	s_add_u32 s20, s21, s20
	s_mul_i32 s19, s12, s19
	s_addc_u32 s20, s22, s23
	s_addc_u32 s21, s25, 0
	s_add_u32 s19, s20, s19
	s_addc_u32 s20, 0, s21
	s_add_u32 s13, s13, s19
	s_cselect_b32 s19, -1, 0
	s_mul_hi_u32 s21, s14, s13
	s_cmp_lg_u32 s19, 0
	s_mul_i32 s19, s14, s13
	s_addc_u32 s12, s12, s20
	s_mul_i32 s15, s15, s13
	s_mul_i32 s14, s14, s12
	s_mul_hi_u32 s20, s13, s19
	s_add_i32 s14, s21, s14
	s_mul_hi_u32 s21, s12, s19
	s_add_i32 s14, s14, s15
	s_mul_i32 s15, s12, s19
	s_mul_i32 s23, s13, s14
	s_mul_hi_u32 s22, s13, s14
	s_add_u32 s20, s20, s23
	s_addc_u32 s22, 0, s22
	s_mul_hi_u32 s19, s12, s14
	s_add_u32 s15, s20, s15
	s_mul_i32 s14, s12, s14
	s_addc_u32 s15, s22, s21
	s_addc_u32 s19, s19, 0
	s_add_u32 s14, s15, s14
	s_addc_u32 s15, 0, s19
	s_add_u32 s19, s13, s14
	s_cselect_b32 s13, -1, 0
	s_cmp_lg_u32 s13, 0
	s_addc_u32 s20, s12, s15
	s_ashr_i32 s12, s17, 31
	s_add_u32 s14, s18, s12
	s_mov_b32 s13, s12
	s_addc_u32 s15, s17, s12
	s_xor_b64 s[14:15], s[14:15], s[12:13]
	s_mul_i32 s21, s14, s20
	s_mul_hi_u32 s22, s14, s19
	s_mul_hi_u32 s17, s14, s20
	;; [unrolled: 1-line block ×3, first 2 shown]
	s_mul_i32 s19, s15, s19
	s_add_u32 s21, s22, s21
	s_addc_u32 s17, 0, s17
	s_mul_hi_u32 s23, s15, s20
	s_add_u32 s19, s21, s19
	s_mul_i32 s20, s15, s20
	s_addc_u32 s17, s17, s24
	s_addc_u32 s19, s23, 0
	s_add_u32 s17, s17, s20
	s_addc_u32 s19, 0, s19
	s_mul_hi_u32 s20, s10, s17
	s_mul_i32 s21, s10, s19
	s_mul_i32 s22, s11, s17
	s_add_i32 s20, s20, s21
	s_mul_i32 s21, s10, s17
	s_add_i32 s20, s20, s22
	s_sub_i32 s22, s15, s20
	s_sub_u32 s14, s14, s21
	s_cselect_b32 s21, -1, 0
	s_cmp_lg_u32 s21, 0
	s_subb_u32 s22, s22, s11
	s_sub_u32 s23, s14, s10
	s_cselect_b32 s24, -1, 0
	s_cmp_lg_u32 s24, 0
	s_subb_u32 s22, s22, 0
	s_cmp_ge_u32 s22, s11
	s_cselect_b32 s24, -1, 0
	s_cmp_ge_u32 s23, s10
	s_cselect_b32 s23, -1, 0
	s_cmp_eq_u32 s22, s11
	s_cselect_b32 s22, s23, s24
	s_add_u32 s23, s17, 1
	s_addc_u32 s24, s19, 0
	s_add_u32 s25, s17, 2
	s_addc_u32 s26, s19, 0
	s_cmp_lg_u32 s22, 0
	s_cselect_b32 s22, s25, s23
	s_cselect_b32 s23, s26, s24
	s_cmp_lg_u32 s21, 0
	s_subb_u32 s15, s15, s20
	s_cmp_ge_u32 s15, s11
	s_cselect_b32 s20, -1, 0
	s_cmp_ge_u32 s14, s10
	s_cselect_b32 s10, -1, 0
	s_cmp_eq_u32 s15, s11
	s_cselect_b32 s10, s10, s20
	s_cmp_lg_u32 s10, 0
	s_cselect_b32 s11, s23, s19
	s_cselect_b32 s10, s22, s17
	s_xor_b64 s[12:13], s[12:13], 0
	s_xor_b64 s[10:11], s[10:11], s[12:13]
	s_sub_u32 s10, s10, s12
	s_load_dwordx4 s[12:15], s[4:5], 0x44
	s_andn2_b32 vcc_lo, exec_lo, s16
	s_cbranch_vccnz .LBB39_3
.LBB39_2:
	v_cvt_f32_u32_e32 v1, s9
	s_sub_i32 s11, 0, s9
	v_rcp_iflag_f32_e32 v1, v1
	v_mul_f32_e32 v1, 0x4f7ffffe, v1
	v_cvt_u32_f32_e32 v1, v1
	v_readfirstlane_b32 s10, v1
	s_mul_i32 s11, s11, s10
	s_mul_hi_u32 s11, s10, s11
	s_add_i32 s10, s10, s11
	s_mul_hi_u32 s10, s18, s10
	s_mul_i32 s11, s10, s9
	s_waitcnt lgkmcnt(0)
	s_add_i32 s15, s10, 1
	s_sub_i32 s11, s18, s11
	s_sub_i32 s16, s11, s9
	s_cmp_ge_u32 s11, s9
	s_cselect_b32 s10, s15, s10
	s_cselect_b32 s11, s16, s11
	s_add_i32 s15, s10, 1
	s_cmp_ge_u32 s11, s9
	s_cselect_b32 s10, s15, s10
.LBB39_3:
	s_add_i32 s11, s6, 1
	s_mov_b32 s16, 0
	s_mul_hi_i32 s17, s3, s11
	s_mul_i32 s11, s3, s11
	s_cmp_lg_u64 s[16:17], 0
	s_cbranch_scc0 .LBB39_22
; %bb.4:
	s_add_u32 s18, s9, 0
	s_addc_u32 s19, 0, 0
	s_xor_b64 s[18:19], s[18:19], 0
	v_cvt_f32_u32_e32 v1, s18
	v_cvt_f32_u32_e32 v2, s19
	s_sub_u32 s21, 0, s18
	s_subb_u32 s22, 0, s19
	v_fmamk_f32 v1, v2, 0x4f800000, v1
	v_rcp_f32_e32 v1, v1
	v_mul_f32_e32 v1, 0x5f7ffffc, v1
	v_mul_f32_e32 v2, 0x2f800000, v1
	v_trunc_f32_e32 v2, v2
	v_fmamk_f32 v1, v2, 0xcf800000, v1
	v_cvt_u32_f32_e32 v2, v2
	v_cvt_u32_f32_e32 v1, v1
	s_waitcnt lgkmcnt(0)
	v_readfirstlane_b32 s15, v2
	v_readfirstlane_b32 s20, v1
	s_mul_i32 s23, s21, s15
	s_mul_hi_u32 s25, s21, s20
	s_mul_i32 s24, s22, s20
	s_add_i32 s23, s25, s23
	s_mul_i32 s26, s21, s20
	s_add_i32 s23, s23, s24
	s_mul_hi_u32 s25, s20, s26
	s_mul_i32 s28, s20, s23
	s_mul_hi_u32 s27, s15, s26
	s_mul_i32 s24, s15, s26
	s_mul_hi_u32 s26, s20, s23
	s_add_u32 s25, s25, s28
	s_addc_u32 s26, 0, s26
	s_mul_hi_u32 s29, s15, s23
	s_add_u32 s24, s25, s24
	s_mul_i32 s23, s15, s23
	s_addc_u32 s24, s26, s27
	s_addc_u32 s25, s29, 0
	s_add_u32 s23, s24, s23
	s_addc_u32 s24, 0, s25
	s_add_u32 s20, s20, s23
	s_cselect_b32 s23, -1, 0
	s_mul_hi_u32 s25, s21, s20
	s_cmp_lg_u32 s23, 0
	s_mul_i32 s23, s21, s20
	s_addc_u32 s15, s15, s24
	s_mul_i32 s22, s22, s20
	s_mul_i32 s21, s21, s15
	s_mul_hi_u32 s24, s20, s23
	s_add_i32 s21, s25, s21
	s_mul_hi_u32 s25, s15, s23
	s_add_i32 s21, s21, s22
	s_mul_i32 s22, s15, s23
	s_mul_i32 s27, s20, s21
	s_mul_hi_u32 s26, s20, s21
	s_add_u32 s24, s24, s27
	s_addc_u32 s26, 0, s26
	s_mul_hi_u32 s23, s15, s21
	s_add_u32 s22, s24, s22
	s_mul_i32 s21, s15, s21
	s_addc_u32 s22, s26, s25
	s_addc_u32 s23, s23, 0
	s_add_u32 s21, s22, s21
	s_addc_u32 s22, 0, s23
	s_add_u32 s24, s20, s21
	s_cselect_b32 s20, -1, 0
	s_cmp_lg_u32 s20, 0
	s_addc_u32 s15, s15, s22
	s_ashr_i32 s20, s17, 31
	s_add_u32 s22, s11, s20
	s_mov_b32 s21, s20
	s_addc_u32 s23, s17, s20
	s_xor_b64 s[22:23], s[22:23], s[20:21]
	s_mul_i32 s25, s22, s15
	s_mul_hi_u32 s26, s22, s24
	s_mul_hi_u32 s17, s22, s15
	;; [unrolled: 1-line block ×3, first 2 shown]
	s_mul_i32 s24, s23, s24
	s_add_u32 s25, s26, s25
	s_addc_u32 s17, 0, s17
	s_mul_hi_u32 s27, s23, s15
	s_add_u32 s24, s25, s24
	s_mul_i32 s15, s23, s15
	s_addc_u32 s17, s17, s28
	s_addc_u32 s24, s27, 0
	s_add_u32 s15, s17, s15
	s_addc_u32 s17, 0, s24
	s_mul_hi_u32 s24, s18, s15
	s_mul_i32 s25, s18, s17
	s_mul_i32 s26, s19, s15
	s_add_i32 s24, s24, s25
	s_mul_i32 s25, s18, s15
	s_add_i32 s24, s24, s26
	s_sub_i32 s26, s23, s24
	s_sub_u32 s22, s22, s25
	s_cselect_b32 s25, -1, 0
	s_cmp_lg_u32 s25, 0
	s_subb_u32 s26, s26, s19
	s_sub_u32 s27, s22, s18
	s_cselect_b32 s28, -1, 0
	s_cmp_lg_u32 s28, 0
	s_subb_u32 s26, s26, 0
	s_cmp_ge_u32 s26, s19
	s_cselect_b32 s28, -1, 0
	s_cmp_ge_u32 s27, s18
	s_cselect_b32 s27, -1, 0
	s_cmp_eq_u32 s26, s19
	s_cselect_b32 s26, s27, s28
	s_add_u32 s27, s15, 1
	s_addc_u32 s28, s17, 0
	s_add_u32 s29, s15, 2
	s_addc_u32 s30, s17, 0
	s_cmp_lg_u32 s26, 0
	s_cselect_b32 s26, s29, s27
	s_cselect_b32 s27, s30, s28
	s_cmp_lg_u32 s25, 0
	s_subb_u32 s23, s23, s24
	s_cmp_ge_u32 s23, s19
	s_cselect_b32 s24, -1, 0
	s_cmp_ge_u32 s22, s18
	s_cselect_b32 s18, -1, 0
	s_cmp_eq_u32 s23, s19
	s_cselect_b32 s18, s18, s24
	s_cmp_lg_u32 s18, 0
	s_cselect_b32 s19, s27, s17
	s_cselect_b32 s18, s26, s15
	s_xor_b64 s[20:21], s[20:21], 0
	s_xor_b64 s[18:19], s[18:19], s[20:21]
	s_sub_u32 s18, s18, s20
	s_andn2_b32 vcc_lo, exec_lo, s16
	s_cbranch_vccnz .LBB39_6
.LBB39_5:
	v_cvt_f32_u32_e32 v1, s9
	s_sub_i32 s16, 0, s9
	v_rcp_iflag_f32_e32 v1, v1
	v_mul_f32_e32 v1, 0x4f7ffffe, v1
	v_cvt_u32_f32_e32 v1, v1
	s_waitcnt lgkmcnt(0)
	v_readfirstlane_b32 s15, v1
	s_mul_i32 s16, s16, s15
	s_mul_hi_u32 s16, s15, s16
	s_add_i32 s15, s15, s16
	s_mul_hi_u32 s15, s11, s15
	s_mul_i32 s16, s15, s9
	s_sub_i32 s11, s11, s16
	s_add_i32 s16, s15, 1
	s_sub_i32 s17, s11, s9
	s_cmp_ge_u32 s11, s9
	s_cselect_b32 s15, s16, s15
	s_cselect_b32 s11, s17, s11
	s_add_i32 s16, s15, 1
	s_cmp_ge_u32 s11, s9
	s_cselect_b32 s18, s16, s15
.LBB39_6:
	s_cmp_eq_u32 s10, s18
	s_waitcnt lgkmcnt(0)
	s_mul_hi_u32 s11, s10, s12
	s_cselect_b32 s15, -1, 0
	s_add_i32 s11, s11, s10
	s_lshr_b32 s11, s11, s13
	s_mul_i32 s16, s11, s14
	s_cmp_eq_u32 s16, s10
	s_mul_hi_u32 s16, s18, s12
	s_cselect_b32 s17, -1, 0
	s_add_i32 s16, s16, s18
	s_lshr_b32 s16, s16, s13
	s_cmp_eq_u32 s11, s16
	s_mul_i32 s16, s16, s14
	s_cselect_b32 s19, -1, 0
	s_cmp_lg_u32 s16, s18
	s_cselect_b32 s16, -1, 0
	s_or_b32 s15, s15, s17
	s_and_b32 s16, s19, s16
	s_or_b32 s15, s15, s16
	s_and_b32 vcc_lo, exec_lo, s15
	s_cbranch_vccnz .LBB39_24
; %bb.7:
	s_clause 0x1
	s_load_dwordx8 s[20:27], s[4:5], 0x20
	s_load_dword s16, s[4:5], 0x40
	s_waitcnt lgkmcnt(0)
	s_mul_hi_u32 s15, s10, s20
	s_add_i32 s15, s15, s10
	s_lshr_b32 s15, s15, s21
	s_mul_i32 s17, s15, s22
	s_sub_i32 s17, s10, s17
	s_mul_hi_u32 s18, s17, s23
	s_add_i32 s18, s17, s18
	s_lshr_b32 s21, s18, s24
	s_mul_i32 s18, s21, s25
	s_sub_i32 s17, s17, s18
	s_mul_hi_u32 s18, s17, s26
	s_add_i32 s18, s17, s18
	s_lshr_b32 s18, s18, s27
	s_mul_i32 s16, s18, s16
	s_lshl_b32 s22, s18, 1
	s_sub_i32 s16, s17, s16
	s_mul_hi_u32 s17, s16, s12
	s_add_i32 s16, s16, s17
	s_lshr_b32 s20, s16, s13
	s_lshl_b32 s16, s20, 4
	s_add_i32 s16, s16, s7
	s_cmp_lt_i32 s16, s0
	s_cselect_b32 s16, -1, 0
	s_add_i32 s22, s22, s8
	s_cmp_lt_i32 s22, s2
	s_cselect_b32 s17, -1, 0
	s_and_b32 s16, s16, s17
	s_andn2_b32 vcc_lo, exec_lo, s16
	s_cbranch_vccnz .LBB39_24
; %bb.8:
	s_load_dwordx4 s[16:19], s[4:5], 0x0
	s_mov_b32 s4, 0
	s_lshl_b32 s24, s9, 7
	s_mov_b32 s25, s4
	s_lshl_b32 s5, s7, 1
	s_lshl_b64 s[24:25], s[24:25], 2
	s_mul_i32 s21, s21, s2
	s_mul_i32 s0, s15, s0
	s_add_i32 s2, s5, s8
	v_cvt_f32_u32_e32 v3, s9
	v_rcp_iflag_f32_e32 v3, v3
	s_waitcnt lgkmcnt(0)
	s_add_u32 s8, s18, s24
	s_addc_u32 s15, s19, s25
	s_add_i32 s0, s0, s7
	s_add_i32 s5, s22, s21
	s_mul_i32 s0, s0, s1
	s_mul_i32 s1, s1, s20
	s_add_i32 s0, s5, s0
	s_mulk_i32 s1, 0x480
	s_mulk_i32 s0, 0x48
	v_mul_f32_e32 v7, 0x4f7ffffe, v3
	v_add3_u32 v1, s1, s0, v0
	s_lshl_b32 s0, s6, 5
	s_add_i32 s0, s2, s0
	v_ashrrev_i32_e32 v2, 31, v1
	s_ashr_i32 s1, s0, 31
	s_lshl_b64 s[0:1], s[0:1], 3
	v_lshlrev_b64 v[1:2], 2, v[1:2]
	s_add_u32 s0, s18, s0
	s_addc_u32 s1, s19, s1
	s_load_dwordx2 s[0:1], s[0:1], 0x0
	v_add_co_u32 v1, vcc_lo, s16, v1
	v_add_co_ci_u32_e64 v2, null, s17, v2, vcc_lo
	s_add_i32 s17, s6, -1
	v_mad_u64_u32 v[3:4], null, 0x48, s2, v[0:1]
	global_load_dword v5, v[1:2], off
	v_cvt_u32_f32_e32 v0, v7
	s_sub_i32 s16, 0, s9
	s_waitcnt lgkmcnt(0)
	v_mov_b32_e32 v4, s1
	v_mov_b32_e32 v6, s0
.LBB39_9:                               ; =>This Inner Loop Header: Depth=1
	s_mul_hi_i32 s5, s17, s3
	s_mul_i32 s6, s17, s3
	s_cmp_lg_u64 s[4:5], 0
	s_mov_b32 s7, -1
                                        ; implicit-def: $sgpr0_sgpr1
	s_cbranch_scc0 .LBB39_11
; %bb.10:                               ;   in Loop: Header=BB39_9 Depth=1
	s_add_u32 s0, s9, 0
	s_addc_u32 s1, 0, 0
	s_xor_b64 s[0:1], s[0:1], 0
	v_cvt_f32_u32_e32 v7, s0
	v_cvt_f32_u32_e32 v8, s1
	s_sub_u32 s21, 0, s0
	s_subb_u32 s22, 0, s1
	v_fmac_f32_e32 v7, 0x4f800000, v8
	v_rcp_f32_e32 v7, v7
	v_mul_f32_e32 v7, 0x5f7ffffc, v7
	v_mul_f32_e32 v8, 0x2f800000, v7
	v_trunc_f32_e32 v8, v8
	v_fmac_f32_e32 v7, 0xcf800000, v8
	v_cvt_u32_f32_e32 v8, v8
	v_cvt_u32_f32_e32 v7, v7
	v_readfirstlane_b32 s7, v8
	v_readfirstlane_b32 s20, v7
	s_mul_i32 s23, s21, s7
	s_mul_hi_u32 s25, s21, s20
	s_mul_i32 s24, s22, s20
	s_add_i32 s23, s25, s23
	s_mul_i32 s26, s21, s20
	s_add_i32 s23, s23, s24
	s_mul_hi_u32 s25, s20, s26
	s_mul_i32 s28, s20, s23
	s_mul_hi_u32 s27, s7, s26
	s_mul_i32 s24, s7, s26
	s_mul_hi_u32 s26, s20, s23
	s_add_u32 s25, s25, s28
	s_addc_u32 s26, 0, s26
	s_mul_hi_u32 s29, s7, s23
	s_add_u32 s24, s25, s24
	s_mul_i32 s23, s7, s23
	s_addc_u32 s24, s26, s27
	s_addc_u32 s25, s29, 0
	s_add_u32 s23, s24, s23
	s_addc_u32 s24, 0, s25
	s_add_u32 s20, s20, s23
	s_cselect_b32 s23, -1, 0
	s_mul_hi_u32 s25, s21, s20
	s_cmp_lg_u32 s23, 0
	s_mul_i32 s23, s21, s20
	s_addc_u32 s7, s7, s24
	s_mul_i32 s22, s22, s20
	s_mul_i32 s21, s21, s7
	s_mul_hi_u32 s24, s20, s23
	s_add_i32 s21, s25, s21
	s_mul_hi_u32 s25, s7, s23
	s_add_i32 s21, s21, s22
	s_mul_i32 s22, s7, s23
	s_mul_i32 s27, s20, s21
	s_mul_hi_u32 s26, s20, s21
	s_add_u32 s24, s24, s27
	s_addc_u32 s26, 0, s26
	s_mul_hi_u32 s23, s7, s21
	s_add_u32 s22, s24, s22
	s_mul_i32 s21, s7, s21
	s_addc_u32 s22, s26, s25
	s_addc_u32 s23, s23, 0
	s_add_u32 s21, s22, s21
	s_addc_u32 s22, 0, s23
	s_add_u32 s24, s20, s21
	s_cselect_b32 s20, -1, 0
	s_cmp_lg_u32 s20, 0
	s_addc_u32 s7, s7, s22
	s_ashr_i32 s20, s5, 31
	s_add_u32 s22, s6, s20
	s_mov_b32 s21, s20
	s_addc_u32 s23, s5, s20
	s_xor_b64 s[22:23], s[22:23], s[20:21]
	s_mul_i32 s25, s22, s7
	s_mul_hi_u32 s26, s22, s24
	s_mul_hi_u32 s5, s22, s7
	;; [unrolled: 1-line block ×3, first 2 shown]
	s_mul_i32 s24, s23, s24
	s_add_u32 s25, s26, s25
	s_addc_u32 s5, 0, s5
	s_mul_hi_u32 s27, s23, s7
	s_add_u32 s24, s25, s24
	s_mul_i32 s7, s23, s7
	s_addc_u32 s5, s5, s28
	s_addc_u32 s24, s27, 0
	s_add_u32 s5, s5, s7
	s_addc_u32 s7, 0, s24
	s_mul_hi_u32 s24, s0, s5
	s_mul_i32 s25, s0, s7
	s_mul_i32 s26, s1, s5
	s_add_i32 s24, s24, s25
	s_mul_i32 s25, s0, s5
	s_add_i32 s24, s24, s26
	s_sub_i32 s26, s23, s24
	s_sub_u32 s22, s22, s25
	s_cselect_b32 s25, -1, 0
	s_cmp_lg_u32 s25, 0
	s_subb_u32 s26, s26, s1
	s_sub_u32 s27, s22, s0
	s_cselect_b32 s28, -1, 0
	s_cmp_lg_u32 s28, 0
	s_subb_u32 s26, s26, 0
	s_cmp_ge_u32 s26, s1
	s_cselect_b32 s28, -1, 0
	s_cmp_ge_u32 s27, s0
	s_cselect_b32 s27, -1, 0
	s_cmp_eq_u32 s26, s1
	s_cselect_b32 s26, s27, s28
	s_add_u32 s27, s5, 1
	s_addc_u32 s28, s7, 0
	s_add_u32 s29, s5, 2
	s_addc_u32 s30, s7, 0
	s_cmp_lg_u32 s26, 0
	s_cselect_b32 s26, s29, s27
	s_cselect_b32 s27, s30, s28
	s_cmp_lg_u32 s25, 0
	s_subb_u32 s23, s23, s24
	s_cmp_ge_u32 s23, s1
	s_cselect_b32 s24, -1, 0
	s_cmp_ge_u32 s22, s0
	s_cselect_b32 s0, -1, 0
	s_cmp_eq_u32 s23, s1
	s_cselect_b32 s0, s0, s24
	s_cmp_lg_u32 s0, 0
	s_cselect_b32 s1, s27, s7
	s_cselect_b32 s0, s26, s5
	s_xor_b64 s[20:21], s[20:21], 0
	s_mov_b32 s7, 0
	s_xor_b64 s[0:1], s[0:1], s[20:21]
	s_sub_u32 s0, s0, s20
.LBB39_11:                              ;   in Loop: Header=BB39_9 Depth=1
	s_andn2_b32 vcc_lo, exec_lo, s7
	s_cbranch_vccnz .LBB39_13
; %bb.12:                               ;   in Loop: Header=BB39_9 Depth=1
	v_readfirstlane_b32 s0, v0
	s_mul_i32 s1, s16, s0
	s_mul_hi_u32 s1, s0, s1
	s_add_i32 s0, s0, s1
	s_mul_hi_u32 s0, s6, s0
	s_mul_i32 s1, s0, s9
	s_add_i32 s5, s0, 1
	s_sub_i32 s1, s6, s1
	s_sub_i32 s6, s1, s9
	s_cmp_ge_u32 s1, s9
	s_cselect_b32 s0, s5, s0
	s_cselect_b32 s1, s6, s1
	s_add_i32 s5, s0, 1
	s_cmp_ge_u32 s1, s9
	s_cselect_b32 s0, s5, s0
.LBB39_13:                              ;   in Loop: Header=BB39_9 Depth=1
	s_cmp_lg_u32 s10, s0
	s_mov_b32 s6, -1
                                        ; implicit-def: $sgpr5
                                        ; implicit-def: $vgpr8
                                        ; implicit-def: $vgpr7
                                        ; implicit-def: $vgpr9
                                        ; implicit-def: $sgpr1
                                        ; implicit-def: $sgpr20
	s_cbranch_scc0 .LBB39_18
; %bb.14:                               ;   in Loop: Header=BB39_9 Depth=1
	s_add_i32 s1, s17, s9
	s_mov_b32 s7, s4
	s_lshl_b32 s1, s1, 5
	s_mov_b32 s20, s10
	s_add_i32 s6, s1, s2
	s_mul_hi_u32 s1, s0, s12
	s_lshl_b64 s[6:7], s[6:7], 3
	s_add_u32 s6, s18, s6
	s_addc_u32 s7, s19, s7
	s_add_i32 s1, s1, s0
	s_lshr_b32 s1, s1, s13
	s_mul_i32 s5, s1, s14
	s_cmp_eq_u32 s5, s0
	s_cselect_b32 s5, -1, 0
	s_cmp_lt_u32 s1, s11
	s_cselect_b32 s1, -1, 0
	s_or_b32 s1, s1, s5
	s_mov_b32 s5, -1
	s_and_b32 vcc_lo, exec_lo, s1
	s_mov_b32 s1, s17
	s_cbranch_vccnz .LBB39_16
; %bb.15:                               ;   in Loop: Header=BB39_9 Depth=1
	s_add_i32 s1, s17, -1
	s_mov_b32 s5, 0
	s_mov_b32 s20, s0
.LBB39_16:                              ;   in Loop: Header=BB39_9 Depth=1
	v_mad_u64_u32 v[7:8], null, 0x900, s17, v[3:4]
	s_load_dwordx2 s[6:7], s[6:7], 0x0
	v_ashrrev_i32_e32 v8, 31, v7
	v_lshlrev_b64 v[7:8], 2, v[7:8]
	v_add_co_u32 v7, vcc_lo, s8, v7
	v_add_co_ci_u32_e64 v8, null, s15, v8, vcc_lo
	s_waitcnt lgkmcnt(0)
	v_max_f32_e64 v9, s6, s6
	global_load_dword v8, v[7:8], off
	v_max_f32_e32 v7, v6, v6
	v_max_f32_e32 v7, v7, v9
	v_sub_f32_e32 v9, s6, v7
	v_sub_f32_e32 v10, v6, v7
	v_mul_f32_e32 v11, 0x3fb8aa3b, v9
	v_mul_f32_e32 v12, 0x3fb8aa3b, v10
	v_cmp_ngt_f32_e32 vcc_lo, 0xc2ce8ed0, v9
	v_fma_f32 v13, 0x3fb8aa3b, v9, -v11
	v_rndne_f32_e32 v14, v11
	v_fma_f32 v15, 0x3fb8aa3b, v10, -v12
	v_rndne_f32_e32 v16, v12
	v_fmac_f32_e32 v13, 0x32a5705f, v9
	v_sub_f32_e32 v11, v11, v14
	v_fmac_f32_e32 v15, 0x32a5705f, v10
	v_sub_f32_e32 v12, v12, v16
	v_add_f32_e32 v11, v11, v13
	v_cvt_i32_f32_e32 v13, v14
	v_add_f32_e32 v12, v12, v15
	v_cvt_i32_f32_e32 v14, v16
	v_exp_f32_e32 v11, v11
	v_exp_f32_e32 v12, v12
	v_ldexp_f32 v11, v11, v13
	v_ldexp_f32 v12, v12, v14
	v_cndmask_b32_e32 v11, 0, v11, vcc_lo
	v_cmp_ngt_f32_e32 vcc_lo, 0xc2ce8ed0, v10
	v_cndmask_b32_e32 v12, 0, v12, vcc_lo
	v_cmp_nlt_f32_e32 vcc_lo, 0x42b17218, v9
	v_cndmask_b32_e32 v11, 0x7f800000, v11, vcc_lo
	v_cmp_nlt_f32_e32 vcc_lo, 0x42b17218, v10
	v_cndmask_b32_e32 v12, 0x7f800000, v12, vcc_lo
	v_cmp_le_f32_e32 vcc_lo, 0xc1a00000, v9
	v_cndmask_b32_e32 v9, 0, v11, vcc_lo
	v_cmp_le_f32_e32 vcc_lo, 0xc1a00000, v10
	v_cndmask_b32_e32 v10, 0, v12, vcc_lo
	s_waitcnt vmcnt(0)
	v_mul_f32_e32 v8, v8, v9
	v_mul_f32_e32 v9, s7, v9
	v_fmac_f32_e32 v8, v5, v10
	v_fmac_f32_e32 v9, v4, v10
	s_cbranch_execz .LBB39_19
.LBB39_17:                              ;   in Loop: Header=BB39_9 Depth=1
	s_andn2_b32 vcc_lo, exec_lo, s5
	s_cbranch_vccnz .LBB39_20
	s_branch .LBB39_23
.LBB39_18:                              ;   in Loop: Header=BB39_9 Depth=1
	s_andn2_b32 vcc_lo, exec_lo, s6
	s_cbranch_vccnz .LBB39_17
.LBB39_19:                              ;   in Loop: Header=BB39_9 Depth=1
	v_mov_b32_e32 v9, v4
	v_mov_b32_e32 v7, v6
	s_waitcnt vmcnt(0)
	v_mov_b32_e32 v8, v5
	s_add_i32 s1, s17, -1
	s_mov_b32 s20, s10
	s_cbranch_execz .LBB39_23
.LBB39_20:                              ;   in Loop: Header=BB39_9 Depth=1
	v_mov_b32_e32 v4, v9
	v_mov_b32_e32 v6, v7
	s_waitcnt vmcnt(0)
	v_mov_b32_e32 v5, v8
	s_mov_b32 s10, s20
	s_mov_b32 s17, s1
	s_branch .LBB39_9
.LBB39_21:
                                        ; implicit-def: $sgpr10_sgpr11
	s_load_dwordx4 s[12:15], s[4:5], 0x44
	s_branch .LBB39_2
.LBB39_22:
                                        ; implicit-def: $sgpr18_sgpr19
	s_branch .LBB39_5
.LBB39_23:
	v_div_scale_f32 v0, null, v9, v9, v8
	v_rcp_f32_e32 v3, v0
	v_fma_f32 v4, -v0, v3, 1.0
	v_fmac_f32_e32 v3, v4, v3
	v_div_scale_f32 v4, vcc_lo, v8, v9, v8
	s_waitcnt vmcnt(0)
	v_mul_f32_e32 v5, v4, v3
	v_fma_f32 v6, -v0, v5, v4
	v_fmac_f32_e32 v5, v6, v3
	v_fma_f32 v0, -v0, v5, v4
	v_div_fmas_f32 v0, v0, v3, v5
	v_div_fixup_f32 v0, v0, v9, v8
	global_store_dword v[1:2], v0, off
.LBB39_24:
	s_endpgm
	.section	.rodata,"a",@progbits
	.p2align	6, 0x0
	.amdhsa_kernel _ZL33flash_attn_stream_k_fixup_generalILi72ELi16ELi2EEvPfPK15HIP_vector_typeIfLj2EEiiiiS1_IjLj3EES5_S5_S5_
		.amdhsa_group_segment_fixed_size 0
		.amdhsa_private_segment_fixed_size 0
		.amdhsa_kernarg_size 336
		.amdhsa_user_sgpr_count 6
		.amdhsa_user_sgpr_private_segment_buffer 1
		.amdhsa_user_sgpr_dispatch_ptr 0
		.amdhsa_user_sgpr_queue_ptr 0
		.amdhsa_user_sgpr_kernarg_segment_ptr 1
		.amdhsa_user_sgpr_dispatch_id 0
		.amdhsa_user_sgpr_flat_scratch_init 0
		.amdhsa_user_sgpr_private_segment_size 0
		.amdhsa_wavefront_size32 1
		.amdhsa_uses_dynamic_stack 0
		.amdhsa_system_sgpr_private_segment_wavefront_offset 0
		.amdhsa_system_sgpr_workgroup_id_x 1
		.amdhsa_system_sgpr_workgroup_id_y 1
		.amdhsa_system_sgpr_workgroup_id_z 1
		.amdhsa_system_sgpr_workgroup_info 0
		.amdhsa_system_vgpr_workitem_id 0
		.amdhsa_next_free_vgpr 17
		.amdhsa_next_free_sgpr 31
		.amdhsa_reserve_vcc 1
		.amdhsa_reserve_flat_scratch 0
		.amdhsa_float_round_mode_32 0
		.amdhsa_float_round_mode_16_64 0
		.amdhsa_float_denorm_mode_32 3
		.amdhsa_float_denorm_mode_16_64 3
		.amdhsa_dx10_clamp 1
		.amdhsa_ieee_mode 1
		.amdhsa_fp16_overflow 0
		.amdhsa_workgroup_processor_mode 1
		.amdhsa_memory_ordered 1
		.amdhsa_forward_progress 1
		.amdhsa_shared_vgpr_count 0
		.amdhsa_exception_fp_ieee_invalid_op 0
		.amdhsa_exception_fp_denorm_src 0
		.amdhsa_exception_fp_ieee_div_zero 0
		.amdhsa_exception_fp_ieee_overflow 0
		.amdhsa_exception_fp_ieee_underflow 0
		.amdhsa_exception_fp_ieee_inexact 0
		.amdhsa_exception_int_div_zero 0
	.end_amdhsa_kernel
	.section	.text._ZL33flash_attn_stream_k_fixup_generalILi72ELi16ELi2EEvPfPK15HIP_vector_typeIfLj2EEiiiiS1_IjLj3EES5_S5_S5_,"axG",@progbits,_ZL33flash_attn_stream_k_fixup_generalILi72ELi16ELi2EEvPfPK15HIP_vector_typeIfLj2EEiiiiS1_IjLj3EES5_S5_S5_,comdat
.Lfunc_end39:
	.size	_ZL33flash_attn_stream_k_fixup_generalILi72ELi16ELi2EEvPfPK15HIP_vector_typeIfLj2EEiiiiS1_IjLj3EES5_S5_S5_, .Lfunc_end39-_ZL33flash_attn_stream_k_fixup_generalILi72ELi16ELi2EEvPfPK15HIP_vector_typeIfLj2EEiiiiS1_IjLj3EES5_S5_S5_
                                        ; -- End function
	.set _ZL33flash_attn_stream_k_fixup_generalILi72ELi16ELi2EEvPfPK15HIP_vector_typeIfLj2EEiiiiS1_IjLj3EES5_S5_S5_.num_vgpr, 17
	.set _ZL33flash_attn_stream_k_fixup_generalILi72ELi16ELi2EEvPfPK15HIP_vector_typeIfLj2EEiiiiS1_IjLj3EES5_S5_S5_.num_agpr, 0
	.set _ZL33flash_attn_stream_k_fixup_generalILi72ELi16ELi2EEvPfPK15HIP_vector_typeIfLj2EEiiiiS1_IjLj3EES5_S5_S5_.numbered_sgpr, 31
	.set _ZL33flash_attn_stream_k_fixup_generalILi72ELi16ELi2EEvPfPK15HIP_vector_typeIfLj2EEiiiiS1_IjLj3EES5_S5_S5_.num_named_barrier, 0
	.set _ZL33flash_attn_stream_k_fixup_generalILi72ELi16ELi2EEvPfPK15HIP_vector_typeIfLj2EEiiiiS1_IjLj3EES5_S5_S5_.private_seg_size, 0
	.set _ZL33flash_attn_stream_k_fixup_generalILi72ELi16ELi2EEvPfPK15HIP_vector_typeIfLj2EEiiiiS1_IjLj3EES5_S5_S5_.uses_vcc, 1
	.set _ZL33flash_attn_stream_k_fixup_generalILi72ELi16ELi2EEvPfPK15HIP_vector_typeIfLj2EEiiiiS1_IjLj3EES5_S5_S5_.uses_flat_scratch, 0
	.set _ZL33flash_attn_stream_k_fixup_generalILi72ELi16ELi2EEvPfPK15HIP_vector_typeIfLj2EEiiiiS1_IjLj3EES5_S5_S5_.has_dyn_sized_stack, 0
	.set _ZL33flash_attn_stream_k_fixup_generalILi72ELi16ELi2EEvPfPK15HIP_vector_typeIfLj2EEiiiiS1_IjLj3EES5_S5_S5_.has_recursion, 0
	.set _ZL33flash_attn_stream_k_fixup_generalILi72ELi16ELi2EEvPfPK15HIP_vector_typeIfLj2EEiiiiS1_IjLj3EES5_S5_S5_.has_indirect_call, 0
	.section	.AMDGPU.csdata,"",@progbits
; Kernel info:
; codeLenInByte = 2948
; TotalNumSgprs: 33
; NumVgprs: 17
; ScratchSize: 0
; MemoryBound: 0
; FloatMode: 240
; IeeeMode: 1
; LDSByteSize: 0 bytes/workgroup (compile time only)
; SGPRBlocks: 0
; VGPRBlocks: 2
; NumSGPRsForWavesPerEU: 33
; NumVGPRsForWavesPerEU: 17
; Occupancy: 16
; WaveLimiterHint : 0
; COMPUTE_PGM_RSRC2:SCRATCH_EN: 0
; COMPUTE_PGM_RSRC2:USER_SGPR: 6
; COMPUTE_PGM_RSRC2:TRAP_HANDLER: 0
; COMPUTE_PGM_RSRC2:TGID_X_EN: 1
; COMPUTE_PGM_RSRC2:TGID_Y_EN: 1
; COMPUTE_PGM_RSRC2:TGID_Z_EN: 1
; COMPUTE_PGM_RSRC2:TIDIG_COMP_CNT: 0
	.section	.text._ZL15flash_attn_tileILi72ELi72ELi8ELi2ELb0EEvPKcS1_S1_S1_S1_PKiPfP15HIP_vector_typeIfLj2EEffffjfiS5_IjLj3EEiiiiiiiiiiiliiliiiiil,"axG",@progbits,_ZL15flash_attn_tileILi72ELi72ELi8ELi2ELb0EEvPKcS1_S1_S1_S1_PKiPfP15HIP_vector_typeIfLj2EEffffjfiS5_IjLj3EEiiiiiiiiiiiliiliiiiil,comdat
	.globl	_ZL15flash_attn_tileILi72ELi72ELi8ELi2ELb0EEvPKcS1_S1_S1_S1_PKiPfP15HIP_vector_typeIfLj2EEffffjfiS5_IjLj3EEiiiiiiiiiiiliiliiiiil ; -- Begin function _ZL15flash_attn_tileILi72ELi72ELi8ELi2ELb0EEvPKcS1_S1_S1_S1_PKiPfP15HIP_vector_typeIfLj2EEffffjfiS5_IjLj3EEiiiiiiiiiiiliiliiiiil
	.p2align	8
	.type	_ZL15flash_attn_tileILi72ELi72ELi8ELi2ELb0EEvPKcS1_S1_S1_S1_PKiPfP15HIP_vector_typeIfLj2EEffffjfiS5_IjLj3EEiiiiiiiiiiiliiliiiiil,@function
_ZL15flash_attn_tileILi72ELi72ELi8ELi2ELb0EEvPKcS1_S1_S1_S1_PKiPfP15HIP_vector_typeIfLj2EEffffjfiS5_IjLj3EEiiiiiiiiiiiliiliiiiil: ; @_ZL15flash_attn_tileILi72ELi72ELi8ELi2ELb0EEvPKcS1_S1_S1_S1_PKiPfP15HIP_vector_typeIfLj2EEffffjfiS5_IjLj3EEiiiiiiiiiiiliiliiiiil
; %bb.0:
	s_clause 0x1
	s_load_dwordx4 s[24:27], s[4:5], 0x5c
	s_load_dwordx2 s[36:37], s[4:5], 0x80
	s_mov_b32 s34, s7
	s_mov_b64 s[38:39], 0
	s_waitcnt lgkmcnt(0)
	s_lshr_b32 s0, s27, 31
	s_add_i32 s0, s27, s0
	s_ashr_i32 s0, s0, 1
	v_cvt_f32_u32_e32 v2, s0
	s_sub_i32 s2, 0, s0
	v_rcp_iflag_f32_e32 v2, v2
	v_mul_f32_e32 v2, 0x4f7ffffe, v2
	v_cvt_u32_f32_e32 v2, v2
	v_readfirstlane_b32 s1, v2
	s_mul_i32 s2, s2, s1
	s_mul_hi_u32 s2, s1, s2
	s_add_i32 s1, s1, s2
	s_mul_hi_u32 s1, s8, s1
	s_mul_i32 s2, s1, s0
	s_add_i32 s3, s1, 1
	s_sub_i32 s2, s8, s2
	s_sub_i32 s7, s2, s0
	s_cmp_ge_u32 s2, s0
	s_cselect_b32 s1, s3, s1
	s_cselect_b32 s2, s7, s2
	s_add_i32 s3, s1, 1
	s_cmp_ge_u32 s2, s0
	s_cselect_b32 s33, s3, s1
	s_abs_i32 s0, s37
	s_abs_i32 s3, s27
	v_cvt_f32_u32_e32 v2, s0
	s_sub_i32 s2, 0, s0
	s_lshl_b32 s28, s8, 1
	s_mul_i32 s29, s33, s27
	v_rcp_iflag_f32_e32 v2, v2
	v_mul_f32_e32 v2, 0x4f7ffffe, v2
	v_cvt_u32_f32_e32 v2, v2
	v_readfirstlane_b32 s1, v2
	s_mul_i32 s2, s2, s1
	s_mul_hi_u32 s2, s1, s2
	s_add_i32 s1, s1, s2
	s_xor_b32 s2, s27, s37
	s_mul_hi_u32 s1, s3, s1
	s_ashr_i32 s2, s2, 31
	s_mul_i32 s7, s1, s0
	s_sub_i32 s3, s3, s7
	s_add_i32 s7, s1, 1
	s_sub_i32 s8, s3, s0
	s_cmp_ge_u32 s3, s0
	s_cselect_b32 s1, s7, s1
	s_cselect_b32 s3, s8, s3
	s_add_i32 s7, s1, 1
	s_cmp_ge_u32 s3, s0
	s_cselect_b32 s0, s7, s1
	s_xor_b32 s0, s0, s2
	s_sub_i32 s3, s0, s2
	s_clause 0x1
	s_load_dwordx16 s[8:23], s[4:5], 0x0
	s_load_dwordx2 s[0:1], s[4:5], 0xb8
	s_abs_i32 s2, s3
	v_cvt_f32_u32_e32 v2, s2
	v_rcp_iflag_f32_e32 v2, v2
	v_mul_f32_e32 v2, 0x4f7ffffe, v2
	s_waitcnt lgkmcnt(0)
	s_cmp_eq_u64 s[14:15], 0
	v_cvt_u32_f32_e32 v2, v2
	v_readfirstlane_b32 s7, v2
	s_cbranch_scc1 .LBB40_2
; %bb.1:
	s_abs_i32 s0, s0
	s_abs_i32 s35, s33
	v_cvt_f32_u32_e32 v2, s0
	s_sub_i32 s31, 0, s0
	v_rcp_iflag_f32_e32 v2, v2
	v_mul_f32_e32 v2, 0x4f7ffffe, v2
	v_cvt_u32_f32_e32 v2, v2
	v_readfirstlane_b32 s30, v2
	s_mul_i32 s31, s31, s30
	s_mul_hi_u32 s31, s30, s31
	s_add_i32 s30, s30, s31
	s_mul_hi_u32 s37, s35, s30
	s_load_dwordx2 s[30:31], s[4:5], 0xc8
	s_mul_i32 s37, s37, s0
	s_sub_i32 s35, s35, s37
	s_ashr_i32 s37, s33, 31
	s_sub_i32 s38, s35, s0
	s_cmp_ge_u32 s35, s0
	s_cselect_b32 s35, s38, s35
	s_sub_i32 s38, s35, s0
	s_cmp_ge_u32 s35, s0
	s_cselect_b32 s0, s38, s35
	s_xor_b32 s0, s0, s37
	s_sub_i32 s0, s0, s37
	s_ashr_i32 s35, s0, 31
	s_waitcnt lgkmcnt(0)
	s_mul_hi_u32 s37, s30, s0
	s_mul_i32 s35, s30, s35
	s_mul_i32 s31, s31, s0
	s_add_i32 s35, s37, s35
	s_mul_i32 s0, s30, s0
	s_add_i32 s35, s35, s31
	s_add_u32 s38, s14, s0
	s_addc_u32 s39, s15, s35
.LBB40_2:
	v_lshl_add_u32 v3, s6, 3, v1
	v_cmp_gt_u32_e64 s0, 18, v0
	v_lshlrev_b32_e32 v15, 3, v0
	s_sub_i32 s14, s28, s29
	v_mul_hi_u32 v2, s24, v3
	v_add_nc_u32_e32 v2, v3, v2
	v_lshrrev_b32_e32 v2, s25, v2
	v_mul_lo_u32 v4, v2, s26
	v_lshlrev_b32_e32 v2, 2, v0
	v_sub_nc_u32_e32 v4, v3, v4
	s_and_saveexec_b32 s15, s0
	s_cbranch_execz .LBB40_4
; %bb.3:
	s_load_dwordx4 s[28:31], s[4:5], 0x70
	s_waitcnt lgkmcnt(0)
	s_mul_i32 s25, s33, s30
	s_mul_i32 s30, s14, s29
	s_ashr_i32 s31, s25, 31
	s_add_u32 s8, s8, s25
	s_addc_u32 s9, s9, s31
	s_ashr_i32 s25, s30, 31
	s_add_u32 s30, s8, s30
	s_mov_b32 s24, s28
	s_addc_u32 s31, s9, s25
	s_ashr_i32 s25, s28, 31
	s_lshr_b64 s[8:9], s[24:25], 2
	s_and_b32 s9, s29, -4
	v_mad_u64_u32 v[5:6], null, s8, v4, 0
	s_lshr_b32 s8, s25, 2
	v_mad_u64_u32 v[6:7], null, s8, v4, v[6:7]
	v_lshlrev_b32_e32 v7, 2, v2
	s_ashr_i32 s8, s29, 31
	v_lshlrev_b64 v[5:6], 2, v[5:6]
	v_add_co_u32 v5, vcc_lo, s30, v5
	v_add_co_ci_u32_e64 v6, null, s31, v6, vcc_lo
	v_add_co_u32 v9, vcc_lo, v5, v7
	v_add_co_ci_u32_e64 v10, null, 0, v6, vcc_lo
	global_load_dwordx4 v[5:8], v[9:10], off
	v_add_co_u32 v9, vcc_lo, v9, s9
	v_add_co_ci_u32_e64 v10, null, s8, v10, vcc_lo
	s_load_dword s8, s[4:5], 0x40
	global_load_dwordx4 v[9:12], v[9:10], off
	s_waitcnt vmcnt(1) lgkmcnt(0)
	v_fma_mixlo_f16 v6, s8, v6, 0
	v_fma_mixlo_f16 v5, s8, v5, 0
	;; [unrolled: 1-line block ×4, first 2 shown]
	v_lshlrev_b32_e32 v6, 16, v6
	v_and_b32_e32 v5, 0xffff, v5
	v_and_b32_e32 v7, 0xffff, v7
	s_waitcnt vmcnt(0)
	v_fma_mixlo_f16 v10, s8, v10, 0
	v_fma_mixlo_f16 v9, s8, v9, 0
	;; [unrolled: 1-line block ×4, first 2 shown]
	v_lshlrev_b32_e32 v8, 16, v8
	v_lshlrev_b32_e32 v10, 16, v10
	v_and_b32_e32 v9, 0xffff, v9
	v_or_b32_e32 v5, v6, v5
	v_lshlrev_b32_e32 v12, 16, v12
	v_and_b32_e32 v11, 0xffff, v11
	v_or3_b32 v6, v8, v7, 0
	v_or_b32_e32 v9, v10, v9
	v_mad_u32_u24 v10, 0x120, v1, v15
	v_or3_b32 v5, 0, 0, v5
	v_or3_b32 v8, v12, v11, 0
	;; [unrolled: 1-line block ×3, first 2 shown]
	v_add_nc_u32_e32 v9, 0x1000, v10
	ds_write2_b64 v9, v[5:6], v[7:8] offset0:156 offset1:174
.LBB40_4:
	s_or_b32 exec_lo, exec_lo, s15
	s_cmp_eq_u64 s[18:19], 0
	s_waitcnt lgkmcnt(0)
	s_barrier
	buffer_gl0_inv
	s_cbranch_scc1 .LBB40_6
; %bb.5:
	s_load_dword s8, s[4:5], 0xd0
	s_mov_b32 s9, 0
	s_waitcnt lgkmcnt(0)
	s_mul_i32 s8, s8, s33
	s_add_i32 s8, s8, s6
	s_lshl_b64 s[8:9], s[8:9], 2
	s_add_u32 s8, s18, s8
	s_addc_u32 s9, s19, s9
	s_load_dword s36, s[8:9], 0x0
.LBB40_6:
	v_mbcnt_lo_u32_b32 v16, -1, 0
	s_lshl_b32 s15, s34, 5
	s_waitcnt lgkmcnt(0)
	s_cmp_lt_i32 s15, s36
	s_cbranch_scc1 .LBB40_9
; %bb.7:
	v_mbcnt_lo_u32_b32 v5, -1, 0
	v_mov_b32_e32 v17, 32
	v_xor_b32_e32 v22, 16, v5
	v_xor_b32_e32 v21, 8, v5
	;; [unrolled: 1-line block ×5, first 2 shown]
	s_cbranch_execz .LBB40_10
; %bb.8:
	v_mov_b32_e32 v23, 0
	v_mov_b32_e32 v36, 0
	;; [unrolled: 1-line block ×8, first 2 shown]
	s_branch .LBB40_18
.LBB40_9:
                                        ; implicit-def: $vgpr5
                                        ; implicit-def: $vgpr17
                                        ; implicit-def: $vgpr22
                                        ; implicit-def: $vgpr21
                                        ; implicit-def: $vgpr20
                                        ; implicit-def: $vgpr19
                                        ; implicit-def: $vgpr18
.LBB40_10:
	s_clause 0x1
	s_load_dwordx4 s[28:31], s[4:5], 0x98
	s_load_dwordx2 s[8:9], s[4:5], 0x8c
	s_sub_i32 s6, 0, s2
	s_abs_i32 s35, s14
	s_mul_i32 s6, s6, s7
	s_load_dwordx2 s[24:25], s[4:5], 0xa8
	s_mul_hi_u32 s6, s7, s6
	s_ashr_i32 s37, s14, 31
	s_add_i32 s7, s7, s6
	s_ashr_i32 s3, s3, 31
	s_mul_hi_u32 s6, s35, s7
	s_ashr_i32 s7, s33, 31
	s_ashr_i32 s1, s1, 1
	s_mul_i32 s40, s6, s2
	v_lshrrev_b32_e32 v5, 3, v0
	v_lshl_add_u32 v14, v1, 5, v0
	v_and_b32_e32 v17, 28, v2
	v_lshl_add_u32 v29, v1, 7, 0x1de0
	v_mov_b32_e32 v27, 0
	v_lshl_add_u32 v6, v1, 2, v5
	s_waitcnt lgkmcnt(0)
	s_ashr_i32 s18, s30, 2
	s_ashr_i32 s19, s8, 2
	s_mul_hi_u32 s8, s28, s33
	s_mul_i32 s30, s28, s7
	s_mul_i32 s29, s29, s33
	s_add_i32 s8, s8, s30
	s_mul_i32 s28, s28, s33
	s_add_i32 s8, s8, s29
	s_add_u32 s10, s10, s28
	s_addc_u32 s8, s11, s8
	s_sub_i32 s11, s35, s40
	s_xor_b32 s3, s37, s3
	s_add_i32 s28, s6, 1
	s_sub_i32 s29, s11, s2
	s_cmp_ge_u32 s11, s2
	v_mul_lo_u32 v7, s19, v6
	s_cselect_b32 s6, s28, s6
	s_cselect_b32 s11, s29, s11
	s_add_i32 s28, s6, 1
	s_cmp_ge_u32 s11, s2
	v_mul_lo_u32 v9, s19, v14
	s_cselect_b32 s2, s28, s6
	s_mul_hi_u32 s6, s24, s33
	s_xor_b32 s2, s2, s3
	v_mul_lo_u32 v11, s18, v14
	s_sub_i32 s2, s2, s3
	s_mul_i32 s3, s24, s7
	s_mul_i32 s7, s2, s9
	v_mul_lo_u32 v13, s18, v6
	s_ashr_i32 s11, s7, 31
	s_add_u32 s10, s10, s7
	s_mul_i32 s9, s25, s33
	s_addc_u32 s11, s8, s11
	s_add_i32 s3, s6, s3
	s_mul_i32 s6, s24, s33
	s_add_i32 s3, s3, s9
	s_mul_i32 s2, s2, s31
	s_add_u32 s6, s12, s6
	s_addc_u32 s3, s13, s3
	s_ashr_i32 s7, s2, 31
	s_add_u32 s12, s6, s2
	s_movk_i32 s2, 0x80
	v_mad_u64_u32 v[4:5], null, v4, s1, v[0:1]
	s_movk_i32 s1, 0x90
	v_lshlrev_b32_e32 v18, 2, v17
	v_cmp_gt_u32_e32 vcc_lo, 32, v14
	v_ashrrev_i32_e32 v8, 31, v7
	v_ashrrev_i32_e32 v10, 31, v9
	v_mad_u32_u24 v26, 0xa0, v14, s2
	v_ashrrev_i32_e32 v12, 31, v11
	v_mad_u32_u24 v30, v14, s1, 0x80
	v_ashrrev_i32_e32 v14, 31, v13
	s_movk_i32 s2, 0x120
	v_mad_u32_u24 v24, 0xa0, v6, v18
	v_mad_u32_u24 v31, 0x90, v6, v18
	v_lshlrev_b64 v[5:6], 2, v[9:10]
	v_lshlrev_b64 v[7:8], 2, v[7:8]
	;; [unrolled: 1-line block ×4, first 2 shown]
	v_mul_u32_u24_e32 v25, 0xa0, v0
	v_mad_u32_u24 v28, v1, s2, 0x14e0
	v_mov_b32_e32 v40, 0xfeffffff
	v_lshlrev_b32_e32 v32, 2, v17
	v_mov_b32_e32 v17, 32
	v_xor_b32_e32 v22, 16, v16
	v_xor_b32_e32 v21, 8, v16
	;; [unrolled: 1-line block ×5, first 2 shown]
	v_add_nc_u32_e32 v33, v29, v2
	v_mov_b32_e32 v34, 0x10001
	v_mov_b32_e32 v1, 0
	;; [unrolled: 1-line block ×7, first 2 shown]
	s_addc_u32 s13, s3, s7
	s_add_u32 s8, s4, 0xd0
	s_addc_u32 s9, s5, 0
.LBB40_11:                              ; =>This Inner Loop Header: Depth=1
	s_mul_hi_i32 s3, s15, s19
	s_mul_i32 s2, s15, s19
	s_lshl_b64 s[2:3], s[2:3], 2
	s_add_u32 s2, s10, s2
	s_addc_u32 s3, s11, s3
	s_and_saveexec_b32 s6, vcc_lo
	s_cbranch_execz .LBB40_13
; %bb.12:                               ;   in Loop: Header=BB40_11 Depth=1
	v_add_co_u32 v13, s1, s2, v5
	v_add_co_ci_u32_e64 v14, null, s3, v6, s1
	global_load_dwordx4 v[42:45], v[13:14], off offset:128
	s_waitcnt vmcnt(0)
	ds_write_b128 v26, v[42:45]
.LBB40_13:                              ;   in Loop: Header=BB40_11 Depth=1
	s_or_b32 exec_lo, exec_lo, s6
	v_add_co_u32 v13, s1, s2, v7
	v_add_co_ci_u32_e64 v14, null, s3, v8, s1
	v_mov_b32_e32 v36, 0
	v_add_co_u32 v13, s1, v13, v32
	v_add_co_ci_u32_e64 v14, null, 0, v14, s1
	v_mov_b32_e32 v37, 0
	s_mul_hi_i32 s25, s15, s18
	s_mul_i32 s24, s15, s18
	global_load_dwordx4 v[42:45], v[13:14], off
	v_add_nc_u32_e32 v13, s15, v4
	s_lshl_b64 s[24:25], s[24:25], 2
	s_add_u32 s24, s12, s24
	s_addc_u32 s25, s13, s25
	v_ashrrev_i32_e32 v14, 31, v13
	v_lshlrev_b64 v[13:14], 1, v[13:14]
	v_add_co_u32 v13, s1, s38, v13
	v_add_co_ci_u32_e64 v14, null, s39, v14, s1
	v_cmp_gt_i32_e64 s1, 32, v22
	s_waitcnt vmcnt(0)
	ds_write_b128 v24, v[42:45]
	s_waitcnt lgkmcnt(0)
	s_barrier
	buffer_gl0_inv
	ds_read_b128 v[42:45], v25
	ds_read_b128 v[46:49], v28
	ds_read_b128 v[50:53], v28 offset:144
	s_waitcnt lgkmcnt(1)
	;;#ASMSTART
	v_dot2_f32_f16 v36, v42, v46, v36
	;;#ASMEND
	;;#ASMSTART
	v_dot2_f32_f16 v36, v43, v47, v36
	;;#ASMEND
	;;#ASMSTART
	v_dot2_f32_f16 v36, v44, v48, v36
	;;#ASMEND
	;;#ASMSTART
	v_dot2_f32_f16 v36, v45, v49, v36
	;;#ASMEND
	s_waitcnt lgkmcnt(0)
	;;#ASMSTART
	v_dot2_f32_f16 v37, v42, v50, v37
	;;#ASMEND
	;;#ASMSTART
	v_dot2_f32_f16 v37, v43, v51, v37
	;;#ASMEND
	;;#ASMSTART
	v_dot2_f32_f16 v37, v44, v52, v37
	;;#ASMEND
	;;#ASMSTART
	v_dot2_f32_f16 v37, v45, v53, v37
	;;#ASMEND
	ds_read_b128 v[42:45], v25 offset:16
	ds_read_b128 v[46:49], v28 offset:16
	ds_read_b128 v[50:53], v28 offset:160
	s_waitcnt lgkmcnt(1)
	;;#ASMSTART
	v_dot2_f32_f16 v36, v42, v46, v36
	;;#ASMEND
	;;#ASMSTART
	v_dot2_f32_f16 v36, v43, v47, v36
	;;#ASMEND
	;;#ASMSTART
	v_dot2_f32_f16 v36, v44, v48, v36
	;;#ASMEND
	;;#ASMSTART
	v_dot2_f32_f16 v36, v45, v49, v36
	;;#ASMEND
	s_waitcnt lgkmcnt(0)
	;;#ASMSTART
	v_dot2_f32_f16 v37, v42, v50, v37
	;;#ASMEND
	;;#ASMSTART
	v_dot2_f32_f16 v37, v43, v51, v37
	;;#ASMEND
	;;#ASMSTART
	v_dot2_f32_f16 v37, v44, v52, v37
	;;#ASMEND
	;;#ASMSTART
	v_dot2_f32_f16 v37, v45, v53, v37
	;;#ASMEND
	ds_read_b128 v[42:45], v25 offset:32
	ds_read_b128 v[46:49], v28 offset:32
	;; [unrolled: 29-line block ×8, first 2 shown]
	ds_read_b128 v[50:53], v28 offset:272
	s_waitcnt lgkmcnt(1)
	;;#ASMSTART
	v_dot2_f32_f16 v36, v42, v46, v36
	;;#ASMEND
	;;#ASMSTART
	v_dot2_f32_f16 v36, v43, v47, v36
	;;#ASMEND
	;; [unrolled: 3-line block ×4, first 2 shown]
	s_waitcnt lgkmcnt(0)
	;;#ASMSTART
	v_dot2_f32_f16 v37, v42, v50, v37
	;;#ASMEND
	;;#ASMSTART
	v_dot2_f32_f16 v37, v43, v51, v37
	;;#ASMEND
	;; [unrolled: 3-line block ×4, first 2 shown]
	global_load_ushort v13, v[13:14], off
	v_max_f32_e32 v14, v40, v40
	v_max_f32_e32 v43, v41, v41
	s_waitcnt vmcnt(0)
	s_barrier
	buffer_gl0_inv
	v_cvt_f32_f16_e32 v13, v13
	v_add_f32_e32 v36, v36, v13
	v_add_f32_e32 v37, v37, v13
	v_cndmask_b32_e64 v13, v16, v22, s1
	v_cmp_gt_i32_e64 s1, 32, v21
	v_add_f32_e32 v42, 0x40051340, v36
	v_add_f32_e32 v44, 0x40051340, v37
	v_lshlrev_b32_e32 v13, 2, v13
	v_max_f32_e32 v14, v14, v42
	v_max_f32_e32 v42, v43, v44
	v_cndmask_b32_e64 v44, v16, v21, s1
	v_cmp_gt_i32_e64 s1, 32, v20
	ds_bpermute_b32 v43, v13, v14
	ds_bpermute_b32 v13, v13, v42
	v_lshlrev_b32_e32 v44, 2, v44
	s_waitcnt lgkmcnt(1)
	v_max_f32_e32 v43, v43, v43
	s_waitcnt lgkmcnt(0)
	v_max_f32_e32 v13, v13, v13
	v_max_f32_e32 v14, v14, v43
	;; [unrolled: 1-line block ×3, first 2 shown]
	ds_bpermute_b32 v42, v44, v14
	ds_bpermute_b32 v43, v44, v13
	v_cndmask_b32_e64 v44, v16, v20, s1
	v_cmp_gt_i32_e64 s1, 32, v19
	v_lshlrev_b32_e32 v44, 2, v44
	s_waitcnt lgkmcnt(1)
	v_max_f32_e32 v42, v42, v42
	s_waitcnt lgkmcnt(0)
	v_max_f32_e32 v43, v43, v43
	v_max_f32_e32 v14, v14, v42
	;; [unrolled: 1-line block ×3, first 2 shown]
	ds_bpermute_b32 v42, v44, v14
	ds_bpermute_b32 v43, v44, v13
	v_cndmask_b32_e64 v44, v16, v19, s1
	v_cmp_gt_i32_e64 s1, 32, v18
	v_lshlrev_b32_e32 v44, 2, v44
	s_waitcnt lgkmcnt(1)
	v_max_f32_e32 v42, v42, v42
	s_waitcnt lgkmcnt(0)
	v_max_f32_e32 v43, v43, v43
	v_max_f32_e32 v14, v14, v42
	;; [unrolled: 1-line block ×3, first 2 shown]
	ds_bpermute_b32 v42, v44, v14
	ds_bpermute_b32 v43, v44, v13
	v_cndmask_b32_e64 v44, v16, v18, s1
	v_lshlrev_b32_e32 v44, 2, v44
	s_waitcnt lgkmcnt(1)
	v_max_f32_e32 v42, v42, v42
	s_waitcnt lgkmcnt(0)
	v_max_f32_e32 v43, v43, v43
	v_max_f32_e32 v14, v14, v42
	;; [unrolled: 1-line block ×3, first 2 shown]
	ds_bpermute_b32 v13, v44, v14
	ds_bpermute_b32 v43, v44, v42
	s_waitcnt lgkmcnt(1)
	v_max_f32_e32 v13, v13, v13
	s_waitcnt lgkmcnt(0)
	v_max_f32_e32 v43, v43, v43
	v_max_f32_e32 v13, v14, v13
	;; [unrolled: 1-line block ×3, first 2 shown]
	v_sub_f32_e32 v36, v36, v13
	v_sub_f32_e32 v42, v37, v14
	;; [unrolled: 1-line block ×4, first 2 shown]
	v_mul_f32_e32 v37, 0x3fb8aa3b, v36
	v_mul_f32_e32 v43, 0x3fb8aa3b, v42
	v_cmp_ngt_f32_e64 s1, 0xc2ce8ed0, v36
	v_cmp_ngt_f32_e64 s2, 0xc2ce8ed0, v40
	;; [unrolled: 1-line block ×3, first 2 shown]
	v_fma_f32 v44, 0x3fb8aa3b, v36, -v37
	v_rndne_f32_e32 v45, v37
	v_fma_f32 v46, 0x3fb8aa3b, v42, -v43
	v_rndne_f32_e32 v47, v43
	v_cmp_nlt_f32_e64 s3, 0x42b17218, v41
	v_fmac_f32_e32 v44, 0x32a5705f, v36
	v_sub_f32_e32 v37, v37, v45
	v_fmac_f32_e32 v46, 0x32a5705f, v42
	v_sub_f32_e32 v43, v43, v47
	v_add_f32_e32 v37, v37, v44
	v_cvt_i32_f32_e32 v44, v45
	v_add_f32_e32 v43, v43, v46
	v_cvt_i32_f32_e32 v45, v47
	v_exp_f32_e32 v37, v37
	v_exp_f32_e32 v43, v43
	v_ldexp_f32 v37, v37, v44
	v_ldexp_f32 v43, v43, v45
	v_cndmask_b32_e64 v37, 0, v37, s1
	v_cmp_ngt_f32_e64 s1, 0xc2ce8ed0, v42
	v_cndmask_b32_e64 v43, 0, v43, s1
	v_cmp_nlt_f32_e64 s1, 0x42b17218, v36
	v_cndmask_b32_e64 v37, 0x7f800000, v37, s1
	v_cmp_nlt_f32_e64 s1, 0x42b17218, v42
	v_cvt_f16_f32_e32 v42, v37
	v_cndmask_b32_e64 v36, 0x7f800000, v43, s1
	v_cmp_nlt_f32_e64 s1, 0x42b17218, v40
	v_cvt_f16_f32_e32 v43, v36
	v_pack_b32_f16 v42, v42, v43
	ds_write_b32 v33, v42
	s_and_saveexec_b32 s28, vcc_lo
	s_cbranch_execz .LBB40_15
; %bb.14:                               ;   in Loop: Header=BB40_11 Depth=1
	v_add_co_u32 v42, s7, s24, v9
	v_add_co_ci_u32_e64 v43, null, s25, v10, s7
	global_load_dwordx4 v[42:45], v[42:43], off offset:128
	s_waitcnt vmcnt(0)
	ds_write_b128 v30, v[42:45]
.LBB40_15:                              ;   in Loop: Header=BB40_11 Depth=1
	s_or_b32 exec_lo, exec_lo, s28
	v_add_co_u32 v42, s7, s24, v11
	v_add_co_ci_u32_e64 v43, null, s25, v12, s7
	v_mul_f32_e32 v46, 0x3fb8aa3b, v40
	v_add_co_u32 v42, s7, v42, v32
	v_add_co_ci_u32_e64 v43, null, 0, v43, s7
	v_mul_f32_e32 v47, 0x3fb8aa3b, v41
	v_fma_f32 v48, 0x3fb8aa3b, v40, -v46
	v_rndne_f32_e32 v49, v46
	global_load_dwordx4 v[42:45], v[42:43], off
	v_add_nc_u32_e32 v84, 0x400, v15
	v_fma_f32 v50, 0x3fb8aa3b, v41, -v47
	v_rndne_f32_e32 v51, v47
	v_fmac_f32_e32 v48, 0x32a5705f, v40
	v_sub_f32_e32 v40, v46, v49
	v_cvt_i32_f32_e32 v46, v49
	v_fmac_f32_e32 v50, 0x32a5705f, v41
	v_sub_f32_e32 v41, v47, v51
	v_cvt_i32_f32_e32 v47, v51
	v_add_f32_e32 v40, v40, v48
	v_add_nc_u32_e32 v108, 0x800, v15
	v_add_nc_u32_e32 v109, 0xc00, v15
	v_add_f32_e32 v41, v41, v50
	v_add_nc_u32_e32 v110, 0x1000, v15
	v_exp_f32_e32 v40, v40
	v_exp_f32_e32 v41, v41
	v_ldexp_f32 v40, v40, v46
	v_ldexp_f32 v41, v41, v47
	v_cndmask_b32_e64 v40, 0, v40, s2
	v_cndmask_b32_e64 v41, 0, v41, s6
	;; [unrolled: 1-line block ×4, first 2 shown]
	v_cvt_f16_f32_e32 v40, v46
	v_fmac_f32_e32 v37, v38, v46
	v_cvt_f16_f32_e32 v41, v47
	v_fmac_f32_e32 v36, v39, v47
	v_mul_u32_u24_sdwa v104, v40, v34 dst_sel:DWORD dst_unused:UNUSED_PAD src0_sel:WORD_0 src1_sel:DWORD
	v_mul_u32_u24_sdwa v105, v41, v34 dst_sel:DWORD dst_unused:UNUSED_PAD src0_sel:WORD_0 src1_sel:DWORD
	v_pk_mul_f16 v35, v35, v104
	v_pk_mul_f16 v27, v27, v105
	s_waitcnt vmcnt(0)
	ds_write_b128 v31, v[42:45]
	s_waitcnt lgkmcnt(0)
	s_barrier
	buffer_gl0_inv
	ds_read_b128 v[40:43], v29
	ds_read_b128 v[44:47], v29 offset:16
	ds_read2_b64 v[48:51], v15 offset1:18
	ds_read_b128 v[52:55], v29 offset:32
	ds_read_b128 v[56:59], v29 offset:48
	ds_read2_b64 v[60:63], v15 offset0:36 offset1:54
	ds_read2_b64 v[64:67], v15 offset0:72 offset1:90
	;; [unrolled: 1-line block ×10, first 2 shown]
	s_waitcnt lgkmcnt(13)
	v_mul_u32_u24_sdwa v118, v44, v34 dst_sel:DWORD dst_unused:UNUSED_PAD src0_sel:WORD_0 src1_sel:DWORD
	v_mul_u32_u24_sdwa v119, v46, v34 dst_sel:DWORD dst_unused:UNUSED_PAD src0_sel:WORD_0 src1_sel:DWORD
	v_mul_u32_u24_sdwa v120, v46, v34 dst_sel:DWORD dst_unused:UNUSED_PAD src0_sel:WORD_1 src1_sel:DWORD
	v_mul_u32_u24_sdwa v121, v47, v34 dst_sel:DWORD dst_unused:UNUSED_PAD src0_sel:WORD_0 src1_sel:DWORD
	v_mul_u32_u24_sdwa v122, v47, v34 dst_sel:DWORD dst_unused:UNUSED_PAD src0_sel:WORD_1 src1_sel:DWORD
	s_waitcnt lgkmcnt(11)
	v_mul_u32_u24_sdwa v123, v54, v34 dst_sel:DWORD dst_unused:UNUSED_PAD src0_sel:WORD_0 src1_sel:DWORD
	v_mul_u32_u24_sdwa v124, v54, v34 dst_sel:DWORD dst_unused:UNUSED_PAD src0_sel:WORD_1 src1_sel:DWORD
	v_mul_u32_u24_sdwa v125, v55, v34 dst_sel:DWORD dst_unused:UNUSED_PAD src0_sel:WORD_0 src1_sel:DWORD
	v_mul_u32_u24_sdwa v126, v55, v34 dst_sel:DWORD dst_unused:UNUSED_PAD src0_sel:WORD_1 src1_sel:DWORD
	;; [unrolled: 2-line block ×5, first 2 shown]
	v_pk_mul_f16 v42, v48, v106
	v_pk_mul_f16 v43, v48, v111
	v_mul_u32_u24_sdwa v112, v41, v34 dst_sel:DWORD dst_unused:UNUSED_PAD src0_sel:WORD_0 src1_sel:DWORD
	v_mul_u32_u24_sdwa v113, v41, v34 dst_sel:DWORD dst_unused:UNUSED_PAD src0_sel:WORD_1 src1_sel:DWORD
	v_pk_fma_f16 v35, v49, v106, v35
	v_pk_fma_f16 v23, v23, v104, v42
	v_pk_fma_f16 v1, v1, v105, v43
	v_pk_fma_f16 v27, v49, v111, v27
	v_mul_u32_u24_sdwa v111, v44, v34 dst_sel:DWORD dst_unused:UNUSED_PAD src0_sel:WORD_1 src1_sel:DWORD
	v_pk_fma_f16 v35, v51, v112, v35
	v_pk_fma_f16 v23, v50, v112, v23
	v_pk_fma_f16 v1, v50, v113, v1
	v_pk_fma_f16 v27, v51, v113, v27
	v_mul_u32_u24_sdwa v112, v45, v34 dst_sel:DWORD dst_unused:UNUSED_PAD src0_sel:WORD_0 src1_sel:DWORD
	s_waitcnt lgkmcnt(9)
	v_pk_fma_f16 v35, v61, v114, v35
	v_pk_fma_f16 v23, v60, v114, v23
	v_pk_fma_f16 v1, v60, v115, v1
	v_pk_fma_f16 v27, v61, v115, v27
	v_mul_u32_u24_sdwa v113, v45, v34 dst_sel:DWORD dst_unused:UNUSED_PAD src0_sel:WORD_1 src1_sel:DWORD
	v_pk_fma_f16 v35, v63, v116, v35
	v_pk_fma_f16 v23, v62, v116, v23
	v_pk_fma_f16 v1, v62, v117, v1
	v_pk_fma_f16 v27, v63, v117, v27
	v_mul_u32_u24_sdwa v114, v52, v34 dst_sel:DWORD dst_unused:UNUSED_PAD src0_sel:WORD_0 src1_sel:DWORD
	s_waitcnt lgkmcnt(8)
	;; [unrolled: 11-line block ×3, first 2 shown]
	v_pk_fma_f16 v35, v69, v119, v35
	v_pk_fma_f16 v23, v68, v119, v23
	;; [unrolled: 1-line block ×4, first 2 shown]
	v_mul_u32_u24_sdwa v117, v53, v34 dst_sel:DWORD dst_unused:UNUSED_PAD src0_sel:WORD_1 src1_sel:DWORD
	v_pk_fma_f16 v35, v71, v121, v35
	v_pk_fma_f16 v23, v70, v121, v23
	;; [unrolled: 1-line block ×4, first 2 shown]
	ds_read_b128 v[38:41], v29 offset:64
	ds_read_b128 v[100:103], v29 offset:80
	s_waitcnt lgkmcnt(8)
	v_pk_fma_f16 v35, v73, v114, v35
	v_pk_fma_f16 v23, v72, v114, v23
	;; [unrolled: 1-line block ×4, first 2 shown]
	ds_read2_b64 v[104:107], v108 offset0:140 offset1:158
	v_pk_fma_f16 v35, v75, v116, v35
	v_pk_fma_f16 v23, v74, v116, v23
	;; [unrolled: 1-line block ×4, first 2 shown]
	ds_read2_b64 v[42:45], v108 offset0:176 offset1:194
	s_waitcnt lgkmcnt(9)
	v_pk_fma_f16 v35, v77, v123, v35
	v_pk_fma_f16 v23, v76, v123, v23
	v_pk_fma_f16 v1, v76, v124, v1
	v_pk_fma_f16 v27, v77, v124, v27
	ds_read2_b64 v[46:49], v108 offset0:212 offset1:230
	v_mul_u32_u24_sdwa v108, v56, v34 dst_sel:DWORD dst_unused:UNUSED_PAD src0_sel:WORD_0 src1_sel:DWORD
	v_mul_u32_u24_sdwa v66, v56, v34 dst_sel:DWORD dst_unused:UNUSED_PAD src0_sel:WORD_1 src1_sel:DWORD
	v_pk_fma_f16 v35, v79, v125, v35
	v_pk_fma_f16 v27, v79, v126, v27
	;; [unrolled: 1-line block ×4, first 2 shown]
	ds_read2_b64 v[50:53], v109 offset0:120 offset1:138
	v_mul_u32_u24_sdwa v67, v57, v34 dst_sel:DWORD dst_unused:UNUSED_PAD src0_sel:WORD_0 src1_sel:DWORD
	v_mul_u32_u24_sdwa v109, v57, v34 dst_sel:DWORD dst_unused:UNUSED_PAD src0_sel:WORD_1 src1_sel:DWORD
	s_waitcnt lgkmcnt(10)
	v_pk_fma_f16 v35, v81, v108, v35
	v_pk_fma_f16 v27, v81, v66, v27
	;; [unrolled: 1-line block ×4, first 2 shown]
	v_mul_u32_u24_sdwa v111, v58, v34 dst_sel:DWORD dst_unused:UNUSED_PAD src0_sel:WORD_0 src1_sel:DWORD
	v_mul_u32_u24_sdwa v112, v58, v34 dst_sel:DWORD dst_unused:UNUSED_PAD src0_sel:WORD_1 src1_sel:DWORD
	v_pk_fma_f16 v35, v83, v67, v35
	v_pk_fma_f16 v27, v83, v109, v27
	;; [unrolled: 1-line block ×4, first 2 shown]
	v_mul_u32_u24_sdwa v69, v59, v34 dst_sel:DWORD dst_unused:UNUSED_PAD src0_sel:WORD_0 src1_sel:DWORD
	v_mul_u32_u24_sdwa v68, v59, v34 dst_sel:DWORD dst_unused:UNUSED_PAD src0_sel:WORD_1 src1_sel:DWORD
	s_waitcnt lgkmcnt(9)
	v_pk_fma_f16 v35, v85, v111, v35
	v_pk_fma_f16 v27, v85, v112, v27
	;; [unrolled: 1-line block ×4, first 2 shown]
	s_waitcnt lgkmcnt(5)
	v_mul_u32_u24_sdwa v70, v38, v34 dst_sel:DWORD dst_unused:UNUSED_PAD src0_sel:WORD_0 src1_sel:DWORD
	v_mul_u32_u24_sdwa v38, v38, v34 dst_sel:DWORD dst_unused:UNUSED_PAD src0_sel:WORD_1 src1_sel:DWORD
	v_pk_fma_f16 v35, v87, v69, v35
	v_pk_fma_f16 v27, v87, v68, v27
	v_pk_fma_f16 v23, v86, v69, v23
	v_pk_fma_f16 v1, v86, v68, v1
	v_mul_u32_u24_sdwa v71, v39, v34 dst_sel:DWORD dst_unused:UNUSED_PAD src0_sel:WORD_0 src1_sel:DWORD
	v_mul_u32_u24_sdwa v39, v39, v34 dst_sel:DWORD dst_unused:UNUSED_PAD src0_sel:WORD_1 src1_sel:DWORD
	v_pk_fma_f16 v35, v89, v70, v35
	v_pk_fma_f16 v27, v89, v38, v27
	v_pk_fma_f16 v23, v88, v70, v23
	v_pk_fma_f16 v1, v88, v38, v1
	;; [unrolled: 6-line block ×4, first 2 shown]
	s_waitcnt lgkmcnt(4)
	v_mul_u32_u24_sdwa v74, v100, v34 dst_sel:DWORD dst_unused:UNUSED_PAD src0_sel:WORD_0 src1_sel:DWORD
	v_mul_u32_u24_sdwa v75, v100, v34 dst_sel:DWORD dst_unused:UNUSED_PAD src0_sel:WORD_1 src1_sel:DWORD
	v_pk_fma_f16 v35, v95, v73, v35
	v_pk_fma_f16 v27, v95, v41, v27
	;; [unrolled: 1-line block ×4, first 2 shown]
	ds_read_b128 v[54:57], v29 offset:96
	ds_read_b128 v[58:61], v29 offset:112
	v_mul_u32_u24_sdwa v100, v101, v34 dst_sel:DWORD dst_unused:UNUSED_PAD src0_sel:WORD_0 src1_sel:DWORD
	v_mul_u32_u24_sdwa v77, v101, v34 dst_sel:DWORD dst_unused:UNUSED_PAD src0_sel:WORD_1 src1_sel:DWORD
	v_pk_fma_f16 v35, v97, v74, v35
	v_pk_fma_f16 v27, v97, v75, v27
	;; [unrolled: 1-line block ×4, first 2 shown]
	v_mul_u32_u24_sdwa v76, v102, v34 dst_sel:DWORD dst_unused:UNUSED_PAD src0_sel:WORD_0 src1_sel:DWORD
	v_mul_u32_u24_sdwa v78, v102, v34 dst_sel:DWORD dst_unused:UNUSED_PAD src0_sel:WORD_1 src1_sel:DWORD
	v_pk_fma_f16 v35, v99, v100, v35
	v_pk_fma_f16 v27, v99, v77, v27
	;; [unrolled: 1-line block ×4, first 2 shown]
	v_mul_u32_u24_sdwa v66, v103, v34 dst_sel:DWORD dst_unused:UNUSED_PAD src0_sel:WORD_0 src1_sel:DWORD
	v_mul_u32_u24_sdwa v67, v103, v34 dst_sel:DWORD dst_unused:UNUSED_PAD src0_sel:WORD_1 src1_sel:DWORD
	s_waitcnt lgkmcnt(5)
	v_pk_fma_f16 v35, v105, v76, v35
	v_pk_fma_f16 v27, v105, v78, v27
	;; [unrolled: 1-line block ×4, first 2 shown]
	s_waitcnt lgkmcnt(1)
	v_mul_u32_u24_sdwa v79, v54, v34 dst_sel:DWORD dst_unused:UNUSED_PAD src0_sel:WORD_0 src1_sel:DWORD
	v_mul_u32_u24_sdwa v54, v54, v34 dst_sel:DWORD dst_unused:UNUSED_PAD src0_sel:WORD_1 src1_sel:DWORD
	v_pk_fma_f16 v35, v107, v66, v35
	v_pk_fma_f16 v27, v107, v67, v27
	v_pk_fma_f16 v23, v106, v66, v23
	v_pk_fma_f16 v1, v106, v67, v1
	v_mul_u32_u24_sdwa v38, v55, v34 dst_sel:DWORD dst_unused:UNUSED_PAD src0_sel:WORD_0 src1_sel:DWORD
	v_mul_u32_u24_sdwa v39, v55, v34 dst_sel:DWORD dst_unused:UNUSED_PAD src0_sel:WORD_1 src1_sel:DWORD
	v_pk_fma_f16 v35, v43, v79, v35
	v_pk_fma_f16 v27, v43, v54, v27
	v_pk_fma_f16 v23, v42, v79, v23
	v_pk_fma_f16 v1, v42, v54, v1
	;; [unrolled: 6-line block ×3, first 2 shown]
	ds_read2_b64 v[62:65], v110 offset0:28 offset1:46
	v_mul_u32_u24_sdwa v55, v57, v34 dst_sel:DWORD dst_unused:UNUSED_PAD src0_sel:WORD_0 src1_sel:DWORD
	v_mul_u32_u24_sdwa v56, v57, v34 dst_sel:DWORD dst_unused:UNUSED_PAD src0_sel:WORD_1 src1_sel:DWORD
	v_pk_fma_f16 v35, v47, v40, v35
	v_pk_fma_f16 v27, v47, v41, v27
	;; [unrolled: 1-line block ×4, first 2 shown]
	s_waitcnt lgkmcnt(0)
	s_barrier
	buffer_gl0_inv
	s_load_dword s1, s[8:9], 0x4
	v_mul_u32_u24_sdwa v57, v58, v34 dst_sel:DWORD dst_unused:UNUSED_PAD src0_sel:WORD_0 src1_sel:DWORD
	v_mul_u32_u24_sdwa v58, v58, v34 dst_sel:DWORD dst_unused:UNUSED_PAD src0_sel:WORD_1 src1_sel:DWORD
	v_pk_fma_f16 v35, v49, v55, v35
	v_pk_fma_f16 v27, v49, v56, v27
	v_pk_fma_f16 v23, v48, v55, v23
	v_pk_fma_f16 v1, v48, v56, v1
	v_mul_u32_u24_sdwa v42, v59, v34 dst_sel:DWORD dst_unused:UNUSED_PAD src0_sel:WORD_0 src1_sel:DWORD
	v_mul_u32_u24_sdwa v38, v59, v34 dst_sel:DWORD dst_unused:UNUSED_PAD src0_sel:WORD_1 src1_sel:DWORD
	v_pk_fma_f16 v35, v51, v57, v35
	v_pk_fma_f16 v27, v51, v58, v27
	v_pk_fma_f16 v23, v50, v57, v23
	v_pk_fma_f16 v1, v50, v58, v1
	;; [unrolled: 6-line block ×4, first 2 shown]
	s_waitcnt lgkmcnt(0)
	s_lshl_b32 s1, s1, 5
	v_pk_fma_f16 v35, v65, v41, v35
	v_pk_fma_f16 v27, v65, v38, v27
	v_pk_fma_f16 v23, v64, v41, v23
	v_pk_fma_f16 v1, v64, v38, v1
	s_add_i32 s15, s1, s15
	s_cmp_ge_i32 s15, s36
	s_cbranch_scc1 .LBB40_17
; %bb.16:                               ;   in Loop: Header=BB40_11 Depth=1
	v_mov_b32_e32 v40, v13
	v_mov_b32_e32 v41, v14
	;; [unrolled: 1-line block ×4, first 2 shown]
	s_branch .LBB40_11
.LBB40_17:
	v_mov_b32_e32 v5, v16
.LBB40_18:
	v_cmp_lt_i32_e32 vcc_lo, v22, v17
	s_cmp_lg_u64 s[16:17], 0
	s_cselect_b32 s1, -1, 0
	s_cmp_eq_u32 s34, 0
	v_cndmask_b32_e32 v4, v5, v22, vcc_lo
	v_cmp_lt_i32_e32 vcc_lo, v21, v17
	s_cselect_b32 s2, -1, 0
	s_and_b32 s1, s2, s1
	v_lshlrev_b32_e32 v4, 2, v4
	v_cndmask_b32_e32 v7, v5, v21, vcc_lo
	v_cmp_lt_i32_e32 vcc_lo, v20, v17
	ds_bpermute_b32 v6, v4, v37
	ds_bpermute_b32 v4, v4, v36
	v_lshlrev_b32_e32 v7, 2, v7
	v_cndmask_b32_e32 v9, v5, v20, vcc_lo
	v_cmp_lt_i32_e32 vcc_lo, v19, v17
	v_lshlrev_b32_e32 v9, 2, v9
	s_waitcnt lgkmcnt(1)
	v_add_f32_e32 v6, v37, v6
	s_waitcnt lgkmcnt(0)
	v_add_f32_e32 v4, v36, v4
	ds_bpermute_b32 v8, v7, v6
	ds_bpermute_b32 v7, v7, v4
	s_waitcnt lgkmcnt(1)
	v_add_f32_e32 v6, v6, v8
	s_waitcnt lgkmcnt(0)
	v_add_f32_e32 v4, v4, v7
	ds_bpermute_b32 v7, v9, v6
	ds_bpermute_b32 v8, v9, v4
	v_cndmask_b32_e32 v9, v5, v19, vcc_lo
	v_cmp_lt_i32_e32 vcc_lo, v18, v17
	v_lshlrev_b32_e32 v9, 2, v9
	v_cndmask_b32_e32 v5, v5, v18, vcc_lo
	s_and_b32 vcc_lo, exec_lo, s1
	v_lshlrev_b32_e32 v5, 2, v5
	s_waitcnt lgkmcnt(1)
	v_add_f32_e32 v6, v6, v7
	s_waitcnt lgkmcnt(0)
	v_add_f32_e32 v4, v4, v8
	ds_bpermute_b32 v7, v9, v6
	ds_bpermute_b32 v8, v9, v4
	s_waitcnt lgkmcnt(1)
	v_add_f32_e32 v6, v6, v7
	s_waitcnt lgkmcnt(0)
	v_add_f32_e32 v7, v4, v8
	ds_bpermute_b32 v4, v5, v6
	ds_bpermute_b32 v5, v5, v7
	s_waitcnt lgkmcnt(1)
	v_add_f32_e32 v4, v6, v4
	s_waitcnt lgkmcnt(0)
	v_add_f32_e32 v5, v7, v5
	s_cbranch_vccz .LBB40_21
; %bb.19:
	s_ashr_i32 s15, s14, 31
	v_mov_b32_e32 v6, 0
	s_lshl_b64 s[2:3], s[14:15], 2
	v_max_f32_e32 v8, v13, v13
	s_add_u32 s2, s16, s2
	s_addc_u32 s3, s17, s3
	v_max_f32_e32 v10, v14, v14
	global_load_dwordx2 v[6:7], v6, s[2:3]
	s_waitcnt vmcnt(0)
	v_max_f32_e32 v9, v6, v6
	v_max_f32_e32 v11, v7, v7
	;; [unrolled: 1-line block ×4, first 2 shown]
	v_sub_f32_e32 v10, v13, v8
	v_sub_f32_e32 v11, v14, v9
	;; [unrolled: 1-line block ×4, first 2 shown]
	v_mul_f32_e32 v12, 0x3fb8aa3b, v10
	v_mul_f32_e32 v14, 0x3fb8aa3b, v11
	;; [unrolled: 1-line block ×4, first 2 shown]
	v_cmp_ngt_f32_e32 vcc_lo, 0xc2ce8ed0, v10
	v_fma_f32 v16, 0x3fb8aa3b, v10, -v12
	v_rndne_f32_e32 v17, v12
	v_fma_f32 v20, 0x3fb8aa3b, v11, -v14
	v_rndne_f32_e32 v21, v14
	v_fma_f32 v18, 0x3fb8aa3b, v6, -v13
	v_fmac_f32_e32 v16, 0x32a5705f, v10
	v_sub_f32_e32 v12, v12, v17
	v_rndne_f32_e32 v19, v13
	v_fmac_f32_e32 v20, 0x32a5705f, v11
	v_sub_f32_e32 v14, v14, v21
	v_fmac_f32_e32 v18, 0x32a5705f, v6
	v_add_f32_e32 v12, v12, v16
	v_sub_f32_e32 v13, v13, v19
	v_cvt_i32_f32_e32 v16, v17
	v_add_f32_e32 v14, v14, v20
	v_fma_f32 v22, 0x3fb8aa3b, v7, -v15
	v_exp_f32_e32 v12, v12
	v_add_f32_e32 v13, v13, v18
	v_rndne_f32_e32 v24, v15
	v_exp_f32_e32 v14, v14
	v_cvt_i32_f32_e32 v18, v21
	v_fmac_f32_e32 v22, 0x32a5705f, v7
	v_exp_f32_e32 v13, v13
	v_sub_f32_e32 v15, v15, v24
	v_cvt_i32_f32_e32 v17, v19
	v_cvt_i32_f32_e32 v19, v24
	v_ldexp_f32 v12, v12, v16
	v_mov_b32_e32 v20, 0x10001
	v_add_f32_e32 v15, v15, v22
	v_ldexp_f32 v14, v14, v18
	v_cndmask_b32_e32 v12, 0, v12, vcc_lo
	v_cmp_ngt_f32_e32 vcc_lo, 0xc2ce8ed0, v11
	v_ldexp_f32 v13, v13, v17
	v_exp_f32_e32 v15, v15
	v_cndmask_b32_e32 v14, 0, v14, vcc_lo
	v_cmp_ngt_f32_e32 vcc_lo, 0xc2ce8ed0, v6
	v_cndmask_b32_e32 v13, 0, v13, vcc_lo
	v_cmp_nlt_f32_e32 vcc_lo, 0x42b17218, v10
	v_ldexp_f32 v15, v15, v19
	v_cndmask_b32_e32 v10, 0x7f800000, v12, vcc_lo
	v_cmp_nlt_f32_e32 vcc_lo, 0x42b17218, v11
	v_cndmask_b32_e32 v11, 0x7f800000, v14, vcc_lo
	v_cmp_ngt_f32_e32 vcc_lo, 0xc2ce8ed0, v7
	v_cndmask_b32_e32 v12, 0, v15, vcc_lo
	v_cmp_nlt_f32_e32 vcc_lo, 0x42b17218, v6
	v_cvt_f16_f32_e32 v15, v11
	v_cndmask_b32_e32 v6, 0x7f800000, v13, vcc_lo
	v_cmp_nlt_f32_e32 vcc_lo, 0x42b17218, v7
	v_cvt_f16_f32_e32 v13, v10
	v_fmac_f32_e32 v6, v4, v10
	v_cndmask_b32_e32 v7, 0x7f800000, v12, vcc_lo
	v_mul_u32_u24_sdwa v10, v13, v20 dst_sel:DWORD dst_unused:UNUSED_PAD src0_sel:WORD_0 src1_sel:DWORD
	v_mov_b32_e32 v14, v9
	v_mov_b32_e32 v13, v8
	v_mul_u32_u24_sdwa v8, v15, v20 dst_sel:DWORD dst_unused:UNUSED_PAD src0_sel:WORD_0 src1_sel:DWORD
	v_fmac_f32_e32 v7, v5, v11
	v_mov_b32_e32 v4, v6
	v_pk_mul_f16 v23, v23, v10
	v_pk_mul_f16 v35, v35, v10
	v_pk_mul_f16 v1, v1, v8
	v_pk_mul_f16 v27, v27, v8
	v_mov_b32_e32 v5, v7
	s_mov_b32 s1, exec_lo
	v_cmpx_gt_i32_e64 s26, v3
	s_cbranch_execnz .LBB40_22
.LBB40_20:
	s_endpgm
.LBB40_21:
	v_mov_b32_e32 v7, v5
	v_mov_b32_e32 v6, v4
	s_mov_b32 s1, exec_lo
	v_cmpx_gt_i32_e64 s26, v3
	s_cbranch_execz .LBB40_20
.LBB40_22:
	s_load_dword s1, s[4:5], 0xd4
	v_mov_b32_e32 v8, 1.0
	s_waitcnt lgkmcnt(0)
	s_cmp_lg_u32 s1, 1
	s_cselect_b32 s3, -1, 0
	s_cmp_eq_u32 s1, 1
	s_cselect_b32 s2, -1, 0
	s_and_b32 vcc_lo, exec_lo, s3
	s_cbranch_vccnz .LBB40_24
; %bb.23:
	v_div_scale_f32 v8, null, v4, v4, 1.0
	v_rcp_f32_e32 v9, v8
	v_fma_f32 v10, -v8, v9, 1.0
	v_fmac_f32_e32 v9, v10, v9
	v_div_scale_f32 v10, vcc_lo, 1.0, v4, 1.0
	v_mul_f32_e32 v11, v10, v9
	v_fma_f32 v12, -v8, v11, v10
	v_fmac_f32_e32 v11, v12, v9
	v_fma_f32 v8, -v8, v11, v10
	v_div_fmas_f32 v8, v8, v9, v11
	v_div_fixup_f32 v8, v8, v4, 1.0
.LBB40_24:
	v_mad_u64_u32 v[3:4], null, s33, s26, v[3:4]
	v_mad_u64_u32 v[3:4], null, v3, s27, s[14:15]
	;; [unrolled: 1-line block ×3, first 2 shown]
	s_and_saveexec_b32 s4, s0
	s_cbranch_execz .LBB40_26
; %bb.25:
	v_mad_u64_u32 v[9:10], null, 0x48, v3, v[2:3]
	v_mov_b32_e32 v10, 0
	v_cvt_f32_f16_sdwa v4, v35 dst_sel:DWORD dst_unused:UNUSED_PAD src0_sel:WORD_1
	v_cvt_f32_f16_e32 v12, v35
	v_cvt_f32_f16_sdwa v17, v23 dst_sel:DWORD dst_unused:UNUSED_PAD src0_sel:WORD_1
	v_cvt_f32_f16_e32 v18, v23
	v_mul_f32_e32 v11, v8, v4
	v_lshlrev_b64 v[15:16], 2, v[9:10]
	v_mul_f32_e32 v10, v8, v12
	v_mul_f32_e32 v9, v8, v17
	;; [unrolled: 1-line block ×3, first 2 shown]
	v_add_co_u32 v15, vcc_lo, s20, v15
	v_add_co_ci_u32_e64 v16, null, s21, v16, vcc_lo
	global_store_dwordx4 v[15:16], v[8:11], off
.LBB40_26:
	s_or_b32 exec_lo, exec_lo, s4
	v_cmp_eq_u32_e32 vcc_lo, 0, v0
	s_and_b32 s3, vcc_lo, s3
	s_and_saveexec_b32 s4, s3
	s_cbranch_execnz .LBB40_30
; %bb.27:
	s_or_b32 exec_lo, exec_lo, s4
	v_mov_b32_e32 v4, 1.0
	s_andn2_b32 vcc_lo, exec_lo, s2
	s_cbranch_vccz .LBB40_31
.LBB40_28:
	v_add_nc_u32_e32 v0, s1, v3
	s_and_saveexec_b32 s1, s0
	s_cbranch_execnz .LBB40_32
.LBB40_29:
	s_or_b32 exec_lo, exec_lo, s1
	s_and_b32 exec_lo, exec_lo, s3
	s_cbranch_execz .LBB40_20
	s_branch .LBB40_33
.LBB40_30:
	v_ashrrev_i32_e32 v4, 31, v3
	v_mov_b32_e32 v10, v13
	v_mov_b32_e32 v11, v6
	v_lshlrev_b64 v[8:9], 3, v[3:4]
	v_add_co_u32 v8, vcc_lo, s22, v8
	v_add_co_ci_u32_e64 v9, null, s23, v9, vcc_lo
	global_store_dwordx2 v[8:9], v[10:11], off
	s_or_b32 exec_lo, exec_lo, s4
	v_mov_b32_e32 v4, 1.0
	s_andn2_b32 vcc_lo, exec_lo, s2
	s_cbranch_vccnz .LBB40_28
.LBB40_31:
	v_div_scale_f32 v0, null, v5, v5, 1.0
	v_rcp_f32_e32 v4, v0
	v_fma_f32 v6, -v0, v4, 1.0
	v_fmac_f32_e32 v4, v6, v4
	v_div_scale_f32 v6, vcc_lo, 1.0, v5, 1.0
	v_mul_f32_e32 v8, v6, v4
	v_fma_f32 v9, -v0, v8, v6
	v_fmac_f32_e32 v8, v9, v4
	v_fma_f32 v0, -v0, v8, v6
	v_div_fmas_f32 v0, v0, v4, v8
	v_div_fixup_f32 v4, v0, v5, 1.0
	v_add_nc_u32_e32 v0, s1, v3
	s_and_saveexec_b32 s1, s0
	s_cbranch_execz .LBB40_29
.LBB40_32:
	v_mad_u64_u32 v[2:3], null, 0x48, v0, v[2:3]
	v_mov_b32_e32 v3, 0
	v_cvt_f32_f16_sdwa v5, v27 dst_sel:DWORD dst_unused:UNUSED_PAD src0_sel:WORD_1
	v_cvt_f32_f16_e32 v6, v27
	v_cvt_f32_f16_sdwa v8, v1 dst_sel:DWORD dst_unused:UNUSED_PAD src0_sel:WORD_1
	v_cvt_f32_f16_e32 v12, v1
	v_mul_f32_e32 v11, v4, v5
	v_lshlrev_b64 v[2:3], 2, v[2:3]
	v_mul_f32_e32 v10, v4, v6
	v_mul_f32_e32 v9, v4, v8
	;; [unrolled: 1-line block ×3, first 2 shown]
	v_add_co_u32 v1, vcc_lo, s20, v2
	v_add_co_ci_u32_e64 v2, null, s21, v3, vcc_lo
	global_store_dwordx4 v[1:2], v[8:11], off
	s_or_b32 exec_lo, exec_lo, s1
	s_and_b32 exec_lo, exec_lo, s3
	s_cbranch_execz .LBB40_20
.LBB40_33:
	v_ashrrev_i32_e32 v1, 31, v0
	v_mov_b32_e32 v6, v14
	v_lshlrev_b64 v[0:1], 3, v[0:1]
	v_add_co_u32 v0, vcc_lo, s22, v0
	v_add_co_ci_u32_e64 v1, null, s23, v1, vcc_lo
	global_store_dwordx2 v[0:1], v[6:7], off
	s_endpgm
	.section	.rodata,"a",@progbits
	.p2align	6, 0x0
	.amdhsa_kernel _ZL15flash_attn_tileILi72ELi72ELi8ELi2ELb0EEvPKcS1_S1_S1_S1_PKiPfP15HIP_vector_typeIfLj2EEffffjfiS5_IjLj3EEiiiiiiiiiiiliiliiiiil
		.amdhsa_group_segment_fixed_size 8672
		.amdhsa_private_segment_fixed_size 0
		.amdhsa_kernarg_size 464
		.amdhsa_user_sgpr_count 6
		.amdhsa_user_sgpr_private_segment_buffer 1
		.amdhsa_user_sgpr_dispatch_ptr 0
		.amdhsa_user_sgpr_queue_ptr 0
		.amdhsa_user_sgpr_kernarg_segment_ptr 1
		.amdhsa_user_sgpr_dispatch_id 0
		.amdhsa_user_sgpr_flat_scratch_init 0
		.amdhsa_user_sgpr_private_segment_size 0
		.amdhsa_wavefront_size32 1
		.amdhsa_uses_dynamic_stack 0
		.amdhsa_system_sgpr_private_segment_wavefront_offset 0
		.amdhsa_system_sgpr_workgroup_id_x 1
		.amdhsa_system_sgpr_workgroup_id_y 1
		.amdhsa_system_sgpr_workgroup_id_z 1
		.amdhsa_system_sgpr_workgroup_info 0
		.amdhsa_system_vgpr_workitem_id 1
		.amdhsa_next_free_vgpr 127
		.amdhsa_next_free_sgpr 41
		.amdhsa_reserve_vcc 1
		.amdhsa_reserve_flat_scratch 0
		.amdhsa_float_round_mode_32 0
		.amdhsa_float_round_mode_16_64 0
		.amdhsa_float_denorm_mode_32 3
		.amdhsa_float_denorm_mode_16_64 3
		.amdhsa_dx10_clamp 1
		.amdhsa_ieee_mode 1
		.amdhsa_fp16_overflow 0
		.amdhsa_workgroup_processor_mode 1
		.amdhsa_memory_ordered 1
		.amdhsa_forward_progress 1
		.amdhsa_shared_vgpr_count 0
		.amdhsa_exception_fp_ieee_invalid_op 0
		.amdhsa_exception_fp_denorm_src 0
		.amdhsa_exception_fp_ieee_div_zero 0
		.amdhsa_exception_fp_ieee_overflow 0
		.amdhsa_exception_fp_ieee_underflow 0
		.amdhsa_exception_fp_ieee_inexact 0
		.amdhsa_exception_int_div_zero 0
	.end_amdhsa_kernel
	.section	.text._ZL15flash_attn_tileILi72ELi72ELi8ELi2ELb0EEvPKcS1_S1_S1_S1_PKiPfP15HIP_vector_typeIfLj2EEffffjfiS5_IjLj3EEiiiiiiiiiiiliiliiiiil,"axG",@progbits,_ZL15flash_attn_tileILi72ELi72ELi8ELi2ELb0EEvPKcS1_S1_S1_S1_PKiPfP15HIP_vector_typeIfLj2EEffffjfiS5_IjLj3EEiiiiiiiiiiiliiliiiiil,comdat
.Lfunc_end40:
	.size	_ZL15flash_attn_tileILi72ELi72ELi8ELi2ELb0EEvPKcS1_S1_S1_S1_PKiPfP15HIP_vector_typeIfLj2EEffffjfiS5_IjLj3EEiiiiiiiiiiiliiliiiiil, .Lfunc_end40-_ZL15flash_attn_tileILi72ELi72ELi8ELi2ELb0EEvPKcS1_S1_S1_S1_PKiPfP15HIP_vector_typeIfLj2EEffffjfiS5_IjLj3EEiiiiiiiiiiiliiliiiiil
                                        ; -- End function
	.set _ZL15flash_attn_tileILi72ELi72ELi8ELi2ELb0EEvPKcS1_S1_S1_S1_PKiPfP15HIP_vector_typeIfLj2EEffffjfiS5_IjLj3EEiiiiiiiiiiiliiliiiiil.num_vgpr, 127
	.set _ZL15flash_attn_tileILi72ELi72ELi8ELi2ELb0EEvPKcS1_S1_S1_S1_PKiPfP15HIP_vector_typeIfLj2EEffffjfiS5_IjLj3EEiiiiiiiiiiiliiliiiiil.num_agpr, 0
	.set _ZL15flash_attn_tileILi72ELi72ELi8ELi2ELb0EEvPKcS1_S1_S1_S1_PKiPfP15HIP_vector_typeIfLj2EEffffjfiS5_IjLj3EEiiiiiiiiiiiliiliiiiil.numbered_sgpr, 41
	.set _ZL15flash_attn_tileILi72ELi72ELi8ELi2ELb0EEvPKcS1_S1_S1_S1_PKiPfP15HIP_vector_typeIfLj2EEffffjfiS5_IjLj3EEiiiiiiiiiiiliiliiiiil.num_named_barrier, 0
	.set _ZL15flash_attn_tileILi72ELi72ELi8ELi2ELb0EEvPKcS1_S1_S1_S1_PKiPfP15HIP_vector_typeIfLj2EEffffjfiS5_IjLj3EEiiiiiiiiiiiliiliiiiil.private_seg_size, 0
	.set _ZL15flash_attn_tileILi72ELi72ELi8ELi2ELb0EEvPKcS1_S1_S1_S1_PKiPfP15HIP_vector_typeIfLj2EEffffjfiS5_IjLj3EEiiiiiiiiiiiliiliiiiil.uses_vcc, 1
	.set _ZL15flash_attn_tileILi72ELi72ELi8ELi2ELb0EEvPKcS1_S1_S1_S1_PKiPfP15HIP_vector_typeIfLj2EEffffjfiS5_IjLj3EEiiiiiiiiiiiliiliiiiil.uses_flat_scratch, 0
	.set _ZL15flash_attn_tileILi72ELi72ELi8ELi2ELb0EEvPKcS1_S1_S1_S1_PKiPfP15HIP_vector_typeIfLj2EEffffjfiS5_IjLj3EEiiiiiiiiiiiliiliiiiil.has_dyn_sized_stack, 0
	.set _ZL15flash_attn_tileILi72ELi72ELi8ELi2ELb0EEvPKcS1_S1_S1_S1_PKiPfP15HIP_vector_typeIfLj2EEffffjfiS5_IjLj3EEiiiiiiiiiiiliiliiiiil.has_recursion, 0
	.set _ZL15flash_attn_tileILi72ELi72ELi8ELi2ELb0EEvPKcS1_S1_S1_S1_PKiPfP15HIP_vector_typeIfLj2EEffffjfiS5_IjLj3EEiiiiiiiiiiiliiliiiiil.has_indirect_call, 0
	.section	.AMDGPU.csdata,"",@progbits
; Kernel info:
; codeLenInByte = 7740
; TotalNumSgprs: 43
; NumVgprs: 127
; ScratchSize: 0
; MemoryBound: 0
; FloatMode: 240
; IeeeMode: 1
; LDSByteSize: 8672 bytes/workgroup (compile time only)
; SGPRBlocks: 0
; VGPRBlocks: 15
; NumSGPRsForWavesPerEU: 43
; NumVGPRsForWavesPerEU: 127
; Occupancy: 8
; WaveLimiterHint : 1
; COMPUTE_PGM_RSRC2:SCRATCH_EN: 0
; COMPUTE_PGM_RSRC2:USER_SGPR: 6
; COMPUTE_PGM_RSRC2:TRAP_HANDLER: 0
; COMPUTE_PGM_RSRC2:TGID_X_EN: 1
; COMPUTE_PGM_RSRC2:TGID_Y_EN: 1
; COMPUTE_PGM_RSRC2:TGID_Z_EN: 1
; COMPUTE_PGM_RSRC2:TIDIG_COMP_CNT: 1
	.section	.text._ZL33flash_attn_stream_k_fixup_uniformILi72ELi8ELi2EEvPfPK15HIP_vector_typeIfLj2EEiiiiiiS1_IjLj3EES5_S5_,"axG",@progbits,_ZL33flash_attn_stream_k_fixup_uniformILi72ELi8ELi2EEvPfPK15HIP_vector_typeIfLj2EEiiiiiiS1_IjLj3EES5_S5_,comdat
	.globl	_ZL33flash_attn_stream_k_fixup_uniformILi72ELi8ELi2EEvPfPK15HIP_vector_typeIfLj2EEiiiiiiS1_IjLj3EES5_S5_ ; -- Begin function _ZL33flash_attn_stream_k_fixup_uniformILi72ELi8ELi2EEvPfPK15HIP_vector_typeIfLj2EEiiiiiiS1_IjLj3EES5_S5_
	.p2align	8
	.type	_ZL33flash_attn_stream_k_fixup_uniformILi72ELi8ELi2EEvPfPK15HIP_vector_typeIfLj2EEiiiiiiS1_IjLj3EES5_S5_,@function
_ZL33flash_attn_stream_k_fixup_uniformILi72ELi8ELi2EEvPfPK15HIP_vector_typeIfLj2EEiiiiiiS1_IjLj3EES5_S5_: ; @_ZL33flash_attn_stream_k_fixup_uniformILi72ELi8ELi2EEvPfPK15HIP_vector_typeIfLj2EEiiiiiiS1_IjLj3EES5_S5_
; %bb.0:
	s_clause 0x2
	s_load_dwordx8 s[12:19], s[4:5], 0x1c
	s_load_dwordx4 s[20:23], s[4:5], 0x3c
	s_load_dwordx2 s[10:11], s[4:5], 0x10
	s_waitcnt lgkmcnt(0)
	s_mul_hi_u32 s0, s15, s6
	s_add_i32 s0, s6, s0
	s_lshr_b32 s0, s0, s16
	s_mul_i32 s1, s0, s17
	s_sub_i32 s1, s6, s1
	s_mul_hi_u32 s2, s1, s18
	s_add_i32 s2, s1, s2
	s_lshr_b32 s9, s2, s19
	s_mul_i32 s2, s9, s20
	s_sub_i32 s1, s1, s2
	s_mul_hi_u32 s2, s1, s21
	s_add_i32 s2, s1, s2
	s_lshr_b32 s2, s2, s22
	s_mul_i32 s3, s2, s23
	s_lshl_b32 s16, s2, 1
	s_sub_i32 s15, s1, s3
	s_lshl_b32 s1, s15, 3
	s_add_i32 s1, s1, s7
	s_cmp_lt_i32 s1, s10
	s_cselect_b32 s1, -1, 0
	s_add_i32 s16, s16, s8
	s_cmp_lt_i32 s16, s13
	s_cselect_b32 s2, -1, 0
	s_and_b32 s1, s1, s2
	s_andn2_b32 vcc_lo, exec_lo, s1
	s_cbranch_vccnz .LBB41_6
; %bb.1:
	s_mul_i32 s10, s0, s10
	s_load_dwordx4 s[0:3], s[4:5], 0x0
	s_add_i32 s4, s10, s7
	s_mul_i32 s9, s9, s13
	s_mul_i32 s4, s4, s11
	s_add_i32 s5, s16, s9
	s_mul_i32 s9, s11, s15
	s_add_i32 s4, s5, s4
	s_mulk_i32 s9, 0x240
	s_mulk_i32 s4, 0x48
	s_lshl_b32 s10, s7, 1
	v_add3_u32 v1, s4, s9, v0
	s_mul_i32 s4, s14, s6
	s_add_i32 s11, s4, s14
	v_ashrrev_i32_e32 v2, 31, v1
	v_lshlrev_b64 v[1:2], 2, v[1:2]
	s_waitcnt lgkmcnt(0)
	v_add_co_u32 v1, vcc_lo, s0, v1
	v_add_co_ci_u32_e64 v2, null, s1, v2, vcc_lo
	s_add_i32 s0, s10, s8
	s_lshl_b32 s1, s11, 4
	global_load_dword v5, v[1:2], off
	s_add_i32 s0, s0, s1
	s_add_i32 s0, s0, -16
	s_ashr_i32 s1, s0, 31
	s_lshl_b64 s[0:1], s[0:1], 3
	s_add_u32 s0, s2, s0
	s_addc_u32 s1, s3, s1
	s_add_i32 s5, s11, -2
	s_load_dword s13, s[0:1], 0x4
	s_cmp_lt_i32 s5, s4
	s_cbranch_scc1 .LBB41_4
; %bb.2:
	s_load_dword s15, s[0:1], 0x0
	s_lshl_b32 s16, s12, 6
	s_mulk_i32 s7, 0x90
	s_ashr_i32 s17, s16, 31
	s_waitcnt lgkmcnt(0)
	v_mov_b32_e32 v6, s13
	s_lshl_b64 s[0:1], s[16:17], 2
	s_add_u32 s5, s2, s0
	s_addc_u32 s9, s3, s1
	s_add_i32 s6, s6, 1
	s_mul_i32 s0, s14, s6
	s_mul_i32 s6, s8, 0x48
	s_lshl_b32 s1, s0, 4
	s_mulk_i32 s0, 0x480
	s_add_i32 s6, s6, s7
	s_add_i32 s1, s8, s1
	s_lshl_b32 s7, s12, 4
	s_add_i32 s6, s6, s0
	s_add_i32 s0, s1, s7
	v_add3_u32 v3, s6, v0, 0xfffff700
	v_mov_b32_e32 v0, s15
	s_add_i32 s0, s0, s10
	s_add_i32 s6, s11, -1
	s_sub_i32 s0, s0, 32
.LBB41_3:                               ; =>This Inner Loop Header: Depth=1
	v_ashrrev_i32_e32 v4, 31, v3
	s_ashr_i32 s1, s0, 31
	s_lshl_b64 s[10:11], s[0:1], 3
	s_add_u32 s10, s2, s10
	v_lshlrev_b64 v[7:8], 2, v[3:4]
	s_addc_u32 s11, s3, s11
	v_add_nc_u32_e32 v3, 0xfffffb80, v3
	s_add_i32 s6, s6, -1
	s_add_i32 s0, s0, -16
	s_cmp_le_i32 s6, s4
	v_add_co_u32 v7, vcc_lo, s5, v7
	v_add_co_ci_u32_e64 v8, null, s9, v8, vcc_lo
	s_load_dwordx2 s[10:11], s[10:11], 0x0
	global_load_dword v4, v[7:8], off
	v_max_f32_e32 v7, v0, v0
	s_waitcnt lgkmcnt(0)
	v_max_f32_e64 v8, s10, s10
	v_max_f32_e32 v7, v7, v8
	v_sub_f32_e32 v8, s10, v7
	v_sub_f32_e32 v0, v0, v7
	v_mul_f32_e32 v9, 0x3fb8aa3b, v8
	v_mul_f32_e32 v12, 0x3fb8aa3b, v0
	v_cmp_ngt_f32_e32 vcc_lo, 0xc2ce8ed0, v8
	v_fma_f32 v10, 0x3fb8aa3b, v8, -v9
	v_rndne_f32_e32 v11, v9
	v_fma_f32 v13, 0x3fb8aa3b, v0, -v12
	v_rndne_f32_e32 v14, v12
	v_fmac_f32_e32 v10, 0x32a5705f, v8
	v_sub_f32_e32 v9, v9, v11
	v_fmac_f32_e32 v13, 0x32a5705f, v0
	v_cvt_i32_f32_e32 v11, v11
	v_add_f32_e32 v9, v9, v10
	v_sub_f32_e32 v10, v12, v14
	v_exp_f32_e32 v9, v9
	v_add_f32_e32 v10, v10, v13
	v_exp_f32_e32 v10, v10
	v_ldexp_f32 v9, v9, v11
	v_cvt_i32_f32_e32 v11, v14
	v_cndmask_b32_e32 v9, 0, v9, vcc_lo
	v_cmp_nlt_f32_e32 vcc_lo, 0x42b17218, v8
	v_ldexp_f32 v10, v10, v11
	v_mov_b32_e32 v11, v6
	v_cndmask_b32_e32 v9, 0x7f800000, v9, vcc_lo
	v_cmp_ngt_f32_e32 vcc_lo, 0xc2ce8ed0, v0
	v_cndmask_b32_e32 v10, 0, v10, vcc_lo
	v_cmp_le_f32_e32 vcc_lo, 0xc1a00000, v8
	v_cndmask_b32_e32 v8, 0, v9, vcc_lo
	v_cmp_nlt_f32_e32 vcc_lo, 0x42b17218, v0
	s_waitcnt vmcnt(1)
	v_mov_b32_e32 v9, v5
	v_cndmask_b32_e32 v5, 0x7f800000, v10, vcc_lo
	v_mul_f32_e32 v10, s11, v8
	v_cmp_le_f32_e32 vcc_lo, 0xc1a00000, v0
	v_mov_b32_e32 v0, v7
	v_mov_b32_e32 v6, v10
	v_cndmask_b32_e32 v12, 0, v5, vcc_lo
	v_fmac_f32_e32 v6, v11, v12
	s_waitcnt vmcnt(0)
	v_mul_f32_e32 v5, v4, v8
	v_fmac_f32_e32 v5, v9, v12
	s_cbranch_scc0 .LBB41_3
	s_branch .LBB41_5
.LBB41_4:
	s_waitcnt lgkmcnt(0)
	v_mov_b32_e32 v6, s13
.LBB41_5:
	s_waitcnt vmcnt(0)
	v_div_scale_f32 v0, null, v6, v6, v5
	v_rcp_f32_e32 v3, v0
	v_fma_f32 v4, -v0, v3, 1.0
	v_fmac_f32_e32 v3, v4, v3
	v_div_scale_f32 v4, vcc_lo, v5, v6, v5
	v_mul_f32_e32 v7, v4, v3
	v_fma_f32 v8, -v0, v7, v4
	v_fmac_f32_e32 v7, v8, v3
	v_fma_f32 v0, -v0, v7, v4
	v_div_fmas_f32 v0, v0, v3, v7
	v_div_fixup_f32 v0, v0, v6, v5
	global_store_dword v[1:2], v0, off
.LBB41_6:
	s_endpgm
	.section	.rodata,"a",@progbits
	.p2align	6, 0x0
	.amdhsa_kernel _ZL33flash_attn_stream_k_fixup_uniformILi72ELi8ELi2EEvPfPK15HIP_vector_typeIfLj2EEiiiiiiS1_IjLj3EES5_S5_
		.amdhsa_group_segment_fixed_size 0
		.amdhsa_private_segment_fixed_size 0
		.amdhsa_kernarg_size 76
		.amdhsa_user_sgpr_count 6
		.amdhsa_user_sgpr_private_segment_buffer 1
		.amdhsa_user_sgpr_dispatch_ptr 0
		.amdhsa_user_sgpr_queue_ptr 0
		.amdhsa_user_sgpr_kernarg_segment_ptr 1
		.amdhsa_user_sgpr_dispatch_id 0
		.amdhsa_user_sgpr_flat_scratch_init 0
		.amdhsa_user_sgpr_private_segment_size 0
		.amdhsa_wavefront_size32 1
		.amdhsa_uses_dynamic_stack 0
		.amdhsa_system_sgpr_private_segment_wavefront_offset 0
		.amdhsa_system_sgpr_workgroup_id_x 1
		.amdhsa_system_sgpr_workgroup_id_y 1
		.amdhsa_system_sgpr_workgroup_id_z 1
		.amdhsa_system_sgpr_workgroup_info 0
		.amdhsa_system_vgpr_workitem_id 0
		.amdhsa_next_free_vgpr 15
		.amdhsa_next_free_sgpr 24
		.amdhsa_reserve_vcc 1
		.amdhsa_reserve_flat_scratch 0
		.amdhsa_float_round_mode_32 0
		.amdhsa_float_round_mode_16_64 0
		.amdhsa_float_denorm_mode_32 3
		.amdhsa_float_denorm_mode_16_64 3
		.amdhsa_dx10_clamp 1
		.amdhsa_ieee_mode 1
		.amdhsa_fp16_overflow 0
		.amdhsa_workgroup_processor_mode 1
		.amdhsa_memory_ordered 1
		.amdhsa_forward_progress 1
		.amdhsa_shared_vgpr_count 0
		.amdhsa_exception_fp_ieee_invalid_op 0
		.amdhsa_exception_fp_denorm_src 0
		.amdhsa_exception_fp_ieee_div_zero 0
		.amdhsa_exception_fp_ieee_overflow 0
		.amdhsa_exception_fp_ieee_underflow 0
		.amdhsa_exception_fp_ieee_inexact 0
		.amdhsa_exception_int_div_zero 0
	.end_amdhsa_kernel
	.section	.text._ZL33flash_attn_stream_k_fixup_uniformILi72ELi8ELi2EEvPfPK15HIP_vector_typeIfLj2EEiiiiiiS1_IjLj3EES5_S5_,"axG",@progbits,_ZL33flash_attn_stream_k_fixup_uniformILi72ELi8ELi2EEvPfPK15HIP_vector_typeIfLj2EEiiiiiiS1_IjLj3EES5_S5_,comdat
.Lfunc_end41:
	.size	_ZL33flash_attn_stream_k_fixup_uniformILi72ELi8ELi2EEvPfPK15HIP_vector_typeIfLj2EEiiiiiiS1_IjLj3EES5_S5_, .Lfunc_end41-_ZL33flash_attn_stream_k_fixup_uniformILi72ELi8ELi2EEvPfPK15HIP_vector_typeIfLj2EEiiiiiiS1_IjLj3EES5_S5_
                                        ; -- End function
	.set _ZL33flash_attn_stream_k_fixup_uniformILi72ELi8ELi2EEvPfPK15HIP_vector_typeIfLj2EEiiiiiiS1_IjLj3EES5_S5_.num_vgpr, 15
	.set _ZL33flash_attn_stream_k_fixup_uniformILi72ELi8ELi2EEvPfPK15HIP_vector_typeIfLj2EEiiiiiiS1_IjLj3EES5_S5_.num_agpr, 0
	.set _ZL33flash_attn_stream_k_fixup_uniformILi72ELi8ELi2EEvPfPK15HIP_vector_typeIfLj2EEiiiiiiS1_IjLj3EES5_S5_.numbered_sgpr, 24
	.set _ZL33flash_attn_stream_k_fixup_uniformILi72ELi8ELi2EEvPfPK15HIP_vector_typeIfLj2EEiiiiiiS1_IjLj3EES5_S5_.num_named_barrier, 0
	.set _ZL33flash_attn_stream_k_fixup_uniformILi72ELi8ELi2EEvPfPK15HIP_vector_typeIfLj2EEiiiiiiS1_IjLj3EES5_S5_.private_seg_size, 0
	.set _ZL33flash_attn_stream_k_fixup_uniformILi72ELi8ELi2EEvPfPK15HIP_vector_typeIfLj2EEiiiiiiS1_IjLj3EES5_S5_.uses_vcc, 1
	.set _ZL33flash_attn_stream_k_fixup_uniformILi72ELi8ELi2EEvPfPK15HIP_vector_typeIfLj2EEiiiiiiS1_IjLj3EES5_S5_.uses_flat_scratch, 0
	.set _ZL33flash_attn_stream_k_fixup_uniformILi72ELi8ELi2EEvPfPK15HIP_vector_typeIfLj2EEiiiiiiS1_IjLj3EES5_S5_.has_dyn_sized_stack, 0
	.set _ZL33flash_attn_stream_k_fixup_uniformILi72ELi8ELi2EEvPfPK15HIP_vector_typeIfLj2EEiiiiiiS1_IjLj3EES5_S5_.has_recursion, 0
	.set _ZL33flash_attn_stream_k_fixup_uniformILi72ELi8ELi2EEvPfPK15HIP_vector_typeIfLj2EEiiiiiiS1_IjLj3EES5_S5_.has_indirect_call, 0
	.section	.AMDGPU.csdata,"",@progbits
; Kernel info:
; codeLenInByte = 848
; TotalNumSgprs: 26
; NumVgprs: 15
; ScratchSize: 0
; MemoryBound: 0
; FloatMode: 240
; IeeeMode: 1
; LDSByteSize: 0 bytes/workgroup (compile time only)
; SGPRBlocks: 0
; VGPRBlocks: 1
; NumSGPRsForWavesPerEU: 26
; NumVGPRsForWavesPerEU: 15
; Occupancy: 16
; WaveLimiterHint : 0
; COMPUTE_PGM_RSRC2:SCRATCH_EN: 0
; COMPUTE_PGM_RSRC2:USER_SGPR: 6
; COMPUTE_PGM_RSRC2:TRAP_HANDLER: 0
; COMPUTE_PGM_RSRC2:TGID_X_EN: 1
; COMPUTE_PGM_RSRC2:TGID_Y_EN: 1
; COMPUTE_PGM_RSRC2:TGID_Z_EN: 1
; COMPUTE_PGM_RSRC2:TIDIG_COMP_CNT: 0
	.section	.text._ZL33flash_attn_stream_k_fixup_generalILi72ELi8ELi2EEvPfPK15HIP_vector_typeIfLj2EEiiiiS1_IjLj3EES5_S5_S5_,"axG",@progbits,_ZL33flash_attn_stream_k_fixup_generalILi72ELi8ELi2EEvPfPK15HIP_vector_typeIfLj2EEiiiiS1_IjLj3EES5_S5_S5_,comdat
	.globl	_ZL33flash_attn_stream_k_fixup_generalILi72ELi8ELi2EEvPfPK15HIP_vector_typeIfLj2EEiiiiS1_IjLj3EES5_S5_S5_ ; -- Begin function _ZL33flash_attn_stream_k_fixup_generalILi72ELi8ELi2EEvPfPK15HIP_vector_typeIfLj2EEiiiiS1_IjLj3EES5_S5_S5_
	.p2align	8
	.type	_ZL33flash_attn_stream_k_fixup_generalILi72ELi8ELi2EEvPfPK15HIP_vector_typeIfLj2EEiiiiS1_IjLj3EES5_S5_S5_,@function
_ZL33flash_attn_stream_k_fixup_generalILi72ELi8ELi2EEvPfPK15HIP_vector_typeIfLj2EEiiiiS1_IjLj3EES5_S5_S5_: ; @_ZL33flash_attn_stream_k_fixup_generalILi72ELi8ELi2EEvPfPK15HIP_vector_typeIfLj2EEiiiiS1_IjLj3EES5_S5_S5_
; %bb.0:
	s_clause 0x1
	s_load_dwordx4 s[0:3], s[4:5], 0x10
	s_load_dword s9, s[4:5], 0x50
	s_mov_b32 s16, 0
	s_waitcnt lgkmcnt(0)
	s_mul_hi_i32 s17, s3, s6
	s_mul_i32 s18, s3, s6
	s_cmp_lg_u64 s[16:17], 0
	s_cbranch_scc0 .LBB42_21
; %bb.1:
	s_add_u32 s10, s9, 0
	s_addc_u32 s11, 0, 0
	s_xor_b64 s[10:11], s[10:11], 0
	v_cvt_f32_u32_e32 v1, s10
	v_cvt_f32_u32_e32 v2, s11
	s_sub_u32 s14, 0, s10
	s_subb_u32 s15, 0, s11
	v_fmamk_f32 v1, v2, 0x4f800000, v1
	v_rcp_f32_e32 v1, v1
	v_mul_f32_e32 v1, 0x5f7ffffc, v1
	v_mul_f32_e32 v2, 0x2f800000, v1
	v_trunc_f32_e32 v2, v2
	v_fmamk_f32 v1, v2, 0xcf800000, v1
	v_cvt_u32_f32_e32 v2, v2
	v_cvt_u32_f32_e32 v1, v1
	v_readfirstlane_b32 s12, v2
	v_readfirstlane_b32 s13, v1
	s_mul_i32 s19, s14, s12
	s_mul_hi_u32 s21, s14, s13
	s_mul_i32 s20, s15, s13
	s_add_i32 s19, s21, s19
	s_mul_i32 s22, s14, s13
	s_add_i32 s19, s19, s20
	s_mul_hi_u32 s21, s13, s22
	s_mul_i32 s24, s13, s19
	s_mul_hi_u32 s23, s12, s22
	s_mul_i32 s20, s12, s22
	s_mul_hi_u32 s22, s13, s19
	s_add_u32 s21, s21, s24
	s_addc_u32 s22, 0, s22
	s_mul_hi_u32 s25, s12, s19
	s_add_u32 s20, s21, s20
	s_mul_i32 s19, s12, s19
	s_addc_u32 s20, s22, s23
	s_addc_u32 s21, s25, 0
	s_add_u32 s19, s20, s19
	s_addc_u32 s20, 0, s21
	s_add_u32 s13, s13, s19
	s_cselect_b32 s19, -1, 0
	s_mul_hi_u32 s21, s14, s13
	s_cmp_lg_u32 s19, 0
	s_mul_i32 s19, s14, s13
	s_addc_u32 s12, s12, s20
	s_mul_i32 s15, s15, s13
	s_mul_i32 s14, s14, s12
	s_mul_hi_u32 s20, s13, s19
	s_add_i32 s14, s21, s14
	s_mul_hi_u32 s21, s12, s19
	s_add_i32 s14, s14, s15
	s_mul_i32 s15, s12, s19
	s_mul_i32 s23, s13, s14
	s_mul_hi_u32 s22, s13, s14
	s_add_u32 s20, s20, s23
	s_addc_u32 s22, 0, s22
	s_mul_hi_u32 s19, s12, s14
	s_add_u32 s15, s20, s15
	s_mul_i32 s14, s12, s14
	s_addc_u32 s15, s22, s21
	s_addc_u32 s19, s19, 0
	s_add_u32 s14, s15, s14
	s_addc_u32 s15, 0, s19
	s_add_u32 s19, s13, s14
	s_cselect_b32 s13, -1, 0
	s_cmp_lg_u32 s13, 0
	s_addc_u32 s20, s12, s15
	s_ashr_i32 s12, s17, 31
	s_add_u32 s14, s18, s12
	s_mov_b32 s13, s12
	s_addc_u32 s15, s17, s12
	s_xor_b64 s[14:15], s[14:15], s[12:13]
	s_mul_i32 s21, s14, s20
	s_mul_hi_u32 s22, s14, s19
	s_mul_hi_u32 s17, s14, s20
	;; [unrolled: 1-line block ×3, first 2 shown]
	s_mul_i32 s19, s15, s19
	s_add_u32 s21, s22, s21
	s_addc_u32 s17, 0, s17
	s_mul_hi_u32 s23, s15, s20
	s_add_u32 s19, s21, s19
	s_mul_i32 s20, s15, s20
	s_addc_u32 s17, s17, s24
	s_addc_u32 s19, s23, 0
	s_add_u32 s17, s17, s20
	s_addc_u32 s19, 0, s19
	s_mul_hi_u32 s20, s10, s17
	s_mul_i32 s21, s10, s19
	s_mul_i32 s22, s11, s17
	s_add_i32 s20, s20, s21
	s_mul_i32 s21, s10, s17
	s_add_i32 s20, s20, s22
	s_sub_i32 s22, s15, s20
	s_sub_u32 s14, s14, s21
	s_cselect_b32 s21, -1, 0
	s_cmp_lg_u32 s21, 0
	s_subb_u32 s22, s22, s11
	s_sub_u32 s23, s14, s10
	s_cselect_b32 s24, -1, 0
	s_cmp_lg_u32 s24, 0
	s_subb_u32 s22, s22, 0
	s_cmp_ge_u32 s22, s11
	s_cselect_b32 s24, -1, 0
	s_cmp_ge_u32 s23, s10
	s_cselect_b32 s23, -1, 0
	s_cmp_eq_u32 s22, s11
	s_cselect_b32 s22, s23, s24
	s_add_u32 s23, s17, 1
	s_addc_u32 s24, s19, 0
	s_add_u32 s25, s17, 2
	s_addc_u32 s26, s19, 0
	s_cmp_lg_u32 s22, 0
	s_cselect_b32 s22, s25, s23
	s_cselect_b32 s23, s26, s24
	s_cmp_lg_u32 s21, 0
	s_subb_u32 s15, s15, s20
	s_cmp_ge_u32 s15, s11
	s_cselect_b32 s20, -1, 0
	s_cmp_ge_u32 s14, s10
	s_cselect_b32 s10, -1, 0
	s_cmp_eq_u32 s15, s11
	s_cselect_b32 s10, s10, s20
	s_cmp_lg_u32 s10, 0
	s_cselect_b32 s11, s23, s19
	s_cselect_b32 s10, s22, s17
	s_xor_b64 s[12:13], s[12:13], 0
	s_xor_b64 s[10:11], s[10:11], s[12:13]
	s_sub_u32 s10, s10, s12
	s_load_dwordx4 s[12:15], s[4:5], 0x44
	s_andn2_b32 vcc_lo, exec_lo, s16
	s_cbranch_vccnz .LBB42_3
.LBB42_2:
	v_cvt_f32_u32_e32 v1, s9
	s_sub_i32 s11, 0, s9
	v_rcp_iflag_f32_e32 v1, v1
	v_mul_f32_e32 v1, 0x4f7ffffe, v1
	v_cvt_u32_f32_e32 v1, v1
	v_readfirstlane_b32 s10, v1
	s_mul_i32 s11, s11, s10
	s_mul_hi_u32 s11, s10, s11
	s_add_i32 s10, s10, s11
	s_mul_hi_u32 s10, s18, s10
	s_mul_i32 s11, s10, s9
	s_waitcnt lgkmcnt(0)
	s_add_i32 s15, s10, 1
	s_sub_i32 s11, s18, s11
	s_sub_i32 s16, s11, s9
	s_cmp_ge_u32 s11, s9
	s_cselect_b32 s10, s15, s10
	s_cselect_b32 s11, s16, s11
	s_add_i32 s15, s10, 1
	s_cmp_ge_u32 s11, s9
	s_cselect_b32 s10, s15, s10
.LBB42_3:
	s_add_i32 s11, s6, 1
	s_mov_b32 s16, 0
	s_mul_hi_i32 s17, s3, s11
	s_mul_i32 s11, s3, s11
	s_cmp_lg_u64 s[16:17], 0
	s_cbranch_scc0 .LBB42_22
; %bb.4:
	s_add_u32 s18, s9, 0
	s_addc_u32 s19, 0, 0
	s_xor_b64 s[18:19], s[18:19], 0
	v_cvt_f32_u32_e32 v1, s18
	v_cvt_f32_u32_e32 v2, s19
	s_sub_u32 s21, 0, s18
	s_subb_u32 s22, 0, s19
	v_fmamk_f32 v1, v2, 0x4f800000, v1
	v_rcp_f32_e32 v1, v1
	v_mul_f32_e32 v1, 0x5f7ffffc, v1
	v_mul_f32_e32 v2, 0x2f800000, v1
	v_trunc_f32_e32 v2, v2
	v_fmamk_f32 v1, v2, 0xcf800000, v1
	v_cvt_u32_f32_e32 v2, v2
	v_cvt_u32_f32_e32 v1, v1
	s_waitcnt lgkmcnt(0)
	v_readfirstlane_b32 s15, v2
	v_readfirstlane_b32 s20, v1
	s_mul_i32 s23, s21, s15
	s_mul_hi_u32 s25, s21, s20
	s_mul_i32 s24, s22, s20
	s_add_i32 s23, s25, s23
	s_mul_i32 s26, s21, s20
	s_add_i32 s23, s23, s24
	s_mul_hi_u32 s25, s20, s26
	s_mul_i32 s28, s20, s23
	s_mul_hi_u32 s27, s15, s26
	s_mul_i32 s24, s15, s26
	s_mul_hi_u32 s26, s20, s23
	s_add_u32 s25, s25, s28
	s_addc_u32 s26, 0, s26
	s_mul_hi_u32 s29, s15, s23
	s_add_u32 s24, s25, s24
	s_mul_i32 s23, s15, s23
	s_addc_u32 s24, s26, s27
	s_addc_u32 s25, s29, 0
	s_add_u32 s23, s24, s23
	s_addc_u32 s24, 0, s25
	s_add_u32 s20, s20, s23
	s_cselect_b32 s23, -1, 0
	s_mul_hi_u32 s25, s21, s20
	s_cmp_lg_u32 s23, 0
	s_mul_i32 s23, s21, s20
	s_addc_u32 s15, s15, s24
	s_mul_i32 s22, s22, s20
	s_mul_i32 s21, s21, s15
	s_mul_hi_u32 s24, s20, s23
	s_add_i32 s21, s25, s21
	s_mul_hi_u32 s25, s15, s23
	s_add_i32 s21, s21, s22
	s_mul_i32 s22, s15, s23
	s_mul_i32 s27, s20, s21
	s_mul_hi_u32 s26, s20, s21
	s_add_u32 s24, s24, s27
	s_addc_u32 s26, 0, s26
	s_mul_hi_u32 s23, s15, s21
	s_add_u32 s22, s24, s22
	s_mul_i32 s21, s15, s21
	s_addc_u32 s22, s26, s25
	s_addc_u32 s23, s23, 0
	s_add_u32 s21, s22, s21
	s_addc_u32 s22, 0, s23
	s_add_u32 s24, s20, s21
	s_cselect_b32 s20, -1, 0
	s_cmp_lg_u32 s20, 0
	s_addc_u32 s15, s15, s22
	s_ashr_i32 s20, s17, 31
	s_add_u32 s22, s11, s20
	s_mov_b32 s21, s20
	s_addc_u32 s23, s17, s20
	s_xor_b64 s[22:23], s[22:23], s[20:21]
	s_mul_i32 s25, s22, s15
	s_mul_hi_u32 s26, s22, s24
	s_mul_hi_u32 s17, s22, s15
	;; [unrolled: 1-line block ×3, first 2 shown]
	s_mul_i32 s24, s23, s24
	s_add_u32 s25, s26, s25
	s_addc_u32 s17, 0, s17
	s_mul_hi_u32 s27, s23, s15
	s_add_u32 s24, s25, s24
	s_mul_i32 s15, s23, s15
	s_addc_u32 s17, s17, s28
	s_addc_u32 s24, s27, 0
	s_add_u32 s15, s17, s15
	s_addc_u32 s17, 0, s24
	s_mul_hi_u32 s24, s18, s15
	s_mul_i32 s25, s18, s17
	s_mul_i32 s26, s19, s15
	s_add_i32 s24, s24, s25
	s_mul_i32 s25, s18, s15
	s_add_i32 s24, s24, s26
	s_sub_i32 s26, s23, s24
	s_sub_u32 s22, s22, s25
	s_cselect_b32 s25, -1, 0
	s_cmp_lg_u32 s25, 0
	s_subb_u32 s26, s26, s19
	s_sub_u32 s27, s22, s18
	s_cselect_b32 s28, -1, 0
	s_cmp_lg_u32 s28, 0
	s_subb_u32 s26, s26, 0
	s_cmp_ge_u32 s26, s19
	s_cselect_b32 s28, -1, 0
	s_cmp_ge_u32 s27, s18
	s_cselect_b32 s27, -1, 0
	s_cmp_eq_u32 s26, s19
	s_cselect_b32 s26, s27, s28
	s_add_u32 s27, s15, 1
	s_addc_u32 s28, s17, 0
	s_add_u32 s29, s15, 2
	s_addc_u32 s30, s17, 0
	s_cmp_lg_u32 s26, 0
	s_cselect_b32 s26, s29, s27
	s_cselect_b32 s27, s30, s28
	s_cmp_lg_u32 s25, 0
	s_subb_u32 s23, s23, s24
	s_cmp_ge_u32 s23, s19
	s_cselect_b32 s24, -1, 0
	s_cmp_ge_u32 s22, s18
	s_cselect_b32 s18, -1, 0
	s_cmp_eq_u32 s23, s19
	s_cselect_b32 s18, s18, s24
	s_cmp_lg_u32 s18, 0
	s_cselect_b32 s19, s27, s17
	s_cselect_b32 s18, s26, s15
	s_xor_b64 s[20:21], s[20:21], 0
	s_xor_b64 s[18:19], s[18:19], s[20:21]
	s_sub_u32 s18, s18, s20
	s_andn2_b32 vcc_lo, exec_lo, s16
	s_cbranch_vccnz .LBB42_6
.LBB42_5:
	v_cvt_f32_u32_e32 v1, s9
	s_sub_i32 s16, 0, s9
	v_rcp_iflag_f32_e32 v1, v1
	v_mul_f32_e32 v1, 0x4f7ffffe, v1
	v_cvt_u32_f32_e32 v1, v1
	s_waitcnt lgkmcnt(0)
	v_readfirstlane_b32 s15, v1
	s_mul_i32 s16, s16, s15
	s_mul_hi_u32 s16, s15, s16
	s_add_i32 s15, s15, s16
	s_mul_hi_u32 s15, s11, s15
	s_mul_i32 s16, s15, s9
	s_sub_i32 s11, s11, s16
	s_add_i32 s16, s15, 1
	s_sub_i32 s17, s11, s9
	s_cmp_ge_u32 s11, s9
	s_cselect_b32 s15, s16, s15
	s_cselect_b32 s11, s17, s11
	s_add_i32 s16, s15, 1
	s_cmp_ge_u32 s11, s9
	s_cselect_b32 s18, s16, s15
.LBB42_6:
	s_cmp_eq_u32 s10, s18
	s_waitcnt lgkmcnt(0)
	s_mul_hi_u32 s11, s10, s12
	s_cselect_b32 s15, -1, 0
	s_add_i32 s11, s11, s10
	s_lshr_b32 s11, s11, s13
	s_mul_i32 s16, s11, s14
	s_cmp_eq_u32 s16, s10
	s_mul_hi_u32 s16, s18, s12
	s_cselect_b32 s17, -1, 0
	s_add_i32 s16, s16, s18
	s_lshr_b32 s16, s16, s13
	s_cmp_eq_u32 s11, s16
	s_mul_i32 s16, s16, s14
	s_cselect_b32 s19, -1, 0
	s_cmp_lg_u32 s16, s18
	s_cselect_b32 s16, -1, 0
	s_or_b32 s15, s15, s17
	s_and_b32 s16, s19, s16
	s_or_b32 s15, s15, s16
	s_and_b32 vcc_lo, exec_lo, s15
	s_cbranch_vccnz .LBB42_24
; %bb.7:
	s_clause 0x1
	s_load_dwordx8 s[20:27], s[4:5], 0x20
	s_load_dword s16, s[4:5], 0x40
	s_waitcnt lgkmcnt(0)
	s_mul_hi_u32 s15, s10, s20
	s_add_i32 s15, s15, s10
	s_lshr_b32 s15, s15, s21
	s_mul_i32 s17, s15, s22
	s_sub_i32 s17, s10, s17
	s_mul_hi_u32 s18, s17, s23
	s_add_i32 s18, s17, s18
	s_lshr_b32 s21, s18, s24
	s_mul_i32 s18, s21, s25
	s_sub_i32 s17, s17, s18
	s_mul_hi_u32 s18, s17, s26
	s_add_i32 s18, s17, s18
	s_lshr_b32 s18, s18, s27
	s_mul_i32 s16, s18, s16
	s_lshl_b32 s22, s18, 1
	s_sub_i32 s16, s17, s16
	s_mul_hi_u32 s17, s16, s12
	s_add_i32 s16, s16, s17
	s_lshr_b32 s20, s16, s13
	s_lshl_b32 s16, s20, 3
	s_add_i32 s16, s16, s7
	s_cmp_lt_i32 s16, s0
	s_cselect_b32 s16, -1, 0
	s_add_i32 s22, s22, s8
	s_cmp_lt_i32 s22, s2
	s_cselect_b32 s17, -1, 0
	s_and_b32 s16, s16, s17
	s_andn2_b32 vcc_lo, exec_lo, s16
	s_cbranch_vccnz .LBB42_24
; %bb.8:
	s_load_dwordx4 s[16:19], s[4:5], 0x0
	s_mov_b32 s4, 0
	s_lshl_b32 s24, s9, 6
	s_mov_b32 s25, s4
	s_lshl_b32 s5, s7, 1
	s_lshl_b64 s[24:25], s[24:25], 2
	s_mul_i32 s21, s21, s2
	s_mul_i32 s0, s15, s0
	s_add_i32 s2, s5, s8
	v_cvt_f32_u32_e32 v3, s9
	v_rcp_iflag_f32_e32 v3, v3
	s_waitcnt lgkmcnt(0)
	s_add_u32 s8, s18, s24
	s_addc_u32 s15, s19, s25
	s_add_i32 s0, s0, s7
	s_add_i32 s5, s22, s21
	s_mul_i32 s0, s0, s1
	s_mul_i32 s1, s1, s20
	s_add_i32 s0, s5, s0
	s_mulk_i32 s1, 0x240
	s_mulk_i32 s0, 0x48
	v_mul_f32_e32 v7, 0x4f7ffffe, v3
	v_add3_u32 v1, s1, s0, v0
	s_lshl_b32 s0, s6, 4
	s_add_i32 s0, s2, s0
	v_ashrrev_i32_e32 v2, 31, v1
	s_ashr_i32 s1, s0, 31
	s_lshl_b64 s[0:1], s[0:1], 3
	v_lshlrev_b64 v[1:2], 2, v[1:2]
	s_add_u32 s0, s18, s0
	s_addc_u32 s1, s19, s1
	s_load_dwordx2 s[0:1], s[0:1], 0x0
	v_add_co_u32 v1, vcc_lo, s16, v1
	v_add_co_ci_u32_e64 v2, null, s17, v2, vcc_lo
	s_add_i32 s17, s6, -1
	v_mad_u64_u32 v[3:4], null, 0x48, s2, v[0:1]
	global_load_dword v5, v[1:2], off
	v_cvt_u32_f32_e32 v0, v7
	s_sub_i32 s16, 0, s9
	s_waitcnt lgkmcnt(0)
	v_mov_b32_e32 v4, s1
	v_mov_b32_e32 v6, s0
.LBB42_9:                               ; =>This Inner Loop Header: Depth=1
	s_mul_hi_i32 s5, s17, s3
	s_mul_i32 s6, s17, s3
	s_cmp_lg_u64 s[4:5], 0
	s_mov_b32 s7, -1
                                        ; implicit-def: $sgpr0_sgpr1
	s_cbranch_scc0 .LBB42_11
; %bb.10:                               ;   in Loop: Header=BB42_9 Depth=1
	s_add_u32 s0, s9, 0
	s_addc_u32 s1, 0, 0
	s_xor_b64 s[0:1], s[0:1], 0
	v_cvt_f32_u32_e32 v7, s0
	v_cvt_f32_u32_e32 v8, s1
	s_sub_u32 s21, 0, s0
	s_subb_u32 s22, 0, s1
	v_fmac_f32_e32 v7, 0x4f800000, v8
	v_rcp_f32_e32 v7, v7
	v_mul_f32_e32 v7, 0x5f7ffffc, v7
	v_mul_f32_e32 v8, 0x2f800000, v7
	v_trunc_f32_e32 v8, v8
	v_fmac_f32_e32 v7, 0xcf800000, v8
	v_cvt_u32_f32_e32 v8, v8
	v_cvt_u32_f32_e32 v7, v7
	v_readfirstlane_b32 s7, v8
	v_readfirstlane_b32 s20, v7
	s_mul_i32 s23, s21, s7
	s_mul_hi_u32 s25, s21, s20
	s_mul_i32 s24, s22, s20
	s_add_i32 s23, s25, s23
	s_mul_i32 s26, s21, s20
	s_add_i32 s23, s23, s24
	s_mul_hi_u32 s25, s20, s26
	s_mul_i32 s28, s20, s23
	s_mul_hi_u32 s27, s7, s26
	s_mul_i32 s24, s7, s26
	s_mul_hi_u32 s26, s20, s23
	s_add_u32 s25, s25, s28
	s_addc_u32 s26, 0, s26
	s_mul_hi_u32 s29, s7, s23
	s_add_u32 s24, s25, s24
	s_mul_i32 s23, s7, s23
	s_addc_u32 s24, s26, s27
	s_addc_u32 s25, s29, 0
	s_add_u32 s23, s24, s23
	s_addc_u32 s24, 0, s25
	s_add_u32 s20, s20, s23
	s_cselect_b32 s23, -1, 0
	s_mul_hi_u32 s25, s21, s20
	s_cmp_lg_u32 s23, 0
	s_mul_i32 s23, s21, s20
	s_addc_u32 s7, s7, s24
	s_mul_i32 s22, s22, s20
	s_mul_i32 s21, s21, s7
	s_mul_hi_u32 s24, s20, s23
	s_add_i32 s21, s25, s21
	s_mul_hi_u32 s25, s7, s23
	s_add_i32 s21, s21, s22
	s_mul_i32 s22, s7, s23
	s_mul_i32 s27, s20, s21
	s_mul_hi_u32 s26, s20, s21
	s_add_u32 s24, s24, s27
	s_addc_u32 s26, 0, s26
	s_mul_hi_u32 s23, s7, s21
	s_add_u32 s22, s24, s22
	s_mul_i32 s21, s7, s21
	s_addc_u32 s22, s26, s25
	s_addc_u32 s23, s23, 0
	s_add_u32 s21, s22, s21
	s_addc_u32 s22, 0, s23
	s_add_u32 s24, s20, s21
	s_cselect_b32 s20, -1, 0
	s_cmp_lg_u32 s20, 0
	s_addc_u32 s7, s7, s22
	s_ashr_i32 s20, s5, 31
	s_add_u32 s22, s6, s20
	s_mov_b32 s21, s20
	s_addc_u32 s23, s5, s20
	s_xor_b64 s[22:23], s[22:23], s[20:21]
	s_mul_i32 s25, s22, s7
	s_mul_hi_u32 s26, s22, s24
	s_mul_hi_u32 s5, s22, s7
	;; [unrolled: 1-line block ×3, first 2 shown]
	s_mul_i32 s24, s23, s24
	s_add_u32 s25, s26, s25
	s_addc_u32 s5, 0, s5
	s_mul_hi_u32 s27, s23, s7
	s_add_u32 s24, s25, s24
	s_mul_i32 s7, s23, s7
	s_addc_u32 s5, s5, s28
	s_addc_u32 s24, s27, 0
	s_add_u32 s5, s5, s7
	s_addc_u32 s7, 0, s24
	s_mul_hi_u32 s24, s0, s5
	s_mul_i32 s25, s0, s7
	s_mul_i32 s26, s1, s5
	s_add_i32 s24, s24, s25
	s_mul_i32 s25, s0, s5
	s_add_i32 s24, s24, s26
	s_sub_i32 s26, s23, s24
	s_sub_u32 s22, s22, s25
	s_cselect_b32 s25, -1, 0
	s_cmp_lg_u32 s25, 0
	s_subb_u32 s26, s26, s1
	s_sub_u32 s27, s22, s0
	s_cselect_b32 s28, -1, 0
	s_cmp_lg_u32 s28, 0
	s_subb_u32 s26, s26, 0
	s_cmp_ge_u32 s26, s1
	s_cselect_b32 s28, -1, 0
	s_cmp_ge_u32 s27, s0
	s_cselect_b32 s27, -1, 0
	s_cmp_eq_u32 s26, s1
	s_cselect_b32 s26, s27, s28
	s_add_u32 s27, s5, 1
	s_addc_u32 s28, s7, 0
	s_add_u32 s29, s5, 2
	s_addc_u32 s30, s7, 0
	s_cmp_lg_u32 s26, 0
	s_cselect_b32 s26, s29, s27
	s_cselect_b32 s27, s30, s28
	s_cmp_lg_u32 s25, 0
	s_subb_u32 s23, s23, s24
	s_cmp_ge_u32 s23, s1
	s_cselect_b32 s24, -1, 0
	s_cmp_ge_u32 s22, s0
	s_cselect_b32 s0, -1, 0
	s_cmp_eq_u32 s23, s1
	s_cselect_b32 s0, s0, s24
	s_cmp_lg_u32 s0, 0
	s_cselect_b32 s1, s27, s7
	s_cselect_b32 s0, s26, s5
	s_xor_b64 s[20:21], s[20:21], 0
	s_mov_b32 s7, 0
	s_xor_b64 s[0:1], s[0:1], s[20:21]
	s_sub_u32 s0, s0, s20
.LBB42_11:                              ;   in Loop: Header=BB42_9 Depth=1
	s_andn2_b32 vcc_lo, exec_lo, s7
	s_cbranch_vccnz .LBB42_13
; %bb.12:                               ;   in Loop: Header=BB42_9 Depth=1
	v_readfirstlane_b32 s0, v0
	s_mul_i32 s1, s16, s0
	s_mul_hi_u32 s1, s0, s1
	s_add_i32 s0, s0, s1
	s_mul_hi_u32 s0, s6, s0
	s_mul_i32 s1, s0, s9
	s_add_i32 s5, s0, 1
	s_sub_i32 s1, s6, s1
	s_sub_i32 s6, s1, s9
	s_cmp_ge_u32 s1, s9
	s_cselect_b32 s0, s5, s0
	s_cselect_b32 s1, s6, s1
	s_add_i32 s5, s0, 1
	s_cmp_ge_u32 s1, s9
	s_cselect_b32 s0, s5, s0
.LBB42_13:                              ;   in Loop: Header=BB42_9 Depth=1
	s_cmp_lg_u32 s10, s0
	s_mov_b32 s6, -1
                                        ; implicit-def: $sgpr5
                                        ; implicit-def: $vgpr8
                                        ; implicit-def: $vgpr7
                                        ; implicit-def: $vgpr9
                                        ; implicit-def: $sgpr1
                                        ; implicit-def: $sgpr20
	s_cbranch_scc0 .LBB42_18
; %bb.14:                               ;   in Loop: Header=BB42_9 Depth=1
	s_add_i32 s1, s17, s9
	s_mov_b32 s7, s4
	s_lshl_b32 s1, s1, 4
	s_mov_b32 s20, s10
	s_add_i32 s6, s1, s2
	s_mul_hi_u32 s1, s0, s12
	s_lshl_b64 s[6:7], s[6:7], 3
	s_add_u32 s6, s18, s6
	s_addc_u32 s7, s19, s7
	s_add_i32 s1, s1, s0
	s_lshr_b32 s1, s1, s13
	s_mul_i32 s5, s1, s14
	s_cmp_eq_u32 s5, s0
	s_cselect_b32 s5, -1, 0
	s_cmp_lt_u32 s1, s11
	s_cselect_b32 s1, -1, 0
	s_or_b32 s1, s1, s5
	s_mov_b32 s5, -1
	s_and_b32 vcc_lo, exec_lo, s1
	s_mov_b32 s1, s17
	s_cbranch_vccnz .LBB42_16
; %bb.15:                               ;   in Loop: Header=BB42_9 Depth=1
	s_add_i32 s1, s17, -1
	s_mov_b32 s5, 0
	s_mov_b32 s20, s0
.LBB42_16:                              ;   in Loop: Header=BB42_9 Depth=1
	v_mad_u64_u32 v[7:8], null, 0x480, s17, v[3:4]
	s_load_dwordx2 s[6:7], s[6:7], 0x0
	v_ashrrev_i32_e32 v8, 31, v7
	v_lshlrev_b64 v[7:8], 2, v[7:8]
	v_add_co_u32 v7, vcc_lo, s8, v7
	v_add_co_ci_u32_e64 v8, null, s15, v8, vcc_lo
	s_waitcnt lgkmcnt(0)
	v_max_f32_e64 v9, s6, s6
	global_load_dword v8, v[7:8], off
	v_max_f32_e32 v7, v6, v6
	v_max_f32_e32 v7, v7, v9
	v_sub_f32_e32 v9, s6, v7
	v_sub_f32_e32 v10, v6, v7
	v_mul_f32_e32 v11, 0x3fb8aa3b, v9
	v_mul_f32_e32 v12, 0x3fb8aa3b, v10
	v_cmp_ngt_f32_e32 vcc_lo, 0xc2ce8ed0, v9
	v_fma_f32 v13, 0x3fb8aa3b, v9, -v11
	v_rndne_f32_e32 v14, v11
	v_fma_f32 v15, 0x3fb8aa3b, v10, -v12
	v_rndne_f32_e32 v16, v12
	v_fmac_f32_e32 v13, 0x32a5705f, v9
	v_sub_f32_e32 v11, v11, v14
	v_fmac_f32_e32 v15, 0x32a5705f, v10
	v_sub_f32_e32 v12, v12, v16
	v_add_f32_e32 v11, v11, v13
	v_cvt_i32_f32_e32 v13, v14
	v_add_f32_e32 v12, v12, v15
	v_cvt_i32_f32_e32 v14, v16
	v_exp_f32_e32 v11, v11
	v_exp_f32_e32 v12, v12
	v_ldexp_f32 v11, v11, v13
	v_ldexp_f32 v12, v12, v14
	v_cndmask_b32_e32 v11, 0, v11, vcc_lo
	v_cmp_ngt_f32_e32 vcc_lo, 0xc2ce8ed0, v10
	v_cndmask_b32_e32 v12, 0, v12, vcc_lo
	v_cmp_nlt_f32_e32 vcc_lo, 0x42b17218, v9
	v_cndmask_b32_e32 v11, 0x7f800000, v11, vcc_lo
	v_cmp_nlt_f32_e32 vcc_lo, 0x42b17218, v10
	v_cndmask_b32_e32 v12, 0x7f800000, v12, vcc_lo
	v_cmp_le_f32_e32 vcc_lo, 0xc1a00000, v9
	v_cndmask_b32_e32 v9, 0, v11, vcc_lo
	v_cmp_le_f32_e32 vcc_lo, 0xc1a00000, v10
	v_cndmask_b32_e32 v10, 0, v12, vcc_lo
	s_waitcnt vmcnt(0)
	v_mul_f32_e32 v8, v8, v9
	v_mul_f32_e32 v9, s7, v9
	v_fmac_f32_e32 v8, v5, v10
	v_fmac_f32_e32 v9, v4, v10
	s_cbranch_execz .LBB42_19
.LBB42_17:                              ;   in Loop: Header=BB42_9 Depth=1
	s_andn2_b32 vcc_lo, exec_lo, s5
	s_cbranch_vccnz .LBB42_20
	s_branch .LBB42_23
.LBB42_18:                              ;   in Loop: Header=BB42_9 Depth=1
	s_andn2_b32 vcc_lo, exec_lo, s6
	s_cbranch_vccnz .LBB42_17
.LBB42_19:                              ;   in Loop: Header=BB42_9 Depth=1
	v_mov_b32_e32 v9, v4
	v_mov_b32_e32 v7, v6
	s_waitcnt vmcnt(0)
	v_mov_b32_e32 v8, v5
	s_add_i32 s1, s17, -1
	s_mov_b32 s20, s10
	s_cbranch_execz .LBB42_23
.LBB42_20:                              ;   in Loop: Header=BB42_9 Depth=1
	v_mov_b32_e32 v4, v9
	v_mov_b32_e32 v6, v7
	s_waitcnt vmcnt(0)
	v_mov_b32_e32 v5, v8
	s_mov_b32 s10, s20
	s_mov_b32 s17, s1
	s_branch .LBB42_9
.LBB42_21:
                                        ; implicit-def: $sgpr10_sgpr11
	s_load_dwordx4 s[12:15], s[4:5], 0x44
	s_branch .LBB42_2
.LBB42_22:
                                        ; implicit-def: $sgpr18_sgpr19
	s_branch .LBB42_5
.LBB42_23:
	v_div_scale_f32 v0, null, v9, v9, v8
	v_rcp_f32_e32 v3, v0
	v_fma_f32 v4, -v0, v3, 1.0
	v_fmac_f32_e32 v3, v4, v3
	v_div_scale_f32 v4, vcc_lo, v8, v9, v8
	s_waitcnt vmcnt(0)
	v_mul_f32_e32 v5, v4, v3
	v_fma_f32 v6, -v0, v5, v4
	v_fmac_f32_e32 v5, v6, v3
	v_fma_f32 v0, -v0, v5, v4
	v_div_fmas_f32 v0, v0, v3, v5
	v_div_fixup_f32 v0, v0, v9, v8
	global_store_dword v[1:2], v0, off
.LBB42_24:
	s_endpgm
	.section	.rodata,"a",@progbits
	.p2align	6, 0x0
	.amdhsa_kernel _ZL33flash_attn_stream_k_fixup_generalILi72ELi8ELi2EEvPfPK15HIP_vector_typeIfLj2EEiiiiS1_IjLj3EES5_S5_S5_
		.amdhsa_group_segment_fixed_size 0
		.amdhsa_private_segment_fixed_size 0
		.amdhsa_kernarg_size 336
		.amdhsa_user_sgpr_count 6
		.amdhsa_user_sgpr_private_segment_buffer 1
		.amdhsa_user_sgpr_dispatch_ptr 0
		.amdhsa_user_sgpr_queue_ptr 0
		.amdhsa_user_sgpr_kernarg_segment_ptr 1
		.amdhsa_user_sgpr_dispatch_id 0
		.amdhsa_user_sgpr_flat_scratch_init 0
		.amdhsa_user_sgpr_private_segment_size 0
		.amdhsa_wavefront_size32 1
		.amdhsa_uses_dynamic_stack 0
		.amdhsa_system_sgpr_private_segment_wavefront_offset 0
		.amdhsa_system_sgpr_workgroup_id_x 1
		.amdhsa_system_sgpr_workgroup_id_y 1
		.amdhsa_system_sgpr_workgroup_id_z 1
		.amdhsa_system_sgpr_workgroup_info 0
		.amdhsa_system_vgpr_workitem_id 0
		.amdhsa_next_free_vgpr 17
		.amdhsa_next_free_sgpr 31
		.amdhsa_reserve_vcc 1
		.amdhsa_reserve_flat_scratch 0
		.amdhsa_float_round_mode_32 0
		.amdhsa_float_round_mode_16_64 0
		.amdhsa_float_denorm_mode_32 3
		.amdhsa_float_denorm_mode_16_64 3
		.amdhsa_dx10_clamp 1
		.amdhsa_ieee_mode 1
		.amdhsa_fp16_overflow 0
		.amdhsa_workgroup_processor_mode 1
		.amdhsa_memory_ordered 1
		.amdhsa_forward_progress 1
		.amdhsa_shared_vgpr_count 0
		.amdhsa_exception_fp_ieee_invalid_op 0
		.amdhsa_exception_fp_denorm_src 0
		.amdhsa_exception_fp_ieee_div_zero 0
		.amdhsa_exception_fp_ieee_overflow 0
		.amdhsa_exception_fp_ieee_underflow 0
		.amdhsa_exception_fp_ieee_inexact 0
		.amdhsa_exception_int_div_zero 0
	.end_amdhsa_kernel
	.section	.text._ZL33flash_attn_stream_k_fixup_generalILi72ELi8ELi2EEvPfPK15HIP_vector_typeIfLj2EEiiiiS1_IjLj3EES5_S5_S5_,"axG",@progbits,_ZL33flash_attn_stream_k_fixup_generalILi72ELi8ELi2EEvPfPK15HIP_vector_typeIfLj2EEiiiiS1_IjLj3EES5_S5_S5_,comdat
.Lfunc_end42:
	.size	_ZL33flash_attn_stream_k_fixup_generalILi72ELi8ELi2EEvPfPK15HIP_vector_typeIfLj2EEiiiiS1_IjLj3EES5_S5_S5_, .Lfunc_end42-_ZL33flash_attn_stream_k_fixup_generalILi72ELi8ELi2EEvPfPK15HIP_vector_typeIfLj2EEiiiiS1_IjLj3EES5_S5_S5_
                                        ; -- End function
	.set _ZL33flash_attn_stream_k_fixup_generalILi72ELi8ELi2EEvPfPK15HIP_vector_typeIfLj2EEiiiiS1_IjLj3EES5_S5_S5_.num_vgpr, 17
	.set _ZL33flash_attn_stream_k_fixup_generalILi72ELi8ELi2EEvPfPK15HIP_vector_typeIfLj2EEiiiiS1_IjLj3EES5_S5_S5_.num_agpr, 0
	.set _ZL33flash_attn_stream_k_fixup_generalILi72ELi8ELi2EEvPfPK15HIP_vector_typeIfLj2EEiiiiS1_IjLj3EES5_S5_S5_.numbered_sgpr, 31
	.set _ZL33flash_attn_stream_k_fixup_generalILi72ELi8ELi2EEvPfPK15HIP_vector_typeIfLj2EEiiiiS1_IjLj3EES5_S5_S5_.num_named_barrier, 0
	.set _ZL33flash_attn_stream_k_fixup_generalILi72ELi8ELi2EEvPfPK15HIP_vector_typeIfLj2EEiiiiS1_IjLj3EES5_S5_S5_.private_seg_size, 0
	.set _ZL33flash_attn_stream_k_fixup_generalILi72ELi8ELi2EEvPfPK15HIP_vector_typeIfLj2EEiiiiS1_IjLj3EES5_S5_S5_.uses_vcc, 1
	.set _ZL33flash_attn_stream_k_fixup_generalILi72ELi8ELi2EEvPfPK15HIP_vector_typeIfLj2EEiiiiS1_IjLj3EES5_S5_S5_.uses_flat_scratch, 0
	.set _ZL33flash_attn_stream_k_fixup_generalILi72ELi8ELi2EEvPfPK15HIP_vector_typeIfLj2EEiiiiS1_IjLj3EES5_S5_S5_.has_dyn_sized_stack, 0
	.set _ZL33flash_attn_stream_k_fixup_generalILi72ELi8ELi2EEvPfPK15HIP_vector_typeIfLj2EEiiiiS1_IjLj3EES5_S5_S5_.has_recursion, 0
	.set _ZL33flash_attn_stream_k_fixup_generalILi72ELi8ELi2EEvPfPK15HIP_vector_typeIfLj2EEiiiiS1_IjLj3EES5_S5_S5_.has_indirect_call, 0
	.section	.AMDGPU.csdata,"",@progbits
; Kernel info:
; codeLenInByte = 2948
; TotalNumSgprs: 33
; NumVgprs: 17
; ScratchSize: 0
; MemoryBound: 0
; FloatMode: 240
; IeeeMode: 1
; LDSByteSize: 0 bytes/workgroup (compile time only)
; SGPRBlocks: 0
; VGPRBlocks: 2
; NumSGPRsForWavesPerEU: 33
; NumVGPRsForWavesPerEU: 17
; Occupancy: 16
; WaveLimiterHint : 0
; COMPUTE_PGM_RSRC2:SCRATCH_EN: 0
; COMPUTE_PGM_RSRC2:USER_SGPR: 6
; COMPUTE_PGM_RSRC2:TRAP_HANDLER: 0
; COMPUTE_PGM_RSRC2:TGID_X_EN: 1
; COMPUTE_PGM_RSRC2:TGID_Y_EN: 1
; COMPUTE_PGM_RSRC2:TGID_Z_EN: 1
; COMPUTE_PGM_RSRC2:TIDIG_COMP_CNT: 0
	.section	.text._ZL15flash_attn_tileILi72ELi72ELi4ELi2ELb0EEvPKcS1_S1_S1_S1_PKiPfP15HIP_vector_typeIfLj2EEffffjfiS5_IjLj3EEiiiiiiiiiiiliiliiiiil,"axG",@progbits,_ZL15flash_attn_tileILi72ELi72ELi4ELi2ELb0EEvPKcS1_S1_S1_S1_PKiPfP15HIP_vector_typeIfLj2EEffffjfiS5_IjLj3EEiiiiiiiiiiiliiliiiiil,comdat
	.globl	_ZL15flash_attn_tileILi72ELi72ELi4ELi2ELb0EEvPKcS1_S1_S1_S1_PKiPfP15HIP_vector_typeIfLj2EEffffjfiS5_IjLj3EEiiiiiiiiiiiliiliiiiil ; -- Begin function _ZL15flash_attn_tileILi72ELi72ELi4ELi2ELb0EEvPKcS1_S1_S1_S1_PKiPfP15HIP_vector_typeIfLj2EEffffjfiS5_IjLj3EEiiiiiiiiiiiliiliiiiil
	.p2align	8
	.type	_ZL15flash_attn_tileILi72ELi72ELi4ELi2ELb0EEvPKcS1_S1_S1_S1_PKiPfP15HIP_vector_typeIfLj2EEffffjfiS5_IjLj3EEiiiiiiiiiiiliiliiiiil,@function
_ZL15flash_attn_tileILi72ELi72ELi4ELi2ELb0EEvPKcS1_S1_S1_S1_PKiPfP15HIP_vector_typeIfLj2EEffffjfiS5_IjLj3EEiiiiiiiiiiiliiliiiiil: ; @_ZL15flash_attn_tileILi72ELi72ELi4ELi2ELb0EEvPKcS1_S1_S1_S1_PKiPfP15HIP_vector_typeIfLj2EEffffjfiS5_IjLj3EEiiiiiiiiiiiliiliiiiil
; %bb.0:
	s_clause 0x1
	s_load_dwordx4 s[24:27], s[4:5], 0x5c
	s_load_dwordx2 s[34:35], s[4:5], 0x80
	s_mov_b32 s2, s7
	s_mov_b64 s[36:37], 0
	s_waitcnt lgkmcnt(0)
	s_lshr_b32 s0, s27, 31
	s_add_i32 s0, s27, s0
	s_ashr_i32 s0, s0, 1
	v_cvt_f32_u32_e32 v2, s0
	s_sub_i32 s3, 0, s0
	v_rcp_iflag_f32_e32 v2, v2
	v_mul_f32_e32 v2, 0x4f7ffffe, v2
	v_cvt_u32_f32_e32 v2, v2
	v_readfirstlane_b32 s1, v2
	s_mul_i32 s3, s3, s1
	s_mul_hi_u32 s3, s1, s3
	s_add_i32 s1, s1, s3
	s_mul_hi_u32 s1, s8, s1
	s_mul_i32 s3, s1, s0
	s_add_i32 s7, s1, 1
	s_sub_i32 s3, s8, s3
	s_sub_i32 s9, s3, s0
	s_cmp_ge_u32 s3, s0
	s_cselect_b32 s1, s7, s1
	s_cselect_b32 s3, s9, s3
	s_add_i32 s7, s1, 1
	s_cmp_ge_u32 s3, s0
	s_cselect_b32 s3, s7, s1
	s_abs_i32 s0, s35
	s_abs_i32 s9, s27
	v_cvt_f32_u32_e32 v2, s0
	s_sub_i32 s7, 0, s0
	s_lshl_b32 s28, s8, 1
	s_mul_i32 s29, s3, s27
	v_rcp_iflag_f32_e32 v2, v2
	v_mul_f32_e32 v2, 0x4f7ffffe, v2
	v_cvt_u32_f32_e32 v2, v2
	v_readfirstlane_b32 s1, v2
	s_mul_i32 s7, s7, s1
	s_mul_hi_u32 s7, s1, s7
	s_add_i32 s1, s1, s7
	s_xor_b32 s7, s27, s35
	s_mul_hi_u32 s1, s9, s1
	s_ashr_i32 s7, s7, 31
	s_mul_i32 s8, s1, s0
	s_sub_i32 s8, s9, s8
	s_add_i32 s9, s1, 1
	s_sub_i32 s10, s8, s0
	s_cmp_ge_u32 s8, s0
	s_cselect_b32 s1, s9, s1
	s_cselect_b32 s8, s10, s8
	s_add_i32 s9, s1, 1
	s_cmp_ge_u32 s8, s0
	s_cselect_b32 s0, s9, s1
	s_xor_b32 s0, s0, s7
	s_sub_i32 s33, s0, s7
	s_clause 0x1
	s_load_dwordx16 s[8:23], s[4:5], 0x0
	s_load_dwordx2 s[0:1], s[4:5], 0xb8
	s_abs_i32 s7, s33
	v_cvt_f32_u32_e32 v2, s7
	v_rcp_iflag_f32_e32 v2, v2
	v_mul_f32_e32 v2, 0x4f7ffffe, v2
	s_waitcnt lgkmcnt(0)
	s_cmp_eq_u64 s[14:15], 0
	v_cvt_u32_f32_e32 v2, v2
	v_readfirstlane_b32 s35, v2
	s_cbranch_scc1 .LBB43_2
; %bb.1:
	s_abs_i32 s0, s0
	s_abs_i32 s36, s3
	v_cvt_f32_u32_e32 v2, s0
	s_sub_i32 s31, 0, s0
	v_rcp_iflag_f32_e32 v2, v2
	v_mul_f32_e32 v2, 0x4f7ffffe, v2
	v_cvt_u32_f32_e32 v2, v2
	v_readfirstlane_b32 s30, v2
	s_mul_i32 s31, s31, s30
	s_mul_hi_u32 s31, s30, s31
	s_add_i32 s30, s30, s31
	s_mul_hi_u32 s37, s36, s30
	s_load_dwordx2 s[30:31], s[4:5], 0xc8
	s_mul_i32 s37, s37, s0
	s_sub_i32 s36, s36, s37
	s_ashr_i32 s37, s3, 31
	s_sub_i32 s38, s36, s0
	s_cmp_ge_u32 s36, s0
	s_cselect_b32 s36, s38, s36
	s_sub_i32 s38, s36, s0
	s_cmp_ge_u32 s36, s0
	s_cselect_b32 s0, s38, s36
	s_xor_b32 s0, s0, s37
	s_sub_i32 s0, s0, s37
	s_ashr_i32 s36, s0, 31
	s_waitcnt lgkmcnt(0)
	s_mul_hi_u32 s37, s30, s0
	s_mul_i32 s36, s30, s36
	s_mul_i32 s31, s31, s0
	s_add_i32 s36, s37, s36
	s_mul_i32 s0, s30, s0
	s_add_i32 s30, s36, s31
	s_add_u32 s36, s14, s0
	s_addc_u32 s37, s15, s30
.LBB43_2:
	s_movk_i32 s14, 0x90
	v_cmp_gt_u32_e64 s0, 18, v0
	v_mad_u32_u24 v11, v1, s14, 0x14e0
	v_lshlrev_b32_e32 v14, 3, v0
	v_and_b32_e32 v12, 1, v1
	v_lshrrev_b32_e32 v13, 1, v1
	s_sub_i32 s14, s28, s29
	s_lshl_b32 s15, s6, 2
	s_and_saveexec_b32 s38, s0
	s_cbranch_execz .LBB43_4
; %bb.3:
	v_add_nc_u32_e32 v2, s15, v13
	s_load_dwordx4 s[28:31], s[4:5], 0x70
	v_lshlrev_b32_e32 v6, 4, v0
	v_mul_hi_u32 v3, s24, v2
	v_add_nc_u32_e32 v3, v2, v3
	v_lshrrev_b32_e32 v3, s25, v3
	s_waitcnt lgkmcnt(0)
	s_mul_i32 s31, s3, s30
	s_mul_i32 s39, s14, s29
	v_mul_lo_u32 v3, v3, s26
	s_ashr_i32 s40, s31, 31
	s_add_u32 s8, s8, s31
	s_addc_u32 s9, s9, s40
	s_ashr_i32 s31, s39, 31
	s_add_u32 s39, s8, s39
	s_mov_b32 s30, s29
	s_addc_u32 s40, s9, s31
	v_sub_nc_u32_e32 v4, v2, v3
	s_ashr_i32 s31, s29, 31
	s_ashr_i32 s29, s28, 31
	s_lshr_b64 s[8:9], s[28:29], 2
	s_lshr_b32 s28, s29, 2
	v_mad_u64_u32 v[2:3], null, s8, v4, 0
	s_lshr_b64 s[8:9], s[30:31], 2
	s_lshr_b32 s9, s31, 2
	v_mul_lo_u32 v5, s9, v12
	v_mad_u64_u32 v[3:4], null, s28, v4, v[3:4]
	v_mul_lo_u32 v4, s8, v12
	s_load_dword s8, s[4:5], 0x40
	v_lshlrev_b64 v[2:3], 2, v[2:3]
	v_lshlrev_b64 v[4:5], 2, v[4:5]
	v_add_co_u32 v4, vcc_lo, s39, v4
	v_add_co_ci_u32_e64 v5, null, s40, v5, vcc_lo
	v_add_co_u32 v2, vcc_lo, v4, v2
	v_add_co_ci_u32_e64 v3, null, v5, v3, vcc_lo
	;; [unrolled: 2-line block ×3, first 2 shown]
	v_add_nc_u32_e32 v6, v11, v14
	global_load_dwordx4 v[2:5], v[2:3], off
	s_waitcnt vmcnt(0) lgkmcnt(0)
	v_fma_mixlo_f16 v3, s8, v3, 0
	v_fma_mixlo_f16 v2, s8, v2, 0
	;; [unrolled: 1-line block ×4, first 2 shown]
	v_lshlrev_b32_e32 v3, 16, v3
	v_and_b32_e32 v2, 0xffff, v2
	v_and_b32_e32 v4, 0xffff, v4
	v_lshlrev_b32_e32 v5, 16, v5
	v_or_b32_e32 v2, v3, v2
	v_or3_b32 v3, v5, v4, 0
	v_or3_b32 v2, 0, 0, v2
	ds_write_b64 v6, v[2:3]
.LBB43_4:
	s_or_b32 exec_lo, exec_lo, s38
	s_cmp_eq_u64 s[18:19], 0
	s_waitcnt lgkmcnt(0)
	s_barrier
	buffer_gl0_inv
	s_cbranch_scc1 .LBB43_6
; %bb.5:
	s_load_dword s8, s[4:5], 0xd0
	s_mov_b32 s9, 0
	s_waitcnt lgkmcnt(0)
	s_mul_i32 s8, s8, s3
	s_add_i32 s8, s8, s6
	s_lshl_b64 s[8:9], s[8:9], 2
	s_add_u32 s8, s18, s8
	s_addc_u32 s9, s19, s9
	s_load_dword s34, s[8:9], 0x0
.LBB43_6:
	v_mbcnt_lo_u32_b32 v15, -1, 0
	s_lshl_b32 s8, s2, 5
	s_waitcnt lgkmcnt(0)
	s_cmp_lt_i32 s8, s34
	s_cbranch_scc1 .LBB43_9
; %bb.7:
	v_mbcnt_lo_u32_b32 v2, -1, 0
	v_mov_b32_e32 v16, 32
	v_xor_b32_e32 v21, 16, v2
	v_xor_b32_e32 v20, 8, v2
	;; [unrolled: 1-line block ×5, first 2 shown]
	s_cbranch_execz .LBB43_10
; %bb.8:
	v_mov_b32_e32 v31, 0
	v_mov_b32_e32 v38, 0
	;; [unrolled: 1-line block ×4, first 2 shown]
	s_branch .LBB43_18
.LBB43_9:
                                        ; implicit-def: $vgpr2
                                        ; implicit-def: $vgpr16
                                        ; implicit-def: $vgpr21
                                        ; implicit-def: $vgpr20
                                        ; implicit-def: $vgpr19
                                        ; implicit-def: $vgpr18
                                        ; implicit-def: $vgpr17
.LBB43_10:
	s_clause 0x1
	s_load_dwordx4 s[28:31], s[4:5], 0x98
	s_load_dwordx2 s[18:19], s[4:5], 0x8c
	v_add_nc_u32_e32 v2, s15, v13
	s_sub_i32 s6, 0, s7
	s_abs_i32 s40, s14
	s_mul_i32 s6, s6, s35
	v_lshlrev_b32_e32 v5, 2, v0
	v_mul_hi_u32 v4, s24, v2
	s_mul_hi_u32 s6, s35, s6
	s_ashr_i32 s41, s14, 31
	s_add_i32 s35, s35, s6
	s_ashr_i32 s33, s33, 31
	s_mul_hi_u32 s6, s40, s35
	s_ashr_i32 s35, s3, 31
	s_load_dwordx2 s[38:39], s[4:5], 0xa8
	v_add_nc_u32_e32 v4, v2, v4
	s_ashr_i32 s1, s1, 1
	s_mul_i32 s42, s6, s7
	v_and_b32_e32 v10, 28, v5
	v_lshrrev_b32_e32 v3, 3, v0
	s_waitcnt lgkmcnt(0)
	s_ashr_i32 s9, s30, 2
	s_mul_hi_u32 s30, s28, s3
	s_mul_i32 s43, s28, s35
	s_mul_i32 s29, s29, s3
	s_add_i32 s30, s30, s43
	s_mul_i32 s28, s28, s3
	s_ashr_i32 s18, s18, 2
	s_add_i32 s30, s30, s29
	s_add_u32 s10, s10, s28
	s_addc_u32 s11, s11, s30
	s_sub_i32 s29, s40, s42
	v_lshrrev_b32_e32 v5, s25, v4
	s_xor_b32 s28, s41, s33
	s_add_i32 s30, s6, 1
	s_sub_i32 s33, s29, s7
	s_cmp_ge_u32 s29, s7
	v_mul_lo_u32 v8, v5, s26
	s_cselect_b32 s6, s30, s6
	s_cselect_b32 s29, s33, s29
	s_add_i32 s30, s6, 1
	s_cmp_ge_u32 s29, s7
	v_lshl_add_u32 v3, v1, 2, v3
	v_lshl_add_u32 v16, v1, 5, v0
	s_cselect_b32 s6, s30, s6
	v_sub_nc_u32_e32 v2, v2, v8
	s_xor_b32 s6, s6, s28
	v_mul_lo_u32 v4, s18, v3
	v_mul_lo_u32 v6, s18, v16
	v_mul_lo_u32 v8, s9, v16
	v_mul_lo_u32 v31, s9, v3
	s_sub_i32 s6, s6, s28
	s_mul_hi_u32 s7, s38, s3
	s_mul_i32 s19, s6, s19
	s_mul_i32 s24, s38, s35
	s_ashr_i32 s29, s19, 31
	s_add_u32 s10, s10, s19
	s_mul_i32 s28, s39, s3
	s_addc_u32 s11, s11, s29
	s_add_i32 s7, s7, s24
	s_mul_i32 s19, s38, s3
	v_lshlrev_b32_e32 v17, 2, v10
	v_ashrrev_i32_e32 v5, 31, v4
	v_ashrrev_i32_e32 v7, 31, v6
	;; [unrolled: 1-line block ×4, first 2 shown]
	s_add_i32 s7, s7, s28
	s_mul_i32 s6, s6, s31
	v_lshl_add_u32 v25, v1, 6, 0x1960
	s_add_u32 s12, s12, s19
	s_addc_u32 s7, s13, s7
	s_ashr_i32 s13, s6, 31
	v_mad_u64_u32 v[1:2], null, v2, s1, v[0:1]
	s_add_u32 s12, s12, s6
	s_movk_i32 s6, 0x80
	s_movk_i32 s1, 0x90
	v_mad_u32_u24 v23, 0xa0, v3, v17
	v_mad_u32_u24 v29, 0x90, v3, v17
	v_lshlrev_b64 v[2:3], 2, v[6:7]
	v_lshlrev_b64 v[4:5], 2, v[4:5]
	;; [unrolled: 1-line block ×4, first 2 shown]
	v_cmp_gt_u32_e32 vcc_lo, 32, v16
	v_mov_b32_e32 v22, 0
	v_mul_u32_u24_e32 v24, 0xa0, v0
	v_mad_u32_u24 v26, 0xa0, v16, s6
	v_lshl_add_u32 v27, v0, 1, v25
	v_mad_u32_u24 v28, v16, s1, 0x80
	v_mov_b32_e32 v39, 0xfeffffff
	v_lshlrev_b32_e32 v30, 2, v10
	v_mov_b32_e32 v16, 32
	v_xor_b32_e32 v21, 16, v15
	v_xor_b32_e32 v20, 8, v15
	;; [unrolled: 1-line block ×5, first 2 shown]
	v_mov_b32_e32 v32, 0x10001
	v_add_nc_u32_e32 v33, 0x400, v14
	v_add_nc_u32_e32 v34, 0x800, v14
	;; [unrolled: 1-line block ×4, first 2 shown]
	v_mov_b32_e32 v31, 0
	v_mov_b32_e32 v37, 0
	s_addc_u32 s13, s7, s13
	s_add_u32 s6, s4, 0xd0
	s_addc_u32 s7, s5, 0
.LBB43_11:                              ; =>This Inner Loop Header: Depth=1
	s_mul_hi_i32 s25, s8, s18
	s_mul_i32 s24, s8, s18
	s_lshl_b64 s[24:25], s[24:25], 2
	s_add_u32 s19, s10, s24
	s_addc_u32 s24, s11, s25
	s_and_saveexec_b32 s25, vcc_lo
	s_cbranch_execz .LBB43_13
; %bb.12:                               ;   in Loop: Header=BB43_11 Depth=1
	v_add_co_u32 v40, s1, s19, v2
	v_add_co_ci_u32_e64 v41, null, s24, v3, s1
	global_load_dwordx4 v[40:43], v[40:41], off offset:128
	s_waitcnt vmcnt(0)
	ds_write_b128 v26, v[40:43]
.LBB43_13:                              ;   in Loop: Header=BB43_11 Depth=1
	s_or_b32 exec_lo, exec_lo, s25
	v_add_co_u32 v10, s1, s19, v4
	v_add_co_ci_u32_e64 v38, null, s24, v5, s1
	v_add_nc_u32_e32 v48, s8, v1
	v_add_co_u32 v40, s1, v10, v30
	v_add_co_ci_u32_e64 v41, null, 0, v38, s1
	v_mov_b32_e32 v10, 0
	v_ashrrev_i32_e32 v49, 31, v48
	s_mul_hi_i32 s25, s8, s9
	global_load_dwordx4 v[40:43], v[40:41], off
	s_mul_i32 s24, s8, s9
	v_lshlrev_b64 v[48:49], 1, v[48:49]
	s_lshl_b64 s[24:25], s[24:25], 2
	s_add_u32 s19, s12, s24
	s_addc_u32 s24, s13, s25
	v_add_co_u32 v48, s1, s36, v48
	v_add_co_ci_u32_e64 v49, null, s37, v49, s1
	v_cmp_gt_i32_e64 s1, 32, v21
	s_waitcnt vmcnt(0)
	ds_write_b128 v23, v[40:43]
	s_waitcnt lgkmcnt(0)
	s_barrier
	buffer_gl0_inv
	ds_read_b128 v[40:43], v24
	ds_read_b128 v[44:47], v11
	s_waitcnt lgkmcnt(0)
	;;#ASMSTART
	v_dot2_f32_f16 v10, v40, v44, v10
	;;#ASMEND
	;;#ASMSTART
	v_dot2_f32_f16 v10, v41, v45, v10
	;;#ASMEND
	;;#ASMSTART
	v_dot2_f32_f16 v10, v42, v46, v10
	;;#ASMEND
	;;#ASMSTART
	v_dot2_f32_f16 v10, v43, v47, v10
	;;#ASMEND
	ds_read_b128 v[40:43], v24 offset:16
	ds_read_b128 v[44:47], v11 offset:16
	s_waitcnt lgkmcnt(0)
	;;#ASMSTART
	v_dot2_f32_f16 v10, v40, v44, v10
	;;#ASMEND
	;;#ASMSTART
	v_dot2_f32_f16 v10, v41, v45, v10
	;;#ASMEND
	;;#ASMSTART
	v_dot2_f32_f16 v10, v42, v46, v10
	;;#ASMEND
	;;#ASMSTART
	v_dot2_f32_f16 v10, v43, v47, v10
	;;#ASMEND
	ds_read_b128 v[40:43], v24 offset:32
	ds_read_b128 v[44:47], v11 offset:32
	;; [unrolled: 15-line block ×8, first 2 shown]
	s_waitcnt lgkmcnt(0)
	;;#ASMSTART
	v_dot2_f32_f16 v10, v40, v44, v10
	;;#ASMEND
	;;#ASMSTART
	v_dot2_f32_f16 v10, v41, v45, v10
	;;#ASMEND
	;; [unrolled: 3-line block ×4, first 2 shown]
	global_load_ushort v38, v[48:49], off
	v_max_f32_e32 v40, v39, v39
	s_waitcnt vmcnt(0)
	s_barrier
	buffer_gl0_inv
	v_cvt_f32_f16_e32 v38, v38
	v_add_f32_e32 v38, v10, v38
	v_cndmask_b32_e64 v10, v15, v21, s1
	v_cmp_gt_i32_e64 s1, 32, v20
	v_add_f32_e32 v41, 0x40051340, v38
	v_lshlrev_b32_e32 v10, 2, v10
	v_max_f32_e32 v40, v40, v41
	v_cndmask_b32_e64 v41, v15, v20, s1
	v_cmp_gt_i32_e64 s1, 32, v19
	ds_bpermute_b32 v10, v10, v40
	v_lshlrev_b32_e32 v41, 2, v41
	s_waitcnt lgkmcnt(0)
	v_max_f32_e32 v10, v10, v10
	v_max_f32_e32 v10, v40, v10
	ds_bpermute_b32 v40, v41, v10
	v_cndmask_b32_e64 v41, v15, v19, s1
	v_cmp_gt_i32_e64 s1, 32, v18
	v_lshlrev_b32_e32 v41, 2, v41
	s_waitcnt lgkmcnt(0)
	v_max_f32_e32 v40, v40, v40
	v_max_f32_e32 v10, v10, v40
	ds_bpermute_b32 v40, v41, v10
	v_cndmask_b32_e64 v41, v15, v18, s1
	v_cmp_gt_i32_e64 s1, 32, v17
	v_lshlrev_b32_e32 v41, 2, v41
	s_waitcnt lgkmcnt(0)
	v_max_f32_e32 v40, v40, v40
	v_max_f32_e32 v10, v10, v40
	ds_bpermute_b32 v40, v41, v10
	v_cndmask_b32_e64 v41, v15, v17, s1
	v_lshlrev_b32_e32 v41, 2, v41
	s_waitcnt lgkmcnt(0)
	v_max_f32_e32 v40, v40, v40
	v_max_f32_e32 v10, v10, v40
	ds_bpermute_b32 v40, v41, v10
	s_waitcnt lgkmcnt(0)
	v_max_f32_e32 v40, v40, v40
	v_max_f32_e32 v10, v10, v40
	v_sub_f32_e32 v38, v38, v10
	v_mul_f32_e32 v40, 0x3fb8aa3b, v38
	v_cmp_ngt_f32_e64 s1, 0xc2ce8ed0, v38
	v_fma_f32 v41, 0x3fb8aa3b, v38, -v40
	v_rndne_f32_e32 v42, v40
	v_fmac_f32_e32 v41, 0x32a5705f, v38
	v_sub_f32_e32 v40, v40, v42
	v_add_f32_e32 v40, v40, v41
	v_cvt_i32_f32_e32 v41, v42
	v_exp_f32_e32 v40, v40
	v_ldexp_f32 v40, v40, v41
	v_cndmask_b32_e64 v40, 0, v40, s1
	v_cmp_nlt_f32_e64 s1, 0x42b17218, v38
	v_cndmask_b32_e64 v38, 0x7f800000, v40, s1
	v_cvt_f16_f32_e32 v40, v38
	ds_write_b16 v27, v40
	s_and_saveexec_b32 s25, vcc_lo
	s_cbranch_execz .LBB43_15
; %bb.14:                               ;   in Loop: Header=BB43_11 Depth=1
	v_add_co_u32 v40, s1, s19, v6
	v_add_co_ci_u32_e64 v41, null, s24, v7, s1
	global_load_dwordx4 v[40:43], v[40:41], off offset:128
	s_waitcnt vmcnt(0)
	ds_write_b128 v28, v[40:43]
.LBB43_15:                              ;   in Loop: Header=BB43_11 Depth=1
	s_or_b32 exec_lo, exec_lo, s25
	v_add_co_u32 v40, s1, s19, v8
	v_add_co_ci_u32_e64 v41, null, s24, v9, s1
	v_sub_f32_e32 v47, v39, v10
	v_add_co_u32 v40, s1, v40, v30
	v_add_co_ci_u32_e64 v41, null, 0, v41, s1
	v_mul_f32_e32 v39, 0x3fb8aa3b, v47
	v_cmp_ngt_f32_e64 s1, 0xc2ce8ed0, v47
	global_load_dwordx4 v[40:43], v[40:41], off
	v_fma_f32 v44, 0x3fb8aa3b, v47, -v39
	v_rndne_f32_e32 v45, v39
	v_fmac_f32_e32 v44, 0x32a5705f, v47
	v_sub_f32_e32 v39, v39, v45
	v_cvt_i32_f32_e32 v45, v45
	v_add_f32_e32 v39, v39, v44
	v_exp_f32_e32 v44, v39
	v_ldexp_f32 v48, v44, v45
	v_cndmask_b32_e64 v48, 0, v48, s1
	v_cmp_nlt_f32_e64 s1, 0x42b17218, v47
	v_cndmask_b32_e64 v59, 0x7f800000, v48, s1
	v_cvt_f16_f32_e32 v55, v59
	v_fmac_f32_e32 v38, v37, v59
	v_mul_u32_u24_sdwa v60, v55, v32 dst_sel:DWORD dst_unused:UNUSED_PAD src0_sel:WORD_0 src1_sel:DWORD
	s_waitcnt vmcnt(0)
	ds_write_b128 v29, v[40:43]
	s_waitcnt lgkmcnt(0)
	s_barrier
	buffer_gl0_inv
	ds_read_b128 v[39:42], v25
	ds_read2_b64 v[43:46], v14 offset1:18
	ds_read_b128 v[47:50], v25 offset:16
	ds_read2_b64 v[51:54], v14 offset0:36 offset1:54
	s_waitcnt lgkmcnt(3)
	v_mul_u32_u24_sdwa v56, v39, v32 dst_sel:DWORD dst_unused:UNUSED_PAD src0_sel:WORD_0 src1_sel:DWORD
	v_mul_u32_u24_sdwa v39, v39, v32 dst_sel:DWORD dst_unused:UNUSED_PAD src0_sel:WORD_1 src1_sel:DWORD
	s_waitcnt lgkmcnt(2)
	v_pk_mul_f16 v43, v43, v56
	v_pk_mul_f16 v44, v44, v56
	ds_read2_b64 v[55:58], v14 offset0:72 offset1:90
	v_pk_fma_f16 v22, v22, v60, v43
	v_pk_fma_f16 v31, v31, v60, v44
	v_mul_u32_u24_sdwa v60, v40, v32 dst_sel:DWORD dst_unused:UNUSED_PAD src0_sel:WORD_0 src1_sel:DWORD
	v_pk_fma_f16 v22, v45, v39, v22
	v_pk_fma_f16 v31, v46, v39, v31
	ds_read2_b64 v[43:46], v14 offset0:108 offset1:126
	v_mul_u32_u24_sdwa v39, v40, v32 dst_sel:DWORD dst_unused:UNUSED_PAD src0_sel:WORD_1 src1_sel:DWORD
	v_mul_u32_u24_sdwa v40, v41, v32 dst_sel:DWORD dst_unused:UNUSED_PAD src0_sel:WORD_0 src1_sel:DWORD
	s_waitcnt lgkmcnt(2)
	v_pk_fma_f16 v22, v51, v60, v22
	v_pk_fma_f16 v31, v52, v60, v31
	v_mul_u32_u24_sdwa v60, v50, v32 dst_sel:DWORD dst_unused:UNUSED_PAD src0_sel:WORD_1 src1_sel:DWORD
	v_pk_fma_f16 v22, v53, v39, v22
	v_pk_fma_f16 v31, v54, v39, v31
	ds_read2_b64 v[51:54], v14 offset0:144 offset1:162
	v_mul_u32_u24_sdwa v39, v41, v32 dst_sel:DWORD dst_unused:UNUSED_PAD src0_sel:WORD_1 src1_sel:DWORD
	s_waitcnt lgkmcnt(2)
	v_pk_fma_f16 v22, v55, v40, v22
	v_pk_fma_f16 v31, v56, v40, v31
	v_mul_u32_u24_sdwa v40, v42, v32 dst_sel:DWORD dst_unused:UNUSED_PAD src0_sel:WORD_0 src1_sel:DWORD
	v_pk_fma_f16 v22, v57, v39, v22
	v_pk_fma_f16 v31, v58, v39, v31
	ds_read2_b64 v[55:58], v14 offset0:180 offset1:198
	v_mul_u32_u24_sdwa v39, v42, v32 dst_sel:DWORD dst_unused:UNUSED_PAD src0_sel:WORD_1 src1_sel:DWORD
	s_waitcnt lgkmcnt(2)
	v_pk_fma_f16 v22, v43, v40, v22
	v_pk_fma_f16 v31, v44, v40, v31
	v_mul_u32_u24_sdwa v43, v47, v32 dst_sel:DWORD dst_unused:UNUSED_PAD src0_sel:WORD_0 src1_sel:DWORD
	v_mul_u32_u24_sdwa v44, v47, v32 dst_sel:DWORD dst_unused:UNUSED_PAD src0_sel:WORD_1 src1_sel:DWORD
	v_mul_u32_u24_sdwa v47, v48, v32 dst_sel:DWORD dst_unused:UNUSED_PAD src0_sel:WORD_0 src1_sel:DWORD
	v_pk_fma_f16 v22, v45, v39, v22
	v_pk_fma_f16 v31, v46, v39, v31
	ds_read2_b64 v[39:42], v14 offset0:216 offset1:234
	v_mul_u32_u24_sdwa v48, v48, v32 dst_sel:DWORD dst_unused:UNUSED_PAD src0_sel:WORD_1 src1_sel:DWORD
	s_waitcnt lgkmcnt(2)
	v_pk_fma_f16 v22, v51, v43, v22
	v_pk_fma_f16 v31, v52, v43, v31
	;; [unrolled: 1-line block ×4, first 2 shown]
	ds_read2_b64 v[43:46], v33 offset0:124 offset1:142
	ds_read_b128 v[51:54], v25 offset:32
	s_waitcnt lgkmcnt(3)
	v_pk_fma_f16 v22, v55, v47, v22
	v_pk_fma_f16 v31, v56, v47, v31
	v_mul_u32_u24_sdwa v47, v49, v32 dst_sel:DWORD dst_unused:UNUSED_PAD src0_sel:WORD_0 src1_sel:DWORD
	v_pk_fma_f16 v22, v57, v48, v22
	v_pk_fma_f16 v31, v58, v48, v31
	ds_read2_b64 v[55:58], v34 offset0:32 offset1:50
	v_mul_u32_u24_sdwa v48, v49, v32 dst_sel:DWORD dst_unused:UNUSED_PAD src0_sel:WORD_1 src1_sel:DWORD
	s_waitcnt lgkmcnt(3)
	v_pk_fma_f16 v22, v39, v47, v22
	v_pk_fma_f16 v31, v40, v47, v31
	v_mul_u32_u24_sdwa v47, v50, v32 dst_sel:DWORD dst_unused:UNUSED_PAD src0_sel:WORD_0 src1_sel:DWORD
	v_pk_fma_f16 v22, v41, v48, v22
	v_pk_fma_f16 v31, v42, v48, v31
	ds_read2_b64 v[39:42], v34 offset0:68 offset1:86
	s_waitcnt lgkmcnt(3)
	v_pk_fma_f16 v22, v43, v47, v22
	v_pk_fma_f16 v31, v44, v47, v31
	ds_read_b128 v[47:50], v25 offset:48
	s_waitcnt lgkmcnt(3)
	v_mul_u32_u24_sdwa v61, v51, v32 dst_sel:DWORD dst_unused:UNUSED_PAD src0_sel:WORD_0 src1_sel:DWORD
	v_mul_u32_u24_sdwa v51, v51, v32 dst_sel:DWORD dst_unused:UNUSED_PAD src0_sel:WORD_1 src1_sel:DWORD
	v_pk_fma_f16 v22, v45, v60, v22
	v_pk_fma_f16 v31, v46, v60, v31
	ds_read2_b64 v[43:46], v34 offset0:104 offset1:122
	v_mul_u32_u24_sdwa v60, v52, v32 dst_sel:DWORD dst_unused:UNUSED_PAD src0_sel:WORD_0 src1_sel:DWORD
	s_waitcnt lgkmcnt(3)
	v_pk_fma_f16 v22, v55, v61, v22
	v_pk_fma_f16 v31, v56, v61, v31
	;; [unrolled: 1-line block ×4, first 2 shown]
	ds_read2_b64 v[55:58], v34 offset0:140 offset1:158
	v_mul_u32_u24_sdwa v51, v52, v32 dst_sel:DWORD dst_unused:UNUSED_PAD src0_sel:WORD_1 src1_sel:DWORD
	v_mul_u32_u24_sdwa v52, v53, v32 dst_sel:DWORD dst_unused:UNUSED_PAD src0_sel:WORD_0 src1_sel:DWORD
	s_waitcnt lgkmcnt(3)
	v_pk_fma_f16 v22, v39, v60, v22
	v_pk_fma_f16 v31, v40, v60, v31
	;; [unrolled: 1-line block ×4, first 2 shown]
	ds_read2_b64 v[39:42], v34 offset0:176 offset1:194
	v_mul_u32_u24_sdwa v51, v53, v32 dst_sel:DWORD dst_unused:UNUSED_PAD src0_sel:WORD_1 src1_sel:DWORD
	s_waitcnt lgkmcnt(2)
	v_pk_fma_f16 v22, v43, v52, v22
	v_pk_fma_f16 v31, v44, v52, v31
	v_mul_u32_u24_sdwa v52, v54, v32 dst_sel:DWORD dst_unused:UNUSED_PAD src0_sel:WORD_0 src1_sel:DWORD
	v_pk_fma_f16 v22, v45, v51, v22
	v_pk_fma_f16 v31, v46, v51, v31
	ds_read2_b64 v[43:46], v34 offset0:212 offset1:230
	v_mul_u32_u24_sdwa v51, v54, v32 dst_sel:DWORD dst_unused:UNUSED_PAD src0_sel:WORD_1 src1_sel:DWORD
	s_waitcnt lgkmcnt(2)
	v_pk_fma_f16 v22, v55, v52, v22
	v_pk_fma_f16 v31, v56, v52, v31
	v_mul_u32_u24_sdwa v55, v47, v32 dst_sel:DWORD dst_unused:UNUSED_PAD src0_sel:WORD_0 src1_sel:DWORD
	v_mul_u32_u24_sdwa v47, v47, v32 dst_sel:DWORD dst_unused:UNUSED_PAD src0_sel:WORD_1 src1_sel:DWORD
	v_pk_fma_f16 v22, v57, v51, v22
	v_pk_fma_f16 v31, v58, v51, v31
	ds_read2_b64 v[51:54], v35 offset0:120 offset1:138
	s_waitcnt lgkmcnt(2)
	v_pk_fma_f16 v22, v39, v55, v22
	v_pk_fma_f16 v31, v40, v55, v31
	v_mul_u32_u24_sdwa v39, v48, v32 dst_sel:DWORD dst_unused:UNUSED_PAD src0_sel:WORD_0 src1_sel:DWORD
	ds_read2_b64 v[55:58], v36 offset0:28 offset1:46
	v_mul_u32_u24_sdwa v40, v48, v32 dst_sel:DWORD dst_unused:UNUSED_PAD src0_sel:WORD_1 src1_sel:DWORD
	v_pk_fma_f16 v22, v41, v47, v22
	v_pk_fma_f16 v31, v42, v47, v31
	s_waitcnt lgkmcnt(0)
	s_barrier
	buffer_gl0_inv
	v_pk_fma_f16 v22, v43, v39, v22
	v_pk_fma_f16 v31, v44, v39, v31
	s_load_dword s1, s[6:7], 0x4
	v_mul_u32_u24_sdwa v39, v49, v32 dst_sel:DWORD dst_unused:UNUSED_PAD src0_sel:WORD_0 src1_sel:DWORD
	v_pk_fma_f16 v22, v45, v40, v22
	v_pk_fma_f16 v31, v46, v40, v31
	v_mul_u32_u24_sdwa v40, v49, v32 dst_sel:DWORD dst_unused:UNUSED_PAD src0_sel:WORD_1 src1_sel:DWORD
	v_pk_fma_f16 v22, v51, v39, v22
	v_pk_fma_f16 v31, v52, v39, v31
	v_mul_u32_u24_sdwa v39, v50, v32 dst_sel:DWORD dst_unused:UNUSED_PAD src0_sel:WORD_0 src1_sel:DWORD
	v_pk_fma_f16 v22, v53, v40, v22
	v_pk_fma_f16 v31, v54, v40, v31
	v_mul_u32_u24_sdwa v40, v50, v32 dst_sel:DWORD dst_unused:UNUSED_PAD src0_sel:WORD_1 src1_sel:DWORD
	v_pk_fma_f16 v22, v55, v39, v22
	v_pk_fma_f16 v31, v56, v39, v31
	s_waitcnt lgkmcnt(0)
	s_lshl_b32 s1, s1, 5
	s_add_i32 s8, s1, s8
	v_pk_fma_f16 v22, v57, v40, v22
	v_pk_fma_f16 v31, v58, v40, v31
	s_cmp_ge_i32 s8, s34
	s_cbranch_scc1 .LBB43_17
; %bb.16:                               ;   in Loop: Header=BB43_11 Depth=1
	v_mov_b32_e32 v39, v10
	v_mov_b32_e32 v37, v38
	s_branch .LBB43_11
.LBB43_17:
	v_mov_b32_e32 v2, v15
.LBB43_18:
	v_cmp_lt_i32_e32 vcc_lo, v21, v16
	s_cmp_lg_u64 s[16:17], 0
	s_cselect_b32 s1, -1, 0
	s_cmp_eq_u32 s2, 0
	v_cndmask_b32_e32 v1, v2, v21, vcc_lo
	v_cmp_lt_i32_e32 vcc_lo, v20, v16
	s_cselect_b32 s6, -1, 0
	s_and_b32 s1, s6, s1
	v_lshlrev_b32_e32 v1, 2, v1
	v_cndmask_b32_e32 v3, v2, v20, vcc_lo
	v_cmp_lt_i32_e32 vcc_lo, v19, v16
	ds_bpermute_b32 v1, v1, v38
	v_lshlrev_b32_e32 v3, 2, v3
	v_cndmask_b32_e32 v4, v2, v19, vcc_lo
	v_cmp_lt_i32_e32 vcc_lo, v18, v16
	v_lshlrev_b32_e32 v4, 2, v4
	s_waitcnt lgkmcnt(0)
	v_add_f32_e32 v1, v38, v1
	ds_bpermute_b32 v3, v3, v1
	s_waitcnt lgkmcnt(0)
	v_add_f32_e32 v1, v1, v3
	ds_bpermute_b32 v3, v4, v1
	v_cndmask_b32_e32 v4, v2, v18, vcc_lo
	v_cmp_lt_i32_e32 vcc_lo, v17, v16
	v_lshlrev_b32_e32 v4, 2, v4
	v_cndmask_b32_e32 v2, v2, v17, vcc_lo
	s_and_b32 vcc_lo, exec_lo, s1
	v_lshlrev_b32_e32 v2, 2, v2
	s_waitcnt lgkmcnt(0)
	v_add_f32_e32 v1, v1, v3
	ds_bpermute_b32 v3, v4, v1
	s_waitcnt lgkmcnt(0)
	v_add_f32_e32 v1, v1, v3
	ds_bpermute_b32 v2, v2, v1
	s_waitcnt lgkmcnt(0)
	v_add_f32_e32 v11, v1, v2
	s_cbranch_vccz .LBB43_20
; %bb.19:
	v_add_nc_u32_e32 v1, s14, v12
	v_ashrrev_i32_e32 v2, 31, v1
	v_lshlrev_b64 v[1:2], 2, v[1:2]
	v_add_co_u32 v1, vcc_lo, s16, v1
	v_add_co_ci_u32_e64 v2, null, s17, v2, vcc_lo
	global_load_dword v1, v[1:2], off
	v_max_f32_e32 v2, v10, v10
	s_waitcnt vmcnt(0)
	v_max_f32_e32 v3, v1, v1
	v_max_f32_e32 v2, v2, v3
	v_sub_f32_e32 v3, v10, v2
	v_sub_f32_e32 v1, v1, v2
	v_mov_b32_e32 v10, v2
	v_mul_f32_e32 v4, 0x3fb8aa3b, v3
	v_mul_f32_e32 v5, 0x3fb8aa3b, v1
	v_cmp_ngt_f32_e32 vcc_lo, 0xc2ce8ed0, v3
	v_fma_f32 v6, 0x3fb8aa3b, v3, -v4
	v_rndne_f32_e32 v7, v4
	v_fma_f32 v8, 0x3fb8aa3b, v1, -v5
	v_rndne_f32_e32 v9, v5
	v_fmac_f32_e32 v6, 0x32a5705f, v3
	v_sub_f32_e32 v4, v4, v7
	v_fmac_f32_e32 v8, 0x32a5705f, v1
	v_sub_f32_e32 v5, v5, v9
	v_add_f32_e32 v4, v4, v6
	v_cvt_i32_f32_e32 v6, v7
	v_add_f32_e32 v5, v5, v8
	v_cvt_i32_f32_e32 v7, v9
	v_exp_f32_e32 v4, v4
	v_exp_f32_e32 v5, v5
	v_ldexp_f32 v4, v4, v6
	v_ldexp_f32 v5, v5, v7
	v_cndmask_b32_e32 v4, 0, v4, vcc_lo
	v_cmp_ngt_f32_e32 vcc_lo, 0xc2ce8ed0, v1
	v_cndmask_b32_e32 v5, 0, v5, vcc_lo
	v_cmp_nlt_f32_e32 vcc_lo, 0x42b17218, v3
	v_cndmask_b32_e32 v3, 0x7f800000, v4, vcc_lo
	v_cmp_nlt_f32_e32 vcc_lo, 0x42b17218, v1
	v_mov_b32_e32 v4, 0x10001
	v_cndmask_b32_e32 v1, 0x7f800000, v5, vcc_lo
	v_cvt_f16_f32_e32 v5, v3
	v_fmac_f32_e32 v1, v11, v3
	v_mul_u32_u24_sdwa v3, v5, v4 dst_sel:DWORD dst_unused:UNUSED_PAD src0_sel:WORD_0 src1_sel:DWORD
	v_mov_b32_e32 v11, v1
	v_pk_mul_f16 v22, v22, v3
	v_pk_mul_f16 v31, v31, v3
.LBB43_20:
	v_add_nc_u32_e32 v1, s15, v13
	s_mov_b32 s1, exec_lo
	v_cmpx_gt_i32_e64 s26, v1
	s_cbranch_execz .LBB43_25
; %bb.21:
	v_mad_u64_u32 v[1:2], null, s3, s26, v[1:2]
	s_load_dword s1, s[4:5], 0xd4
	v_mul_lo_u32 v1, v1, s27
	v_add3_u32 v1, s14, v12, v1
	s_waitcnt lgkmcnt(0)
	s_cmp_lg_u32 s1, 1
	v_mad_u64_u32 v[1:2], null, s1, v1, s[2:3]
	s_cselect_b32 s1, -1, 0
	s_and_saveexec_b32 s2, s0
	s_cbranch_execz .LBB43_23
; %bb.22:
	v_div_scale_f32 v2, null, v11, v11, 1.0
	v_div_scale_f32 v5, vcc_lo, 1.0, v11, 1.0
	v_cvt_f32_f16_sdwa v8, v31 dst_sel:DWORD dst_unused:UNUSED_PAD src0_sel:WORD_1
	v_rcp_f32_e32 v3, v2
	v_cvt_f32_f16_sdwa v12, v22 dst_sel:DWORD dst_unused:UNUSED_PAD src0_sel:WORD_1
	v_cvt_f32_f16_e32 v13, v22
	v_fma_f32 v4, -v2, v3, 1.0
	v_fmac_f32_e32 v3, v4, v3
	v_mul_f32_e32 v4, v5, v3
	v_fma_f32 v6, -v2, v4, v5
	v_fmac_f32_e32 v4, v6, v3
	v_fma_f32 v2, -v2, v4, v5
	v_div_fmas_f32 v2, v2, v3, v4
	v_mul_lo_u32 v4, 0x48, v1
	v_mov_b32_e32 v3, 0
	v_div_fixup_f32 v5, v2, v11, 1.0
	v_lshl_add_u32 v2, v0, 2, v4
	v_cndmask_b32_e64 v9, v5, 1.0, s1
	v_cvt_f32_f16_e32 v4, v31
	v_lshlrev_b64 v[6:7], 2, v[2:3]
	v_mul_f32_e32 v5, v9, v8
	v_mul_f32_e32 v4, v9, v4
	;; [unrolled: 1-line block ×4, first 2 shown]
	v_add_co_u32 v6, vcc_lo, s20, v6
	v_add_co_ci_u32_e64 v7, null, s21, v7, vcc_lo
	global_store_dwordx4 v[6:7], v[2:5], off
.LBB43_23:
	s_or_b32 exec_lo, exec_lo, s2
	v_cmp_eq_u32_e32 vcc_lo, 0, v0
	s_and_b32 s0, vcc_lo, s1
	s_and_b32 exec_lo, exec_lo, s0
	s_cbranch_execz .LBB43_25
; %bb.24:
	v_ashrrev_i32_e32 v2, 31, v1
	v_lshlrev_b64 v[0:1], 3, v[1:2]
	v_add_co_u32 v0, vcc_lo, s22, v0
	v_add_co_ci_u32_e64 v1, null, s23, v1, vcc_lo
	global_store_dwordx2 v[0:1], v[10:11], off
.LBB43_25:
	s_endpgm
	.section	.rodata,"a",@progbits
	.p2align	6, 0x0
	.amdhsa_kernel _ZL15flash_attn_tileILi72ELi72ELi4ELi2ELb0EEvPKcS1_S1_S1_S1_PKiPfP15HIP_vector_typeIfLj2EEffffjfiS5_IjLj3EEiiiiiiiiiiiliiliiiiil
		.amdhsa_group_segment_fixed_size 7008
		.amdhsa_private_segment_fixed_size 0
		.amdhsa_kernarg_size 464
		.amdhsa_user_sgpr_count 6
		.amdhsa_user_sgpr_private_segment_buffer 1
		.amdhsa_user_sgpr_dispatch_ptr 0
		.amdhsa_user_sgpr_queue_ptr 0
		.amdhsa_user_sgpr_kernarg_segment_ptr 1
		.amdhsa_user_sgpr_dispatch_id 0
		.amdhsa_user_sgpr_flat_scratch_init 0
		.amdhsa_user_sgpr_private_segment_size 0
		.amdhsa_wavefront_size32 1
		.amdhsa_uses_dynamic_stack 0
		.amdhsa_system_sgpr_private_segment_wavefront_offset 0
		.amdhsa_system_sgpr_workgroup_id_x 1
		.amdhsa_system_sgpr_workgroup_id_y 1
		.amdhsa_system_sgpr_workgroup_id_z 1
		.amdhsa_system_sgpr_workgroup_info 0
		.amdhsa_system_vgpr_workitem_id 1
		.amdhsa_next_free_vgpr 62
		.amdhsa_next_free_sgpr 44
		.amdhsa_reserve_vcc 1
		.amdhsa_reserve_flat_scratch 0
		.amdhsa_float_round_mode_32 0
		.amdhsa_float_round_mode_16_64 0
		.amdhsa_float_denorm_mode_32 3
		.amdhsa_float_denorm_mode_16_64 3
		.amdhsa_dx10_clamp 1
		.amdhsa_ieee_mode 1
		.amdhsa_fp16_overflow 0
		.amdhsa_workgroup_processor_mode 1
		.amdhsa_memory_ordered 1
		.amdhsa_forward_progress 1
		.amdhsa_shared_vgpr_count 0
		.amdhsa_exception_fp_ieee_invalid_op 0
		.amdhsa_exception_fp_denorm_src 0
		.amdhsa_exception_fp_ieee_div_zero 0
		.amdhsa_exception_fp_ieee_overflow 0
		.amdhsa_exception_fp_ieee_underflow 0
		.amdhsa_exception_fp_ieee_inexact 0
		.amdhsa_exception_int_div_zero 0
	.end_amdhsa_kernel
	.section	.text._ZL15flash_attn_tileILi72ELi72ELi4ELi2ELb0EEvPKcS1_S1_S1_S1_PKiPfP15HIP_vector_typeIfLj2EEffffjfiS5_IjLj3EEiiiiiiiiiiiliiliiiiil,"axG",@progbits,_ZL15flash_attn_tileILi72ELi72ELi4ELi2ELb0EEvPKcS1_S1_S1_S1_PKiPfP15HIP_vector_typeIfLj2EEffffjfiS5_IjLj3EEiiiiiiiiiiiliiliiiiil,comdat
.Lfunc_end43:
	.size	_ZL15flash_attn_tileILi72ELi72ELi4ELi2ELb0EEvPKcS1_S1_S1_S1_PKiPfP15HIP_vector_typeIfLj2EEffffjfiS5_IjLj3EEiiiiiiiiiiiliiliiiiil, .Lfunc_end43-_ZL15flash_attn_tileILi72ELi72ELi4ELi2ELb0EEvPKcS1_S1_S1_S1_PKiPfP15HIP_vector_typeIfLj2EEffffjfiS5_IjLj3EEiiiiiiiiiiiliiliiiiil
                                        ; -- End function
	.set _ZL15flash_attn_tileILi72ELi72ELi4ELi2ELb0EEvPKcS1_S1_S1_S1_PKiPfP15HIP_vector_typeIfLj2EEffffjfiS5_IjLj3EEiiiiiiiiiiiliiliiiiil.num_vgpr, 62
	.set _ZL15flash_attn_tileILi72ELi72ELi4ELi2ELb0EEvPKcS1_S1_S1_S1_PKiPfP15HIP_vector_typeIfLj2EEffffjfiS5_IjLj3EEiiiiiiiiiiiliiliiiiil.num_agpr, 0
	.set _ZL15flash_attn_tileILi72ELi72ELi4ELi2ELb0EEvPKcS1_S1_S1_S1_PKiPfP15HIP_vector_typeIfLj2EEffffjfiS5_IjLj3EEiiiiiiiiiiiliiliiiiil.numbered_sgpr, 44
	.set _ZL15flash_attn_tileILi72ELi72ELi4ELi2ELb0EEvPKcS1_S1_S1_S1_PKiPfP15HIP_vector_typeIfLj2EEffffjfiS5_IjLj3EEiiiiiiiiiiiliiliiiiil.num_named_barrier, 0
	.set _ZL15flash_attn_tileILi72ELi72ELi4ELi2ELb0EEvPKcS1_S1_S1_S1_PKiPfP15HIP_vector_typeIfLj2EEffffjfiS5_IjLj3EEiiiiiiiiiiiliiliiiiil.private_seg_size, 0
	.set _ZL15flash_attn_tileILi72ELi72ELi4ELi2ELb0EEvPKcS1_S1_S1_S1_PKiPfP15HIP_vector_typeIfLj2EEffffjfiS5_IjLj3EEiiiiiiiiiiiliiliiiiil.uses_vcc, 1
	.set _ZL15flash_attn_tileILi72ELi72ELi4ELi2ELb0EEvPKcS1_S1_S1_S1_PKiPfP15HIP_vector_typeIfLj2EEffffjfiS5_IjLj3EEiiiiiiiiiiiliiliiiiil.uses_flat_scratch, 0
	.set _ZL15flash_attn_tileILi72ELi72ELi4ELi2ELb0EEvPKcS1_S1_S1_S1_PKiPfP15HIP_vector_typeIfLj2EEffffjfiS5_IjLj3EEiiiiiiiiiiiliiliiiiil.has_dyn_sized_stack, 0
	.set _ZL15flash_attn_tileILi72ELi72ELi4ELi2ELb0EEvPKcS1_S1_S1_S1_PKiPfP15HIP_vector_typeIfLj2EEffffjfiS5_IjLj3EEiiiiiiiiiiiliiliiiiil.has_recursion, 0
	.set _ZL15flash_attn_tileILi72ELi72ELi4ELi2ELb0EEvPKcS1_S1_S1_S1_PKiPfP15HIP_vector_typeIfLj2EEffffjfiS5_IjLj3EEiiiiiiiiiiiliiliiiiil.has_indirect_call, 0
	.section	.AMDGPU.csdata,"",@progbits
; Kernel info:
; codeLenInByte = 5056
; TotalNumSgprs: 46
; NumVgprs: 62
; ScratchSize: 0
; MemoryBound: 0
; FloatMode: 240
; IeeeMode: 1
; LDSByteSize: 7008 bytes/workgroup (compile time only)
; SGPRBlocks: 0
; VGPRBlocks: 7
; NumSGPRsForWavesPerEU: 46
; NumVGPRsForWavesPerEU: 62
; Occupancy: 16
; WaveLimiterHint : 1
; COMPUTE_PGM_RSRC2:SCRATCH_EN: 0
; COMPUTE_PGM_RSRC2:USER_SGPR: 6
; COMPUTE_PGM_RSRC2:TRAP_HANDLER: 0
; COMPUTE_PGM_RSRC2:TGID_X_EN: 1
; COMPUTE_PGM_RSRC2:TGID_Y_EN: 1
; COMPUTE_PGM_RSRC2:TGID_Z_EN: 1
; COMPUTE_PGM_RSRC2:TIDIG_COMP_CNT: 1
	.section	.text._ZL33flash_attn_stream_k_fixup_uniformILi72ELi4ELi2EEvPfPK15HIP_vector_typeIfLj2EEiiiiiiS1_IjLj3EES5_S5_,"axG",@progbits,_ZL33flash_attn_stream_k_fixup_uniformILi72ELi4ELi2EEvPfPK15HIP_vector_typeIfLj2EEiiiiiiS1_IjLj3EES5_S5_,comdat
	.globl	_ZL33flash_attn_stream_k_fixup_uniformILi72ELi4ELi2EEvPfPK15HIP_vector_typeIfLj2EEiiiiiiS1_IjLj3EES5_S5_ ; -- Begin function _ZL33flash_attn_stream_k_fixup_uniformILi72ELi4ELi2EEvPfPK15HIP_vector_typeIfLj2EEiiiiiiS1_IjLj3EES5_S5_
	.p2align	8
	.type	_ZL33flash_attn_stream_k_fixup_uniformILi72ELi4ELi2EEvPfPK15HIP_vector_typeIfLj2EEiiiiiiS1_IjLj3EES5_S5_,@function
_ZL33flash_attn_stream_k_fixup_uniformILi72ELi4ELi2EEvPfPK15HIP_vector_typeIfLj2EEiiiiiiS1_IjLj3EES5_S5_: ; @_ZL33flash_attn_stream_k_fixup_uniformILi72ELi4ELi2EEvPfPK15HIP_vector_typeIfLj2EEiiiiiiS1_IjLj3EES5_S5_
; %bb.0:
	s_clause 0x2
	s_load_dwordx8 s[12:19], s[4:5], 0x1c
	s_load_dwordx4 s[20:23], s[4:5], 0x3c
	s_load_dwordx2 s[10:11], s[4:5], 0x10
	s_waitcnt lgkmcnt(0)
	s_mul_hi_u32 s0, s15, s6
	s_add_i32 s0, s6, s0
	s_lshr_b32 s0, s0, s16
	s_mul_i32 s1, s0, s17
	s_sub_i32 s1, s6, s1
	s_mul_hi_u32 s2, s1, s18
	s_add_i32 s2, s1, s2
	s_lshr_b32 s9, s2, s19
	s_mul_i32 s2, s9, s20
	s_sub_i32 s1, s1, s2
	s_mul_hi_u32 s2, s1, s21
	s_add_i32 s2, s1, s2
	s_lshr_b32 s2, s2, s22
	s_mul_i32 s3, s2, s23
	s_lshl_b32 s16, s2, 1
	s_sub_i32 s15, s1, s3
	s_lshl_b32 s1, s15, 2
	s_add_i32 s1, s1, s7
	s_cmp_lt_i32 s1, s10
	s_cselect_b32 s1, -1, 0
	s_add_i32 s16, s16, s8
	s_cmp_lt_i32 s16, s13
	s_cselect_b32 s2, -1, 0
	s_and_b32 s1, s1, s2
	s_andn2_b32 vcc_lo, exec_lo, s1
	s_cbranch_vccnz .LBB44_6
; %bb.1:
	s_mul_i32 s10, s0, s10
	s_load_dwordx4 s[0:3], s[4:5], 0x0
	s_add_i32 s4, s10, s7
	s_mul_i32 s9, s9, s13
	s_mul_i32 s4, s4, s11
	s_add_i32 s5, s16, s9
	s_mul_i32 s9, s11, s15
	s_add_i32 s4, s5, s4
	s_mulk_i32 s9, 0x120
	s_mulk_i32 s4, 0x48
	s_lshl_b32 s10, s7, 1
	v_add3_u32 v1, s4, s9, v0
	s_mul_i32 s4, s14, s6
	s_add_i32 s11, s4, s14
	v_ashrrev_i32_e32 v2, 31, v1
	v_lshlrev_b64 v[1:2], 2, v[1:2]
	s_waitcnt lgkmcnt(0)
	v_add_co_u32 v1, vcc_lo, s0, v1
	v_add_co_ci_u32_e64 v2, null, s1, v2, vcc_lo
	s_add_i32 s0, s10, s8
	s_lshl_b32 s1, s11, 3
	global_load_dword v5, v[1:2], off
	s_add_i32 s0, s0, s1
	s_add_i32 s0, s0, -8
	s_ashr_i32 s1, s0, 31
	s_lshl_b64 s[0:1], s[0:1], 3
	s_add_u32 s0, s2, s0
	s_addc_u32 s1, s3, s1
	s_add_i32 s5, s11, -2
	s_load_dword s13, s[0:1], 0x4
	s_cmp_lt_i32 s5, s4
	s_cbranch_scc1 .LBB44_4
; %bb.2:
	s_load_dword s15, s[0:1], 0x0
	s_lshl_b32 s16, s12, 5
	s_mulk_i32 s7, 0x90
	s_ashr_i32 s17, s16, 31
	s_waitcnt lgkmcnt(0)
	v_mov_b32_e32 v6, s13
	s_lshl_b64 s[0:1], s[16:17], 2
	s_add_u32 s5, s2, s0
	s_addc_u32 s9, s3, s1
	s_add_i32 s6, s6, 1
	s_mul_i32 s0, s14, s6
	s_mul_i32 s6, s8, 0x48
	s_lshl_b32 s1, s0, 3
	s_mulk_i32 s0, 0x240
	s_add_i32 s6, s6, s7
	s_add_i32 s1, s8, s1
	s_lshl_b32 s7, s12, 3
	s_add_i32 s6, s6, s0
	s_add_i32 s0, s1, s7
	v_add3_u32 v3, s6, v0, 0xfffffb80
	v_mov_b32_e32 v0, s15
	s_add_i32 s0, s0, s10
	s_add_i32 s6, s11, -1
	s_add_i32 s0, s0, -16
.LBB44_3:                               ; =>This Inner Loop Header: Depth=1
	v_ashrrev_i32_e32 v4, 31, v3
	s_ashr_i32 s1, s0, 31
	s_lshl_b64 s[10:11], s[0:1], 3
	s_add_u32 s10, s2, s10
	v_lshlrev_b64 v[7:8], 2, v[3:4]
	s_addc_u32 s11, s3, s11
	v_add_nc_u32_e32 v3, 0xfffffdc0, v3
	s_add_i32 s6, s6, -1
	s_add_i32 s0, s0, -8
	s_cmp_le_i32 s6, s4
	v_add_co_u32 v7, vcc_lo, s5, v7
	v_add_co_ci_u32_e64 v8, null, s9, v8, vcc_lo
	s_load_dwordx2 s[10:11], s[10:11], 0x0
	global_load_dword v4, v[7:8], off
	v_max_f32_e32 v7, v0, v0
	s_waitcnt lgkmcnt(0)
	v_max_f32_e64 v8, s10, s10
	v_max_f32_e32 v7, v7, v8
	v_sub_f32_e32 v8, s10, v7
	v_sub_f32_e32 v0, v0, v7
	v_mul_f32_e32 v9, 0x3fb8aa3b, v8
	v_mul_f32_e32 v12, 0x3fb8aa3b, v0
	v_cmp_ngt_f32_e32 vcc_lo, 0xc2ce8ed0, v8
	v_fma_f32 v10, 0x3fb8aa3b, v8, -v9
	v_rndne_f32_e32 v11, v9
	v_fma_f32 v13, 0x3fb8aa3b, v0, -v12
	v_rndne_f32_e32 v14, v12
	v_fmac_f32_e32 v10, 0x32a5705f, v8
	v_sub_f32_e32 v9, v9, v11
	v_fmac_f32_e32 v13, 0x32a5705f, v0
	v_cvt_i32_f32_e32 v11, v11
	v_add_f32_e32 v9, v9, v10
	v_sub_f32_e32 v10, v12, v14
	v_exp_f32_e32 v9, v9
	v_add_f32_e32 v10, v10, v13
	v_exp_f32_e32 v10, v10
	v_ldexp_f32 v9, v9, v11
	v_cvt_i32_f32_e32 v11, v14
	v_cndmask_b32_e32 v9, 0, v9, vcc_lo
	v_cmp_nlt_f32_e32 vcc_lo, 0x42b17218, v8
	v_ldexp_f32 v10, v10, v11
	v_mov_b32_e32 v11, v6
	v_cndmask_b32_e32 v9, 0x7f800000, v9, vcc_lo
	v_cmp_ngt_f32_e32 vcc_lo, 0xc2ce8ed0, v0
	v_cndmask_b32_e32 v10, 0, v10, vcc_lo
	v_cmp_le_f32_e32 vcc_lo, 0xc1a00000, v8
	v_cndmask_b32_e32 v8, 0, v9, vcc_lo
	v_cmp_nlt_f32_e32 vcc_lo, 0x42b17218, v0
	s_waitcnt vmcnt(1)
	v_mov_b32_e32 v9, v5
	v_cndmask_b32_e32 v5, 0x7f800000, v10, vcc_lo
	v_mul_f32_e32 v10, s11, v8
	v_cmp_le_f32_e32 vcc_lo, 0xc1a00000, v0
	v_mov_b32_e32 v0, v7
	v_mov_b32_e32 v6, v10
	v_cndmask_b32_e32 v12, 0, v5, vcc_lo
	v_fmac_f32_e32 v6, v11, v12
	s_waitcnt vmcnt(0)
	v_mul_f32_e32 v5, v4, v8
	v_fmac_f32_e32 v5, v9, v12
	s_cbranch_scc0 .LBB44_3
	s_branch .LBB44_5
.LBB44_4:
	s_waitcnt lgkmcnt(0)
	v_mov_b32_e32 v6, s13
.LBB44_5:
	s_waitcnt vmcnt(0)
	v_div_scale_f32 v0, null, v6, v6, v5
	v_rcp_f32_e32 v3, v0
	v_fma_f32 v4, -v0, v3, 1.0
	v_fmac_f32_e32 v3, v4, v3
	v_div_scale_f32 v4, vcc_lo, v5, v6, v5
	v_mul_f32_e32 v7, v4, v3
	v_fma_f32 v8, -v0, v7, v4
	v_fmac_f32_e32 v7, v8, v3
	v_fma_f32 v0, -v0, v7, v4
	v_div_fmas_f32 v0, v0, v3, v7
	v_div_fixup_f32 v0, v0, v6, v5
	global_store_dword v[1:2], v0, off
.LBB44_6:
	s_endpgm
	.section	.rodata,"a",@progbits
	.p2align	6, 0x0
	.amdhsa_kernel _ZL33flash_attn_stream_k_fixup_uniformILi72ELi4ELi2EEvPfPK15HIP_vector_typeIfLj2EEiiiiiiS1_IjLj3EES5_S5_
		.amdhsa_group_segment_fixed_size 0
		.amdhsa_private_segment_fixed_size 0
		.amdhsa_kernarg_size 76
		.amdhsa_user_sgpr_count 6
		.amdhsa_user_sgpr_private_segment_buffer 1
		.amdhsa_user_sgpr_dispatch_ptr 0
		.amdhsa_user_sgpr_queue_ptr 0
		.amdhsa_user_sgpr_kernarg_segment_ptr 1
		.amdhsa_user_sgpr_dispatch_id 0
		.amdhsa_user_sgpr_flat_scratch_init 0
		.amdhsa_user_sgpr_private_segment_size 0
		.amdhsa_wavefront_size32 1
		.amdhsa_uses_dynamic_stack 0
		.amdhsa_system_sgpr_private_segment_wavefront_offset 0
		.amdhsa_system_sgpr_workgroup_id_x 1
		.amdhsa_system_sgpr_workgroup_id_y 1
		.amdhsa_system_sgpr_workgroup_id_z 1
		.amdhsa_system_sgpr_workgroup_info 0
		.amdhsa_system_vgpr_workitem_id 0
		.amdhsa_next_free_vgpr 15
		.amdhsa_next_free_sgpr 24
		.amdhsa_reserve_vcc 1
		.amdhsa_reserve_flat_scratch 0
		.amdhsa_float_round_mode_32 0
		.amdhsa_float_round_mode_16_64 0
		.amdhsa_float_denorm_mode_32 3
		.amdhsa_float_denorm_mode_16_64 3
		.amdhsa_dx10_clamp 1
		.amdhsa_ieee_mode 1
		.amdhsa_fp16_overflow 0
		.amdhsa_workgroup_processor_mode 1
		.amdhsa_memory_ordered 1
		.amdhsa_forward_progress 1
		.amdhsa_shared_vgpr_count 0
		.amdhsa_exception_fp_ieee_invalid_op 0
		.amdhsa_exception_fp_denorm_src 0
		.amdhsa_exception_fp_ieee_div_zero 0
		.amdhsa_exception_fp_ieee_overflow 0
		.amdhsa_exception_fp_ieee_underflow 0
		.amdhsa_exception_fp_ieee_inexact 0
		.amdhsa_exception_int_div_zero 0
	.end_amdhsa_kernel
	.section	.text._ZL33flash_attn_stream_k_fixup_uniformILi72ELi4ELi2EEvPfPK15HIP_vector_typeIfLj2EEiiiiiiS1_IjLj3EES5_S5_,"axG",@progbits,_ZL33flash_attn_stream_k_fixup_uniformILi72ELi4ELi2EEvPfPK15HIP_vector_typeIfLj2EEiiiiiiS1_IjLj3EES5_S5_,comdat
.Lfunc_end44:
	.size	_ZL33flash_attn_stream_k_fixup_uniformILi72ELi4ELi2EEvPfPK15HIP_vector_typeIfLj2EEiiiiiiS1_IjLj3EES5_S5_, .Lfunc_end44-_ZL33flash_attn_stream_k_fixup_uniformILi72ELi4ELi2EEvPfPK15HIP_vector_typeIfLj2EEiiiiiiS1_IjLj3EES5_S5_
                                        ; -- End function
	.set _ZL33flash_attn_stream_k_fixup_uniformILi72ELi4ELi2EEvPfPK15HIP_vector_typeIfLj2EEiiiiiiS1_IjLj3EES5_S5_.num_vgpr, 15
	.set _ZL33flash_attn_stream_k_fixup_uniformILi72ELi4ELi2EEvPfPK15HIP_vector_typeIfLj2EEiiiiiiS1_IjLj3EES5_S5_.num_agpr, 0
	.set _ZL33flash_attn_stream_k_fixup_uniformILi72ELi4ELi2EEvPfPK15HIP_vector_typeIfLj2EEiiiiiiS1_IjLj3EES5_S5_.numbered_sgpr, 24
	.set _ZL33flash_attn_stream_k_fixup_uniformILi72ELi4ELi2EEvPfPK15HIP_vector_typeIfLj2EEiiiiiiS1_IjLj3EES5_S5_.num_named_barrier, 0
	.set _ZL33flash_attn_stream_k_fixup_uniformILi72ELi4ELi2EEvPfPK15HIP_vector_typeIfLj2EEiiiiiiS1_IjLj3EES5_S5_.private_seg_size, 0
	.set _ZL33flash_attn_stream_k_fixup_uniformILi72ELi4ELi2EEvPfPK15HIP_vector_typeIfLj2EEiiiiiiS1_IjLj3EES5_S5_.uses_vcc, 1
	.set _ZL33flash_attn_stream_k_fixup_uniformILi72ELi4ELi2EEvPfPK15HIP_vector_typeIfLj2EEiiiiiiS1_IjLj3EES5_S5_.uses_flat_scratch, 0
	.set _ZL33flash_attn_stream_k_fixup_uniformILi72ELi4ELi2EEvPfPK15HIP_vector_typeIfLj2EEiiiiiiS1_IjLj3EES5_S5_.has_dyn_sized_stack, 0
	.set _ZL33flash_attn_stream_k_fixup_uniformILi72ELi4ELi2EEvPfPK15HIP_vector_typeIfLj2EEiiiiiiS1_IjLj3EES5_S5_.has_recursion, 0
	.set _ZL33flash_attn_stream_k_fixup_uniformILi72ELi4ELi2EEvPfPK15HIP_vector_typeIfLj2EEiiiiiiS1_IjLj3EES5_S5_.has_indirect_call, 0
	.section	.AMDGPU.csdata,"",@progbits
; Kernel info:
; codeLenInByte = 848
; TotalNumSgprs: 26
; NumVgprs: 15
; ScratchSize: 0
; MemoryBound: 0
; FloatMode: 240
; IeeeMode: 1
; LDSByteSize: 0 bytes/workgroup (compile time only)
; SGPRBlocks: 0
; VGPRBlocks: 1
; NumSGPRsForWavesPerEU: 26
; NumVGPRsForWavesPerEU: 15
; Occupancy: 16
; WaveLimiterHint : 0
; COMPUTE_PGM_RSRC2:SCRATCH_EN: 0
; COMPUTE_PGM_RSRC2:USER_SGPR: 6
; COMPUTE_PGM_RSRC2:TRAP_HANDLER: 0
; COMPUTE_PGM_RSRC2:TGID_X_EN: 1
; COMPUTE_PGM_RSRC2:TGID_Y_EN: 1
; COMPUTE_PGM_RSRC2:TGID_Z_EN: 1
; COMPUTE_PGM_RSRC2:TIDIG_COMP_CNT: 0
	.section	.text._ZL33flash_attn_stream_k_fixup_generalILi72ELi4ELi2EEvPfPK15HIP_vector_typeIfLj2EEiiiiS1_IjLj3EES5_S5_S5_,"axG",@progbits,_ZL33flash_attn_stream_k_fixup_generalILi72ELi4ELi2EEvPfPK15HIP_vector_typeIfLj2EEiiiiS1_IjLj3EES5_S5_S5_,comdat
	.globl	_ZL33flash_attn_stream_k_fixup_generalILi72ELi4ELi2EEvPfPK15HIP_vector_typeIfLj2EEiiiiS1_IjLj3EES5_S5_S5_ ; -- Begin function _ZL33flash_attn_stream_k_fixup_generalILi72ELi4ELi2EEvPfPK15HIP_vector_typeIfLj2EEiiiiS1_IjLj3EES5_S5_S5_
	.p2align	8
	.type	_ZL33flash_attn_stream_k_fixup_generalILi72ELi4ELi2EEvPfPK15HIP_vector_typeIfLj2EEiiiiS1_IjLj3EES5_S5_S5_,@function
_ZL33flash_attn_stream_k_fixup_generalILi72ELi4ELi2EEvPfPK15HIP_vector_typeIfLj2EEiiiiS1_IjLj3EES5_S5_S5_: ; @_ZL33flash_attn_stream_k_fixup_generalILi72ELi4ELi2EEvPfPK15HIP_vector_typeIfLj2EEiiiiS1_IjLj3EES5_S5_S5_
; %bb.0:
	s_clause 0x1
	s_load_dwordx4 s[0:3], s[4:5], 0x10
	s_load_dword s9, s[4:5], 0x50
	s_mov_b32 s16, 0
	s_waitcnt lgkmcnt(0)
	s_mul_hi_i32 s17, s3, s6
	s_mul_i32 s18, s3, s6
	s_cmp_lg_u64 s[16:17], 0
	s_cbranch_scc0 .LBB45_21
; %bb.1:
	s_add_u32 s10, s9, 0
	s_addc_u32 s11, 0, 0
	s_xor_b64 s[10:11], s[10:11], 0
	v_cvt_f32_u32_e32 v1, s10
	v_cvt_f32_u32_e32 v2, s11
	s_sub_u32 s14, 0, s10
	s_subb_u32 s15, 0, s11
	v_fmamk_f32 v1, v2, 0x4f800000, v1
	v_rcp_f32_e32 v1, v1
	v_mul_f32_e32 v1, 0x5f7ffffc, v1
	v_mul_f32_e32 v2, 0x2f800000, v1
	v_trunc_f32_e32 v2, v2
	v_fmamk_f32 v1, v2, 0xcf800000, v1
	v_cvt_u32_f32_e32 v2, v2
	v_cvt_u32_f32_e32 v1, v1
	v_readfirstlane_b32 s12, v2
	v_readfirstlane_b32 s13, v1
	s_mul_i32 s19, s14, s12
	s_mul_hi_u32 s21, s14, s13
	s_mul_i32 s20, s15, s13
	s_add_i32 s19, s21, s19
	s_mul_i32 s22, s14, s13
	s_add_i32 s19, s19, s20
	s_mul_hi_u32 s21, s13, s22
	s_mul_i32 s24, s13, s19
	s_mul_hi_u32 s23, s12, s22
	s_mul_i32 s20, s12, s22
	s_mul_hi_u32 s22, s13, s19
	s_add_u32 s21, s21, s24
	s_addc_u32 s22, 0, s22
	s_mul_hi_u32 s25, s12, s19
	s_add_u32 s20, s21, s20
	s_mul_i32 s19, s12, s19
	s_addc_u32 s20, s22, s23
	s_addc_u32 s21, s25, 0
	s_add_u32 s19, s20, s19
	s_addc_u32 s20, 0, s21
	s_add_u32 s13, s13, s19
	s_cselect_b32 s19, -1, 0
	s_mul_hi_u32 s21, s14, s13
	s_cmp_lg_u32 s19, 0
	s_mul_i32 s19, s14, s13
	s_addc_u32 s12, s12, s20
	s_mul_i32 s15, s15, s13
	s_mul_i32 s14, s14, s12
	s_mul_hi_u32 s20, s13, s19
	s_add_i32 s14, s21, s14
	s_mul_hi_u32 s21, s12, s19
	s_add_i32 s14, s14, s15
	s_mul_i32 s15, s12, s19
	s_mul_i32 s23, s13, s14
	s_mul_hi_u32 s22, s13, s14
	s_add_u32 s20, s20, s23
	s_addc_u32 s22, 0, s22
	s_mul_hi_u32 s19, s12, s14
	s_add_u32 s15, s20, s15
	s_mul_i32 s14, s12, s14
	s_addc_u32 s15, s22, s21
	s_addc_u32 s19, s19, 0
	s_add_u32 s14, s15, s14
	s_addc_u32 s15, 0, s19
	s_add_u32 s19, s13, s14
	s_cselect_b32 s13, -1, 0
	s_cmp_lg_u32 s13, 0
	s_addc_u32 s20, s12, s15
	s_ashr_i32 s12, s17, 31
	s_add_u32 s14, s18, s12
	s_mov_b32 s13, s12
	s_addc_u32 s15, s17, s12
	s_xor_b64 s[14:15], s[14:15], s[12:13]
	s_mul_i32 s21, s14, s20
	s_mul_hi_u32 s22, s14, s19
	s_mul_hi_u32 s17, s14, s20
	;; [unrolled: 1-line block ×3, first 2 shown]
	s_mul_i32 s19, s15, s19
	s_add_u32 s21, s22, s21
	s_addc_u32 s17, 0, s17
	s_mul_hi_u32 s23, s15, s20
	s_add_u32 s19, s21, s19
	s_mul_i32 s20, s15, s20
	s_addc_u32 s17, s17, s24
	s_addc_u32 s19, s23, 0
	s_add_u32 s17, s17, s20
	s_addc_u32 s19, 0, s19
	s_mul_hi_u32 s20, s10, s17
	s_mul_i32 s21, s10, s19
	s_mul_i32 s22, s11, s17
	s_add_i32 s20, s20, s21
	s_mul_i32 s21, s10, s17
	s_add_i32 s20, s20, s22
	s_sub_i32 s22, s15, s20
	s_sub_u32 s14, s14, s21
	s_cselect_b32 s21, -1, 0
	s_cmp_lg_u32 s21, 0
	s_subb_u32 s22, s22, s11
	s_sub_u32 s23, s14, s10
	s_cselect_b32 s24, -1, 0
	s_cmp_lg_u32 s24, 0
	s_subb_u32 s22, s22, 0
	s_cmp_ge_u32 s22, s11
	s_cselect_b32 s24, -1, 0
	s_cmp_ge_u32 s23, s10
	s_cselect_b32 s23, -1, 0
	s_cmp_eq_u32 s22, s11
	s_cselect_b32 s22, s23, s24
	s_add_u32 s23, s17, 1
	s_addc_u32 s24, s19, 0
	s_add_u32 s25, s17, 2
	s_addc_u32 s26, s19, 0
	s_cmp_lg_u32 s22, 0
	s_cselect_b32 s22, s25, s23
	s_cselect_b32 s23, s26, s24
	s_cmp_lg_u32 s21, 0
	s_subb_u32 s15, s15, s20
	s_cmp_ge_u32 s15, s11
	s_cselect_b32 s20, -1, 0
	s_cmp_ge_u32 s14, s10
	s_cselect_b32 s10, -1, 0
	s_cmp_eq_u32 s15, s11
	s_cselect_b32 s10, s10, s20
	s_cmp_lg_u32 s10, 0
	s_cselect_b32 s11, s23, s19
	s_cselect_b32 s10, s22, s17
	s_xor_b64 s[12:13], s[12:13], 0
	s_xor_b64 s[10:11], s[10:11], s[12:13]
	s_sub_u32 s10, s10, s12
	s_load_dwordx4 s[12:15], s[4:5], 0x44
	s_andn2_b32 vcc_lo, exec_lo, s16
	s_cbranch_vccnz .LBB45_3
.LBB45_2:
	v_cvt_f32_u32_e32 v1, s9
	s_sub_i32 s11, 0, s9
	v_rcp_iflag_f32_e32 v1, v1
	v_mul_f32_e32 v1, 0x4f7ffffe, v1
	v_cvt_u32_f32_e32 v1, v1
	v_readfirstlane_b32 s10, v1
	s_mul_i32 s11, s11, s10
	s_mul_hi_u32 s11, s10, s11
	s_add_i32 s10, s10, s11
	s_mul_hi_u32 s10, s18, s10
	s_mul_i32 s11, s10, s9
	s_waitcnt lgkmcnt(0)
	s_add_i32 s15, s10, 1
	s_sub_i32 s11, s18, s11
	s_sub_i32 s16, s11, s9
	s_cmp_ge_u32 s11, s9
	s_cselect_b32 s10, s15, s10
	s_cselect_b32 s11, s16, s11
	s_add_i32 s15, s10, 1
	s_cmp_ge_u32 s11, s9
	s_cselect_b32 s10, s15, s10
.LBB45_3:
	s_add_i32 s11, s6, 1
	s_mov_b32 s16, 0
	s_mul_hi_i32 s17, s3, s11
	s_mul_i32 s11, s3, s11
	s_cmp_lg_u64 s[16:17], 0
	s_cbranch_scc0 .LBB45_22
; %bb.4:
	s_add_u32 s18, s9, 0
	s_addc_u32 s19, 0, 0
	s_xor_b64 s[18:19], s[18:19], 0
	v_cvt_f32_u32_e32 v1, s18
	v_cvt_f32_u32_e32 v2, s19
	s_sub_u32 s21, 0, s18
	s_subb_u32 s22, 0, s19
	v_fmamk_f32 v1, v2, 0x4f800000, v1
	v_rcp_f32_e32 v1, v1
	v_mul_f32_e32 v1, 0x5f7ffffc, v1
	v_mul_f32_e32 v2, 0x2f800000, v1
	v_trunc_f32_e32 v2, v2
	v_fmamk_f32 v1, v2, 0xcf800000, v1
	v_cvt_u32_f32_e32 v2, v2
	v_cvt_u32_f32_e32 v1, v1
	s_waitcnt lgkmcnt(0)
	v_readfirstlane_b32 s15, v2
	v_readfirstlane_b32 s20, v1
	s_mul_i32 s23, s21, s15
	s_mul_hi_u32 s25, s21, s20
	s_mul_i32 s24, s22, s20
	s_add_i32 s23, s25, s23
	s_mul_i32 s26, s21, s20
	s_add_i32 s23, s23, s24
	s_mul_hi_u32 s25, s20, s26
	s_mul_i32 s28, s20, s23
	s_mul_hi_u32 s27, s15, s26
	s_mul_i32 s24, s15, s26
	s_mul_hi_u32 s26, s20, s23
	s_add_u32 s25, s25, s28
	s_addc_u32 s26, 0, s26
	s_mul_hi_u32 s29, s15, s23
	s_add_u32 s24, s25, s24
	s_mul_i32 s23, s15, s23
	s_addc_u32 s24, s26, s27
	s_addc_u32 s25, s29, 0
	s_add_u32 s23, s24, s23
	s_addc_u32 s24, 0, s25
	s_add_u32 s20, s20, s23
	s_cselect_b32 s23, -1, 0
	s_mul_hi_u32 s25, s21, s20
	s_cmp_lg_u32 s23, 0
	s_mul_i32 s23, s21, s20
	s_addc_u32 s15, s15, s24
	s_mul_i32 s22, s22, s20
	s_mul_i32 s21, s21, s15
	s_mul_hi_u32 s24, s20, s23
	s_add_i32 s21, s25, s21
	s_mul_hi_u32 s25, s15, s23
	s_add_i32 s21, s21, s22
	s_mul_i32 s22, s15, s23
	s_mul_i32 s27, s20, s21
	s_mul_hi_u32 s26, s20, s21
	s_add_u32 s24, s24, s27
	s_addc_u32 s26, 0, s26
	s_mul_hi_u32 s23, s15, s21
	s_add_u32 s22, s24, s22
	s_mul_i32 s21, s15, s21
	s_addc_u32 s22, s26, s25
	s_addc_u32 s23, s23, 0
	s_add_u32 s21, s22, s21
	s_addc_u32 s22, 0, s23
	s_add_u32 s24, s20, s21
	s_cselect_b32 s20, -1, 0
	s_cmp_lg_u32 s20, 0
	s_addc_u32 s15, s15, s22
	s_ashr_i32 s20, s17, 31
	s_add_u32 s22, s11, s20
	s_mov_b32 s21, s20
	s_addc_u32 s23, s17, s20
	s_xor_b64 s[22:23], s[22:23], s[20:21]
	s_mul_i32 s25, s22, s15
	s_mul_hi_u32 s26, s22, s24
	s_mul_hi_u32 s17, s22, s15
	;; [unrolled: 1-line block ×3, first 2 shown]
	s_mul_i32 s24, s23, s24
	s_add_u32 s25, s26, s25
	s_addc_u32 s17, 0, s17
	s_mul_hi_u32 s27, s23, s15
	s_add_u32 s24, s25, s24
	s_mul_i32 s15, s23, s15
	s_addc_u32 s17, s17, s28
	s_addc_u32 s24, s27, 0
	s_add_u32 s15, s17, s15
	s_addc_u32 s17, 0, s24
	s_mul_hi_u32 s24, s18, s15
	s_mul_i32 s25, s18, s17
	s_mul_i32 s26, s19, s15
	s_add_i32 s24, s24, s25
	s_mul_i32 s25, s18, s15
	s_add_i32 s24, s24, s26
	s_sub_i32 s26, s23, s24
	s_sub_u32 s22, s22, s25
	s_cselect_b32 s25, -1, 0
	s_cmp_lg_u32 s25, 0
	s_subb_u32 s26, s26, s19
	s_sub_u32 s27, s22, s18
	s_cselect_b32 s28, -1, 0
	s_cmp_lg_u32 s28, 0
	s_subb_u32 s26, s26, 0
	s_cmp_ge_u32 s26, s19
	s_cselect_b32 s28, -1, 0
	s_cmp_ge_u32 s27, s18
	s_cselect_b32 s27, -1, 0
	s_cmp_eq_u32 s26, s19
	s_cselect_b32 s26, s27, s28
	s_add_u32 s27, s15, 1
	s_addc_u32 s28, s17, 0
	s_add_u32 s29, s15, 2
	s_addc_u32 s30, s17, 0
	s_cmp_lg_u32 s26, 0
	s_cselect_b32 s26, s29, s27
	s_cselect_b32 s27, s30, s28
	s_cmp_lg_u32 s25, 0
	s_subb_u32 s23, s23, s24
	s_cmp_ge_u32 s23, s19
	s_cselect_b32 s24, -1, 0
	s_cmp_ge_u32 s22, s18
	s_cselect_b32 s18, -1, 0
	s_cmp_eq_u32 s23, s19
	s_cselect_b32 s18, s18, s24
	s_cmp_lg_u32 s18, 0
	s_cselect_b32 s19, s27, s17
	s_cselect_b32 s18, s26, s15
	s_xor_b64 s[20:21], s[20:21], 0
	s_xor_b64 s[18:19], s[18:19], s[20:21]
	s_sub_u32 s18, s18, s20
	s_andn2_b32 vcc_lo, exec_lo, s16
	s_cbranch_vccnz .LBB45_6
.LBB45_5:
	v_cvt_f32_u32_e32 v1, s9
	s_sub_i32 s16, 0, s9
	v_rcp_iflag_f32_e32 v1, v1
	v_mul_f32_e32 v1, 0x4f7ffffe, v1
	v_cvt_u32_f32_e32 v1, v1
	s_waitcnt lgkmcnt(0)
	v_readfirstlane_b32 s15, v1
	s_mul_i32 s16, s16, s15
	s_mul_hi_u32 s16, s15, s16
	s_add_i32 s15, s15, s16
	s_mul_hi_u32 s15, s11, s15
	s_mul_i32 s16, s15, s9
	s_sub_i32 s11, s11, s16
	s_add_i32 s16, s15, 1
	s_sub_i32 s17, s11, s9
	s_cmp_ge_u32 s11, s9
	s_cselect_b32 s15, s16, s15
	s_cselect_b32 s11, s17, s11
	s_add_i32 s16, s15, 1
	s_cmp_ge_u32 s11, s9
	s_cselect_b32 s18, s16, s15
.LBB45_6:
	s_cmp_eq_u32 s10, s18
	s_waitcnt lgkmcnt(0)
	s_mul_hi_u32 s11, s10, s12
	s_cselect_b32 s15, -1, 0
	s_add_i32 s11, s11, s10
	s_lshr_b32 s11, s11, s13
	s_mul_i32 s16, s11, s14
	s_cmp_eq_u32 s16, s10
	s_mul_hi_u32 s16, s18, s12
	s_cselect_b32 s17, -1, 0
	s_add_i32 s16, s16, s18
	s_lshr_b32 s16, s16, s13
	s_cmp_eq_u32 s11, s16
	s_mul_i32 s16, s16, s14
	s_cselect_b32 s19, -1, 0
	s_cmp_lg_u32 s16, s18
	s_cselect_b32 s16, -1, 0
	s_or_b32 s15, s15, s17
	s_and_b32 s16, s19, s16
	s_or_b32 s15, s15, s16
	s_and_b32 vcc_lo, exec_lo, s15
	s_cbranch_vccnz .LBB45_24
; %bb.7:
	s_clause 0x1
	s_load_dwordx8 s[20:27], s[4:5], 0x20
	s_load_dword s16, s[4:5], 0x40
	s_waitcnt lgkmcnt(0)
	s_mul_hi_u32 s15, s10, s20
	s_add_i32 s15, s15, s10
	s_lshr_b32 s15, s15, s21
	s_mul_i32 s17, s15, s22
	s_sub_i32 s17, s10, s17
	s_mul_hi_u32 s18, s17, s23
	s_add_i32 s18, s17, s18
	s_lshr_b32 s21, s18, s24
	s_mul_i32 s18, s21, s25
	s_sub_i32 s17, s17, s18
	s_mul_hi_u32 s18, s17, s26
	s_add_i32 s18, s17, s18
	s_lshr_b32 s18, s18, s27
	s_mul_i32 s16, s18, s16
	s_lshl_b32 s22, s18, 1
	s_sub_i32 s16, s17, s16
	s_mul_hi_u32 s17, s16, s12
	s_add_i32 s16, s16, s17
	s_lshr_b32 s20, s16, s13
	s_lshl_b32 s16, s20, 2
	s_add_i32 s16, s16, s7
	s_cmp_lt_i32 s16, s0
	s_cselect_b32 s16, -1, 0
	s_add_i32 s22, s22, s8
	s_cmp_lt_i32 s22, s2
	s_cselect_b32 s17, -1, 0
	s_and_b32 s16, s16, s17
	s_andn2_b32 vcc_lo, exec_lo, s16
	s_cbranch_vccnz .LBB45_24
; %bb.8:
	s_load_dwordx4 s[16:19], s[4:5], 0x0
	s_mov_b32 s4, 0
	s_lshl_b32 s24, s9, 5
	s_mov_b32 s25, s4
	s_lshl_b32 s5, s7, 1
	s_lshl_b64 s[24:25], s[24:25], 2
	s_mul_i32 s21, s21, s2
	s_mul_i32 s0, s15, s0
	s_add_i32 s2, s5, s8
	v_cvt_f32_u32_e32 v3, s9
	v_rcp_iflag_f32_e32 v3, v3
	s_waitcnt lgkmcnt(0)
	s_add_u32 s8, s18, s24
	s_addc_u32 s15, s19, s25
	s_add_i32 s0, s0, s7
	s_add_i32 s5, s22, s21
	s_mul_i32 s0, s0, s1
	s_mul_i32 s1, s1, s20
	s_add_i32 s0, s5, s0
	s_mulk_i32 s1, 0x120
	s_mulk_i32 s0, 0x48
	v_mul_f32_e32 v7, 0x4f7ffffe, v3
	v_add3_u32 v1, s1, s0, v0
	s_lshl_b32 s0, s6, 3
	s_add_i32 s0, s2, s0
	v_ashrrev_i32_e32 v2, 31, v1
	s_ashr_i32 s1, s0, 31
	s_lshl_b64 s[0:1], s[0:1], 3
	v_lshlrev_b64 v[1:2], 2, v[1:2]
	s_add_u32 s0, s18, s0
	s_addc_u32 s1, s19, s1
	s_load_dwordx2 s[0:1], s[0:1], 0x0
	v_add_co_u32 v1, vcc_lo, s16, v1
	v_add_co_ci_u32_e64 v2, null, s17, v2, vcc_lo
	s_add_i32 s17, s6, -1
	v_mad_u64_u32 v[3:4], null, 0x48, s2, v[0:1]
	global_load_dword v5, v[1:2], off
	v_cvt_u32_f32_e32 v0, v7
	s_sub_i32 s16, 0, s9
	s_waitcnt lgkmcnt(0)
	v_mov_b32_e32 v4, s1
	v_mov_b32_e32 v6, s0
.LBB45_9:                               ; =>This Inner Loop Header: Depth=1
	s_mul_hi_i32 s5, s17, s3
	s_mul_i32 s6, s17, s3
	s_cmp_lg_u64 s[4:5], 0
	s_mov_b32 s7, -1
                                        ; implicit-def: $sgpr0_sgpr1
	s_cbranch_scc0 .LBB45_11
; %bb.10:                               ;   in Loop: Header=BB45_9 Depth=1
	s_add_u32 s0, s9, 0
	s_addc_u32 s1, 0, 0
	s_xor_b64 s[0:1], s[0:1], 0
	v_cvt_f32_u32_e32 v7, s0
	v_cvt_f32_u32_e32 v8, s1
	s_sub_u32 s21, 0, s0
	s_subb_u32 s22, 0, s1
	v_fmac_f32_e32 v7, 0x4f800000, v8
	v_rcp_f32_e32 v7, v7
	v_mul_f32_e32 v7, 0x5f7ffffc, v7
	v_mul_f32_e32 v8, 0x2f800000, v7
	v_trunc_f32_e32 v8, v8
	v_fmac_f32_e32 v7, 0xcf800000, v8
	v_cvt_u32_f32_e32 v8, v8
	v_cvt_u32_f32_e32 v7, v7
	v_readfirstlane_b32 s7, v8
	v_readfirstlane_b32 s20, v7
	s_mul_i32 s23, s21, s7
	s_mul_hi_u32 s25, s21, s20
	s_mul_i32 s24, s22, s20
	s_add_i32 s23, s25, s23
	s_mul_i32 s26, s21, s20
	s_add_i32 s23, s23, s24
	s_mul_hi_u32 s25, s20, s26
	s_mul_i32 s28, s20, s23
	s_mul_hi_u32 s27, s7, s26
	s_mul_i32 s24, s7, s26
	s_mul_hi_u32 s26, s20, s23
	s_add_u32 s25, s25, s28
	s_addc_u32 s26, 0, s26
	s_mul_hi_u32 s29, s7, s23
	s_add_u32 s24, s25, s24
	s_mul_i32 s23, s7, s23
	s_addc_u32 s24, s26, s27
	s_addc_u32 s25, s29, 0
	s_add_u32 s23, s24, s23
	s_addc_u32 s24, 0, s25
	s_add_u32 s20, s20, s23
	s_cselect_b32 s23, -1, 0
	s_mul_hi_u32 s25, s21, s20
	s_cmp_lg_u32 s23, 0
	s_mul_i32 s23, s21, s20
	s_addc_u32 s7, s7, s24
	s_mul_i32 s22, s22, s20
	s_mul_i32 s21, s21, s7
	s_mul_hi_u32 s24, s20, s23
	s_add_i32 s21, s25, s21
	s_mul_hi_u32 s25, s7, s23
	s_add_i32 s21, s21, s22
	s_mul_i32 s22, s7, s23
	s_mul_i32 s27, s20, s21
	s_mul_hi_u32 s26, s20, s21
	s_add_u32 s24, s24, s27
	s_addc_u32 s26, 0, s26
	s_mul_hi_u32 s23, s7, s21
	s_add_u32 s22, s24, s22
	s_mul_i32 s21, s7, s21
	s_addc_u32 s22, s26, s25
	s_addc_u32 s23, s23, 0
	s_add_u32 s21, s22, s21
	s_addc_u32 s22, 0, s23
	s_add_u32 s24, s20, s21
	s_cselect_b32 s20, -1, 0
	s_cmp_lg_u32 s20, 0
	s_addc_u32 s7, s7, s22
	s_ashr_i32 s20, s5, 31
	s_add_u32 s22, s6, s20
	s_mov_b32 s21, s20
	s_addc_u32 s23, s5, s20
	s_xor_b64 s[22:23], s[22:23], s[20:21]
	s_mul_i32 s25, s22, s7
	s_mul_hi_u32 s26, s22, s24
	s_mul_hi_u32 s5, s22, s7
	;; [unrolled: 1-line block ×3, first 2 shown]
	s_mul_i32 s24, s23, s24
	s_add_u32 s25, s26, s25
	s_addc_u32 s5, 0, s5
	s_mul_hi_u32 s27, s23, s7
	s_add_u32 s24, s25, s24
	s_mul_i32 s7, s23, s7
	s_addc_u32 s5, s5, s28
	s_addc_u32 s24, s27, 0
	s_add_u32 s5, s5, s7
	s_addc_u32 s7, 0, s24
	s_mul_hi_u32 s24, s0, s5
	s_mul_i32 s25, s0, s7
	s_mul_i32 s26, s1, s5
	s_add_i32 s24, s24, s25
	s_mul_i32 s25, s0, s5
	s_add_i32 s24, s24, s26
	s_sub_i32 s26, s23, s24
	s_sub_u32 s22, s22, s25
	s_cselect_b32 s25, -1, 0
	s_cmp_lg_u32 s25, 0
	s_subb_u32 s26, s26, s1
	s_sub_u32 s27, s22, s0
	s_cselect_b32 s28, -1, 0
	s_cmp_lg_u32 s28, 0
	s_subb_u32 s26, s26, 0
	s_cmp_ge_u32 s26, s1
	s_cselect_b32 s28, -1, 0
	s_cmp_ge_u32 s27, s0
	s_cselect_b32 s27, -1, 0
	s_cmp_eq_u32 s26, s1
	s_cselect_b32 s26, s27, s28
	s_add_u32 s27, s5, 1
	s_addc_u32 s28, s7, 0
	s_add_u32 s29, s5, 2
	s_addc_u32 s30, s7, 0
	s_cmp_lg_u32 s26, 0
	s_cselect_b32 s26, s29, s27
	s_cselect_b32 s27, s30, s28
	s_cmp_lg_u32 s25, 0
	s_subb_u32 s23, s23, s24
	s_cmp_ge_u32 s23, s1
	s_cselect_b32 s24, -1, 0
	s_cmp_ge_u32 s22, s0
	s_cselect_b32 s0, -1, 0
	s_cmp_eq_u32 s23, s1
	s_cselect_b32 s0, s0, s24
	s_cmp_lg_u32 s0, 0
	s_cselect_b32 s1, s27, s7
	s_cselect_b32 s0, s26, s5
	s_xor_b64 s[20:21], s[20:21], 0
	s_mov_b32 s7, 0
	s_xor_b64 s[0:1], s[0:1], s[20:21]
	s_sub_u32 s0, s0, s20
.LBB45_11:                              ;   in Loop: Header=BB45_9 Depth=1
	s_andn2_b32 vcc_lo, exec_lo, s7
	s_cbranch_vccnz .LBB45_13
; %bb.12:                               ;   in Loop: Header=BB45_9 Depth=1
	v_readfirstlane_b32 s0, v0
	s_mul_i32 s1, s16, s0
	s_mul_hi_u32 s1, s0, s1
	s_add_i32 s0, s0, s1
	s_mul_hi_u32 s0, s6, s0
	s_mul_i32 s1, s0, s9
	s_add_i32 s5, s0, 1
	s_sub_i32 s1, s6, s1
	s_sub_i32 s6, s1, s9
	s_cmp_ge_u32 s1, s9
	s_cselect_b32 s0, s5, s0
	s_cselect_b32 s1, s6, s1
	s_add_i32 s5, s0, 1
	s_cmp_ge_u32 s1, s9
	s_cselect_b32 s0, s5, s0
.LBB45_13:                              ;   in Loop: Header=BB45_9 Depth=1
	s_cmp_lg_u32 s10, s0
	s_mov_b32 s6, -1
                                        ; implicit-def: $sgpr5
                                        ; implicit-def: $vgpr8
                                        ; implicit-def: $vgpr7
                                        ; implicit-def: $vgpr9
                                        ; implicit-def: $sgpr1
                                        ; implicit-def: $sgpr20
	s_cbranch_scc0 .LBB45_18
; %bb.14:                               ;   in Loop: Header=BB45_9 Depth=1
	s_add_i32 s1, s17, s9
	s_mov_b32 s7, s4
	s_lshl_b32 s1, s1, 3
	s_mov_b32 s20, s10
	s_add_i32 s6, s1, s2
	s_mul_hi_u32 s1, s0, s12
	s_lshl_b64 s[6:7], s[6:7], 3
	s_add_u32 s6, s18, s6
	s_addc_u32 s7, s19, s7
	s_add_i32 s1, s1, s0
	s_lshr_b32 s1, s1, s13
	s_mul_i32 s5, s1, s14
	s_cmp_eq_u32 s5, s0
	s_cselect_b32 s5, -1, 0
	s_cmp_lt_u32 s1, s11
	s_cselect_b32 s1, -1, 0
	s_or_b32 s1, s1, s5
	s_mov_b32 s5, -1
	s_and_b32 vcc_lo, exec_lo, s1
	s_mov_b32 s1, s17
	s_cbranch_vccnz .LBB45_16
; %bb.15:                               ;   in Loop: Header=BB45_9 Depth=1
	s_add_i32 s1, s17, -1
	s_mov_b32 s5, 0
	s_mov_b32 s20, s0
.LBB45_16:                              ;   in Loop: Header=BB45_9 Depth=1
	v_mad_u64_u32 v[7:8], null, 0x240, s17, v[3:4]
	s_load_dwordx2 s[6:7], s[6:7], 0x0
	v_ashrrev_i32_e32 v8, 31, v7
	v_lshlrev_b64 v[7:8], 2, v[7:8]
	v_add_co_u32 v7, vcc_lo, s8, v7
	v_add_co_ci_u32_e64 v8, null, s15, v8, vcc_lo
	s_waitcnt lgkmcnt(0)
	v_max_f32_e64 v9, s6, s6
	global_load_dword v8, v[7:8], off
	v_max_f32_e32 v7, v6, v6
	v_max_f32_e32 v7, v7, v9
	v_sub_f32_e32 v9, s6, v7
	v_sub_f32_e32 v10, v6, v7
	v_mul_f32_e32 v11, 0x3fb8aa3b, v9
	v_mul_f32_e32 v12, 0x3fb8aa3b, v10
	v_cmp_ngt_f32_e32 vcc_lo, 0xc2ce8ed0, v9
	v_fma_f32 v13, 0x3fb8aa3b, v9, -v11
	v_rndne_f32_e32 v14, v11
	v_fma_f32 v15, 0x3fb8aa3b, v10, -v12
	v_rndne_f32_e32 v16, v12
	v_fmac_f32_e32 v13, 0x32a5705f, v9
	v_sub_f32_e32 v11, v11, v14
	v_fmac_f32_e32 v15, 0x32a5705f, v10
	v_sub_f32_e32 v12, v12, v16
	v_add_f32_e32 v11, v11, v13
	v_cvt_i32_f32_e32 v13, v14
	v_add_f32_e32 v12, v12, v15
	v_cvt_i32_f32_e32 v14, v16
	v_exp_f32_e32 v11, v11
	v_exp_f32_e32 v12, v12
	v_ldexp_f32 v11, v11, v13
	v_ldexp_f32 v12, v12, v14
	v_cndmask_b32_e32 v11, 0, v11, vcc_lo
	v_cmp_ngt_f32_e32 vcc_lo, 0xc2ce8ed0, v10
	v_cndmask_b32_e32 v12, 0, v12, vcc_lo
	v_cmp_nlt_f32_e32 vcc_lo, 0x42b17218, v9
	v_cndmask_b32_e32 v11, 0x7f800000, v11, vcc_lo
	v_cmp_nlt_f32_e32 vcc_lo, 0x42b17218, v10
	v_cndmask_b32_e32 v12, 0x7f800000, v12, vcc_lo
	v_cmp_le_f32_e32 vcc_lo, 0xc1a00000, v9
	v_cndmask_b32_e32 v9, 0, v11, vcc_lo
	v_cmp_le_f32_e32 vcc_lo, 0xc1a00000, v10
	v_cndmask_b32_e32 v10, 0, v12, vcc_lo
	s_waitcnt vmcnt(0)
	v_mul_f32_e32 v8, v8, v9
	v_mul_f32_e32 v9, s7, v9
	v_fmac_f32_e32 v8, v5, v10
	v_fmac_f32_e32 v9, v4, v10
	s_cbranch_execz .LBB45_19
.LBB45_17:                              ;   in Loop: Header=BB45_9 Depth=1
	s_andn2_b32 vcc_lo, exec_lo, s5
	s_cbranch_vccnz .LBB45_20
	s_branch .LBB45_23
.LBB45_18:                              ;   in Loop: Header=BB45_9 Depth=1
	s_andn2_b32 vcc_lo, exec_lo, s6
	s_cbranch_vccnz .LBB45_17
.LBB45_19:                              ;   in Loop: Header=BB45_9 Depth=1
	v_mov_b32_e32 v9, v4
	v_mov_b32_e32 v7, v6
	s_waitcnt vmcnt(0)
	v_mov_b32_e32 v8, v5
	s_add_i32 s1, s17, -1
	s_mov_b32 s20, s10
	s_cbranch_execz .LBB45_23
.LBB45_20:                              ;   in Loop: Header=BB45_9 Depth=1
	v_mov_b32_e32 v4, v9
	v_mov_b32_e32 v6, v7
	s_waitcnt vmcnt(0)
	v_mov_b32_e32 v5, v8
	s_mov_b32 s10, s20
	s_mov_b32 s17, s1
	s_branch .LBB45_9
.LBB45_21:
                                        ; implicit-def: $sgpr10_sgpr11
	s_load_dwordx4 s[12:15], s[4:5], 0x44
	s_branch .LBB45_2
.LBB45_22:
                                        ; implicit-def: $sgpr18_sgpr19
	s_branch .LBB45_5
.LBB45_23:
	v_div_scale_f32 v0, null, v9, v9, v8
	v_rcp_f32_e32 v3, v0
	v_fma_f32 v4, -v0, v3, 1.0
	v_fmac_f32_e32 v3, v4, v3
	v_div_scale_f32 v4, vcc_lo, v8, v9, v8
	s_waitcnt vmcnt(0)
	v_mul_f32_e32 v5, v4, v3
	v_fma_f32 v6, -v0, v5, v4
	v_fmac_f32_e32 v5, v6, v3
	v_fma_f32 v0, -v0, v5, v4
	v_div_fmas_f32 v0, v0, v3, v5
	v_div_fixup_f32 v0, v0, v9, v8
	global_store_dword v[1:2], v0, off
.LBB45_24:
	s_endpgm
	.section	.rodata,"a",@progbits
	.p2align	6, 0x0
	.amdhsa_kernel _ZL33flash_attn_stream_k_fixup_generalILi72ELi4ELi2EEvPfPK15HIP_vector_typeIfLj2EEiiiiS1_IjLj3EES5_S5_S5_
		.amdhsa_group_segment_fixed_size 0
		.amdhsa_private_segment_fixed_size 0
		.amdhsa_kernarg_size 336
		.amdhsa_user_sgpr_count 6
		.amdhsa_user_sgpr_private_segment_buffer 1
		.amdhsa_user_sgpr_dispatch_ptr 0
		.amdhsa_user_sgpr_queue_ptr 0
		.amdhsa_user_sgpr_kernarg_segment_ptr 1
		.amdhsa_user_sgpr_dispatch_id 0
		.amdhsa_user_sgpr_flat_scratch_init 0
		.amdhsa_user_sgpr_private_segment_size 0
		.amdhsa_wavefront_size32 1
		.amdhsa_uses_dynamic_stack 0
		.amdhsa_system_sgpr_private_segment_wavefront_offset 0
		.amdhsa_system_sgpr_workgroup_id_x 1
		.amdhsa_system_sgpr_workgroup_id_y 1
		.amdhsa_system_sgpr_workgroup_id_z 1
		.amdhsa_system_sgpr_workgroup_info 0
		.amdhsa_system_vgpr_workitem_id 0
		.amdhsa_next_free_vgpr 17
		.amdhsa_next_free_sgpr 31
		.amdhsa_reserve_vcc 1
		.amdhsa_reserve_flat_scratch 0
		.amdhsa_float_round_mode_32 0
		.amdhsa_float_round_mode_16_64 0
		.amdhsa_float_denorm_mode_32 3
		.amdhsa_float_denorm_mode_16_64 3
		.amdhsa_dx10_clamp 1
		.amdhsa_ieee_mode 1
		.amdhsa_fp16_overflow 0
		.amdhsa_workgroup_processor_mode 1
		.amdhsa_memory_ordered 1
		.amdhsa_forward_progress 1
		.amdhsa_shared_vgpr_count 0
		.amdhsa_exception_fp_ieee_invalid_op 0
		.amdhsa_exception_fp_denorm_src 0
		.amdhsa_exception_fp_ieee_div_zero 0
		.amdhsa_exception_fp_ieee_overflow 0
		.amdhsa_exception_fp_ieee_underflow 0
		.amdhsa_exception_fp_ieee_inexact 0
		.amdhsa_exception_int_div_zero 0
	.end_amdhsa_kernel
	.section	.text._ZL33flash_attn_stream_k_fixup_generalILi72ELi4ELi2EEvPfPK15HIP_vector_typeIfLj2EEiiiiS1_IjLj3EES5_S5_S5_,"axG",@progbits,_ZL33flash_attn_stream_k_fixup_generalILi72ELi4ELi2EEvPfPK15HIP_vector_typeIfLj2EEiiiiS1_IjLj3EES5_S5_S5_,comdat
.Lfunc_end45:
	.size	_ZL33flash_attn_stream_k_fixup_generalILi72ELi4ELi2EEvPfPK15HIP_vector_typeIfLj2EEiiiiS1_IjLj3EES5_S5_S5_, .Lfunc_end45-_ZL33flash_attn_stream_k_fixup_generalILi72ELi4ELi2EEvPfPK15HIP_vector_typeIfLj2EEiiiiS1_IjLj3EES5_S5_S5_
                                        ; -- End function
	.set _ZL33flash_attn_stream_k_fixup_generalILi72ELi4ELi2EEvPfPK15HIP_vector_typeIfLj2EEiiiiS1_IjLj3EES5_S5_S5_.num_vgpr, 17
	.set _ZL33flash_attn_stream_k_fixup_generalILi72ELi4ELi2EEvPfPK15HIP_vector_typeIfLj2EEiiiiS1_IjLj3EES5_S5_S5_.num_agpr, 0
	.set _ZL33flash_attn_stream_k_fixup_generalILi72ELi4ELi2EEvPfPK15HIP_vector_typeIfLj2EEiiiiS1_IjLj3EES5_S5_S5_.numbered_sgpr, 31
	.set _ZL33flash_attn_stream_k_fixup_generalILi72ELi4ELi2EEvPfPK15HIP_vector_typeIfLj2EEiiiiS1_IjLj3EES5_S5_S5_.num_named_barrier, 0
	.set _ZL33flash_attn_stream_k_fixup_generalILi72ELi4ELi2EEvPfPK15HIP_vector_typeIfLj2EEiiiiS1_IjLj3EES5_S5_S5_.private_seg_size, 0
	.set _ZL33flash_attn_stream_k_fixup_generalILi72ELi4ELi2EEvPfPK15HIP_vector_typeIfLj2EEiiiiS1_IjLj3EES5_S5_S5_.uses_vcc, 1
	.set _ZL33flash_attn_stream_k_fixup_generalILi72ELi4ELi2EEvPfPK15HIP_vector_typeIfLj2EEiiiiS1_IjLj3EES5_S5_S5_.uses_flat_scratch, 0
	.set _ZL33flash_attn_stream_k_fixup_generalILi72ELi4ELi2EEvPfPK15HIP_vector_typeIfLj2EEiiiiS1_IjLj3EES5_S5_S5_.has_dyn_sized_stack, 0
	.set _ZL33flash_attn_stream_k_fixup_generalILi72ELi4ELi2EEvPfPK15HIP_vector_typeIfLj2EEiiiiS1_IjLj3EES5_S5_S5_.has_recursion, 0
	.set _ZL33flash_attn_stream_k_fixup_generalILi72ELi4ELi2EEvPfPK15HIP_vector_typeIfLj2EEiiiiS1_IjLj3EES5_S5_S5_.has_indirect_call, 0
	.section	.AMDGPU.csdata,"",@progbits
; Kernel info:
; codeLenInByte = 2948
; TotalNumSgprs: 33
; NumVgprs: 17
; ScratchSize: 0
; MemoryBound: 0
; FloatMode: 240
; IeeeMode: 1
; LDSByteSize: 0 bytes/workgroup (compile time only)
; SGPRBlocks: 0
; VGPRBlocks: 2
; NumSGPRsForWavesPerEU: 33
; NumVGPRsForWavesPerEU: 17
; Occupancy: 16
; WaveLimiterHint : 0
; COMPUTE_PGM_RSRC2:SCRATCH_EN: 0
; COMPUTE_PGM_RSRC2:USER_SGPR: 6
; COMPUTE_PGM_RSRC2:TRAP_HANDLER: 0
; COMPUTE_PGM_RSRC2:TGID_X_EN: 1
; COMPUTE_PGM_RSRC2:TGID_Y_EN: 1
; COMPUTE_PGM_RSRC2:TGID_Z_EN: 1
; COMPUTE_PGM_RSRC2:TIDIG_COMP_CNT: 0
	.section	.text._ZL15flash_attn_tileILi72ELi72ELi2ELi2ELb0EEvPKcS1_S1_S1_S1_PKiPfP15HIP_vector_typeIfLj2EEffffjfiS5_IjLj3EEiiiiiiiiiiiliiliiiiil,"axG",@progbits,_ZL15flash_attn_tileILi72ELi72ELi2ELi2ELb0EEvPKcS1_S1_S1_S1_PKiPfP15HIP_vector_typeIfLj2EEffffjfiS5_IjLj3EEiiiiiiiiiiiliiliiiiil,comdat
	.globl	_ZL15flash_attn_tileILi72ELi72ELi2ELi2ELb0EEvPKcS1_S1_S1_S1_PKiPfP15HIP_vector_typeIfLj2EEffffjfiS5_IjLj3EEiiiiiiiiiiiliiliiiiil ; -- Begin function _ZL15flash_attn_tileILi72ELi72ELi2ELi2ELb0EEvPKcS1_S1_S1_S1_PKiPfP15HIP_vector_typeIfLj2EEffffjfiS5_IjLj3EEiiiiiiiiiiiliiliiiiil
	.p2align	8
	.type	_ZL15flash_attn_tileILi72ELi72ELi2ELi2ELb0EEvPKcS1_S1_S1_S1_PKiPfP15HIP_vector_typeIfLj2EEffffjfiS5_IjLj3EEiiiiiiiiiiiliiliiiiil,@function
_ZL15flash_attn_tileILi72ELi72ELi2ELi2ELb0EEvPKcS1_S1_S1_S1_PKiPfP15HIP_vector_typeIfLj2EEffffjfiS5_IjLj3EEiiiiiiiiiiiliiliiiiil: ; @_ZL15flash_attn_tileILi72ELi72ELi2ELi2ELb0EEvPKcS1_S1_S1_S1_PKiPfP15HIP_vector_typeIfLj2EEffffjfiS5_IjLj3EEiiiiiiiiiiiliiliiiiil
; %bb.0:
	s_clause 0x1
	s_load_dwordx4 s[24:27], s[4:5], 0x5c
	s_load_dwordx2 s[34:35], s[4:5], 0x80
	s_mov_b32 s2, s7
	s_mov_b64 s[36:37], 0
	s_waitcnt lgkmcnt(0)
	s_lshr_b32 s0, s27, 31
	s_add_i32 s0, s27, s0
	s_ashr_i32 s0, s0, 1
	v_cvt_f32_u32_e32 v2, s0
	s_sub_i32 s3, 0, s0
	v_rcp_iflag_f32_e32 v2, v2
	v_mul_f32_e32 v2, 0x4f7ffffe, v2
	v_cvt_u32_f32_e32 v2, v2
	v_readfirstlane_b32 s1, v2
	s_mul_i32 s3, s3, s1
	s_mul_hi_u32 s3, s1, s3
	s_add_i32 s1, s1, s3
	s_mul_hi_u32 s1, s8, s1
	s_mul_i32 s3, s1, s0
	s_add_i32 s7, s1, 1
	s_sub_i32 s3, s8, s3
	s_sub_i32 s9, s3, s0
	s_cmp_ge_u32 s3, s0
	s_cselect_b32 s1, s7, s1
	s_cselect_b32 s3, s9, s3
	s_add_i32 s7, s1, 1
	s_cmp_ge_u32 s3, s0
	s_cselect_b32 s3, s7, s1
	s_abs_i32 s0, s35
	s_abs_i32 s9, s27
	v_cvt_f32_u32_e32 v2, s0
	s_sub_i32 s7, 0, s0
	s_mul_i32 s28, s3, s27
	v_rcp_iflag_f32_e32 v2, v2
	v_mul_f32_e32 v2, 0x4f7ffffe, v2
	v_cvt_u32_f32_e32 v2, v2
	v_readfirstlane_b32 s1, v2
	s_mul_i32 s7, s7, s1
	s_mul_hi_u32 s7, s1, s7
	s_add_i32 s1, s1, s7
	s_lshl_b32 s7, s8, 1
	s_mul_hi_u32 s1, s9, s1
	s_xor_b32 s8, s27, s35
	s_mul_i32 s10, s1, s0
	s_ashr_i32 s8, s8, 31
	s_sub_i32 s9, s9, s10
	s_add_i32 s10, s1, 1
	s_sub_i32 s11, s9, s0
	s_cmp_ge_u32 s9, s0
	s_cselect_b32 s1, s10, s1
	s_cselect_b32 s9, s11, s9
	s_add_i32 s10, s1, 1
	s_cmp_ge_u32 s9, s0
	s_cselect_b32 s0, s10, s1
	s_xor_b32 s0, s0, s8
	s_sub_i32 s35, s0, s8
	s_clause 0x1
	s_load_dwordx16 s[8:23], s[4:5], 0x0
	s_load_dwordx2 s[0:1], s[4:5], 0xb8
	s_abs_i32 s33, s35
	v_cvt_f32_u32_e32 v2, s33
	v_rcp_iflag_f32_e32 v2, v2
	v_mul_f32_e32 v2, 0x4f7ffffe, v2
	s_waitcnt lgkmcnt(0)
	s_cmp_eq_u64 s[14:15], 0
	v_cvt_u32_f32_e32 v2, v2
	v_readfirstlane_b32 s38, v2
	s_cbranch_scc1 .LBB46_2
; %bb.1:
	s_abs_i32 s0, s0
	s_abs_i32 s36, s3
	v_cvt_f32_u32_e32 v2, s0
	s_sub_i32 s30, 0, s0
	v_rcp_iflag_f32_e32 v2, v2
	v_mul_f32_e32 v2, 0x4f7ffffe, v2
	v_cvt_u32_f32_e32 v2, v2
	v_readfirstlane_b32 s29, v2
	s_mul_i32 s30, s30, s29
	s_mul_hi_u32 s30, s29, s30
	s_add_i32 s29, s29, s30
	s_load_dwordx2 s[30:31], s[4:5], 0xc8
	s_mul_hi_u32 s29, s36, s29
	s_mul_i32 s29, s29, s0
	s_sub_i32 s29, s36, s29
	s_ashr_i32 s36, s3, 31
	s_sub_i32 s37, s29, s0
	s_cmp_ge_u32 s29, s0
	s_cselect_b32 s29, s37, s29
	s_sub_i32 s37, s29, s0
	s_cmp_ge_u32 s29, s0
	s_cselect_b32 s0, s37, s29
	s_xor_b32 s0, s0, s36
	s_sub_i32 s0, s0, s36
	s_ashr_i32 s29, s0, 31
	s_waitcnt lgkmcnt(0)
	s_mul_hi_u32 s36, s30, s0
	s_mul_i32 s29, s30, s29
	s_mul_i32 s31, s31, s0
	s_add_i32 s29, s36, s29
	s_mul_i32 s0, s30, s0
	s_add_i32 s29, s29, s31
	s_add_u32 s36, s14, s0
	s_addc_u32 s37, s15, s29
.LBB46_2:
	s_movk_i32 s14, 0x90
	v_cmp_gt_u32_e64 s0, 18, v0
	v_mad_u32_u24 v15, v1, s14, 0x14e0
	v_lshlrev_b32_e32 v18, 3, v0
	v_and_b32_e32 v16, 1, v1
	v_lshrrev_b32_e32 v17, 1, v1
	s_sub_i32 s14, s7, s28
	s_lshl_b32 s15, s6, 1
	s_and_saveexec_b32 s7, s0
	s_cbranch_execz .LBB46_4
; %bb.3:
	v_add_nc_u32_e32 v2, s15, v17
	s_load_dwordx4 s[28:31], s[4:5], 0x70
	v_lshlrev_b32_e32 v6, 4, v0
	v_mul_hi_u32 v3, s24, v2
	v_add_nc_u32_e32 v3, v2, v3
	v_lshrrev_b32_e32 v3, s25, v3
	s_waitcnt lgkmcnt(0)
	s_mul_i32 s31, s3, s30
	s_mul_i32 s39, s14, s29
	v_mul_lo_u32 v3, v3, s26
	s_ashr_i32 s40, s31, 31
	s_add_u32 s8, s8, s31
	s_addc_u32 s9, s9, s40
	s_ashr_i32 s31, s39, 31
	s_add_u32 s39, s8, s39
	s_mov_b32 s30, s29
	s_addc_u32 s40, s9, s31
	v_sub_nc_u32_e32 v4, v2, v3
	s_ashr_i32 s31, s29, 31
	s_ashr_i32 s29, s28, 31
	s_lshr_b64 s[8:9], s[28:29], 2
	s_lshr_b32 s28, s29, 2
	v_mad_u64_u32 v[2:3], null, s8, v4, 0
	s_lshr_b64 s[8:9], s[30:31], 2
	s_lshr_b32 s9, s31, 2
	v_mul_lo_u32 v5, s9, v16
	v_mad_u64_u32 v[3:4], null, s28, v4, v[3:4]
	v_mul_lo_u32 v4, s8, v16
	s_load_dword s8, s[4:5], 0x40
	v_lshlrev_b64 v[2:3], 2, v[2:3]
	v_lshlrev_b64 v[4:5], 2, v[4:5]
	v_add_co_u32 v4, vcc_lo, s39, v4
	v_add_co_ci_u32_e64 v5, null, s40, v5, vcc_lo
	v_add_co_u32 v2, vcc_lo, v4, v2
	v_add_co_ci_u32_e64 v3, null, v5, v3, vcc_lo
	v_add_co_u32 v2, vcc_lo, v2, v6
	v_add_co_ci_u32_e64 v3, null, 0, v3, vcc_lo
	v_add_nc_u32_e32 v6, v15, v18
	global_load_dwordx4 v[2:5], v[2:3], off
	s_waitcnt vmcnt(0) lgkmcnt(0)
	v_fma_mixlo_f16 v3, s8, v3, 0
	v_fma_mixlo_f16 v2, s8, v2, 0
	v_fma_mixlo_f16 v4, s8, v4, 0
	v_fma_mixlo_f16 v5, s8, v5, 0
	v_lshlrev_b32_e32 v3, 16, v3
	v_and_b32_e32 v2, 0xffff, v2
	v_and_b32_e32 v4, 0xffff, v4
	v_lshlrev_b32_e32 v5, 16, v5
	v_or_b32_e32 v2, v3, v2
	v_or3_b32 v3, v5, v4, 0
	v_or3_b32 v2, 0, 0, v2
	ds_write_b64 v6, v[2:3]
.LBB46_4:
	s_or_b32 exec_lo, exec_lo, s7
	s_cmp_eq_u64 s[18:19], 0
	s_waitcnt lgkmcnt(0)
	s_barrier
	buffer_gl0_inv
	s_cbranch_scc1 .LBB46_6
; %bb.5:
	s_load_dword s7, s[4:5], 0xd0
	s_waitcnt lgkmcnt(0)
	s_mul_i32 s7, s7, s3
	s_add_i32 s6, s7, s6
	s_mov_b32 s7, 0
	s_lshl_b64 s[6:7], s[6:7], 2
	s_add_u32 s6, s18, s6
	s_addc_u32 s7, s19, s7
	s_load_dword s34, s[6:7], 0x0
.LBB46_6:
	v_mbcnt_lo_u32_b32 v19, -1, 0
	s_lshl_b32 s8, s2, 5
	s_waitcnt lgkmcnt(0)
	s_cmp_lt_i32 s8, s34
	s_cbranch_scc1 .LBB46_9
; %bb.7:
	v_mbcnt_lo_u32_b32 v2, -1, 0
	v_mov_b32_e32 v20, 32
	v_xor_b32_e32 v25, 16, v2
	v_xor_b32_e32 v24, 8, v2
	;; [unrolled: 1-line block ×5, first 2 shown]
	s_cbranch_execz .LBB46_10
; %bb.8:
	v_mov_b32_e32 v36, 0
	v_mov_b32_e32 v39, 0
	;; [unrolled: 1-line block ×4, first 2 shown]
	s_branch .LBB46_18
.LBB46_9:
                                        ; implicit-def: $vgpr2
                                        ; implicit-def: $vgpr20
                                        ; implicit-def: $vgpr25
                                        ; implicit-def: $vgpr24
                                        ; implicit-def: $vgpr23
                                        ; implicit-def: $vgpr22
                                        ; implicit-def: $vgpr21
.LBB46_10:
	s_clause 0x1
	s_load_dwordx4 s[28:31], s[4:5], 0x98
	s_load_dwordx2 s[6:7], s[4:5], 0x8c
	v_add_nc_u32_e32 v10, s15, v17
	s_sub_i32 s9, 0, s33
	v_lshrrev_b32_e32 v2, 3, v0
	s_mul_i32 s9, s9, s38
	s_ashr_i32 s42, s3, 31
	v_mul_hi_u32 v5, s24, v10
	s_mul_hi_u32 s9, s38, s9
	s_abs_i32 s19, s14
	s_add_i32 s38, s38, s9
	v_lshl_add_u32 v14, v1, 2, v2
	s_mul_hi_u32 s38, s19, s38
	s_ashr_i32 s39, s14, 31
	s_ashr_i32 s35, s35, 31
	v_add_nc_u32_e32 v2, v10, v5
	s_load_dwordx2 s[40:41], s[4:5], 0xa8
	s_ashr_i32 s1, s1, 1
	s_mul_i32 s43, s38, s33
	v_lshlrev_b32_e32 v3, 2, v0
	s_waitcnt lgkmcnt(0)
	s_ashr_i32 s9, s30, 2
	s_ashr_i32 s18, s6, 2
	s_mul_hi_u32 s6, s28, s3
	s_mul_i32 s30, s28, s42
	s_mul_i32 s29, s29, s3
	s_add_i32 s6, s6, s30
	s_mul_i32 s28, s28, s3
	s_add_i32 s6, s6, s29
	s_add_u32 s10, s10, s28
	s_addc_u32 s6, s11, s6
	s_sub_i32 s19, s19, s43
	v_lshrrev_b32_e32 v2, s25, v2
	s_xor_b32 s11, s39, s35
	s_add_i32 s28, s38, 1
	s_sub_i32 s29, s19, s33
	s_cmp_ge_u32 s19, s33
	v_mul_lo_u32 v2, v2, s26
	s_cselect_b32 s28, s28, s38
	s_cselect_b32 s19, s29, s19
	s_add_i32 s29, s28, 1
	s_cmp_ge_u32 s19, s33
	v_and_b32_e32 v20, 28, v3
	v_lshl_add_u32 v3, v1, 5, v0
	v_mul_lo_u32 v4, s18, v14
	v_add_nc_u32_e32 v22, 16, v14
	s_cselect_b32 s19, s29, s28
	v_sub_nc_u32_e32 v2, v10, v2
	s_xor_b32 s19, s19, s11
	v_mul_lo_u32 v8, s18, v3
	s_sub_i32 s19, s19, s11
	v_mul_lo_u32 v10, s9, v3
	v_mul_lo_u32 v12, s9, v22
	;; [unrolled: 1-line block ×3, first 2 shown]
	s_mul_i32 s7, s19, s7
	v_lshl_add_u32 v6, s18, 4, v4
	s_mul_hi_u32 s28, s40, s3
	s_mul_i32 s29, s40, s42
	s_ashr_i32 s11, s7, 31
	s_add_u32 s10, s10, s7
	s_mul_i32 s30, s41, s3
	s_addc_u32 s11, s6, s11
	s_add_i32 s6, s28, s29
	s_mul_i32 s7, s40, s3
	s_add_i32 s6, s6, s30
	s_mul_i32 s19, s19, s31
	v_ashrrev_i32_e32 v5, 31, v4
	v_ashrrev_i32_e32 v7, 31, v6
	;; [unrolled: 1-line block ×6, first 2 shown]
	s_add_u32 s7, s12, s7
	v_lshlrev_b32_e32 v21, 2, v20
	v_lshl_add_u32 v30, v1, 6, 0x1720
	s_addc_u32 s6, s13, s6
	s_ashr_i32 s13, s19, 31
	s_add_u32 s12, s7, s19
	s_movk_i32 s7, 0x80
	v_mad_u64_u32 v[1:2], null, v2, s1, v[0:1]
	s_movk_i32 s1, 0x90
	v_cmp_gt_u32_e32 vcc_lo, 32, v3
	v_mad_u32_u24 v29, 0xa0, v3, s7
	v_mad_u32_u24 v32, v3, s1, 0x80
	v_lshlrev_b64 v[2:3], 2, v[8:9]
	v_lshlrev_b64 v[4:5], 2, v[4:5]
	;; [unrolled: 1-line block ×6, first 2 shown]
	v_mov_b32_e32 v26, 0
	v_mad_u32_u24 v27, 0xa0, v14, v21
	v_mul_u32_u24_e32 v28, 0xa0, v0
	v_lshl_add_u32 v31, v0, 1, v30
	v_mad_u32_u24 v33, 0x90, v22, v21
	v_mad_u32_u24 v34, 0x90, v14, v21
	v_mov_b32_e32 v40, 0xfeffffff
	v_lshlrev_b32_e32 v35, 2, v20
	v_mov_b32_e32 v20, 32
	v_xor_b32_e32 v25, 16, v19
	v_xor_b32_e32 v24, 8, v19
	v_xor_b32_e32 v23, 4, v19
	v_xor_b32_e32 v22, 2, v19
	v_xor_b32_e32 v21, 1, v19
	v_mov_b32_e32 v37, 0x10001
	v_mov_b32_e32 v36, 0
	;; [unrolled: 1-line block ×3, first 2 shown]
	s_addc_u32 s13, s6, s13
	s_add_u32 s6, s4, 0xd0
	s_addc_u32 s7, s5, 0
.LBB46_11:                              ; =>This Inner Loop Header: Depth=1
	s_mul_hi_i32 s25, s8, s18
	s_mul_i32 s24, s8, s18
	s_lshl_b64 s[24:25], s[24:25], 2
	s_add_u32 s19, s10, s24
	s_addc_u32 s24, s11, s25
	s_and_saveexec_b32 s25, vcc_lo
	s_cbranch_execz .LBB46_13
; %bb.12:                               ;   in Loop: Header=BB46_11 Depth=1
	v_add_co_u32 v41, s1, s19, v2
	v_add_co_ci_u32_e64 v42, null, s24, v3, s1
	global_load_dwordx4 v[41:44], v[41:42], off offset:128
	s_waitcnt vmcnt(0)
	ds_write_b128 v29, v[41:44]
.LBB46_13:                              ;   in Loop: Header=BB46_11 Depth=1
	s_or_b32 exec_lo, exec_lo, s25
	v_add_co_u32 v14, s1, s19, v4
	v_add_co_ci_u32_e64 v39, null, s24, v5, s1
	v_add_co_u32 v43, s1, s19, v6
	v_add_co_ci_u32_e64 v44, null, s24, v7, s1
	;; [unrolled: 2-line block ×4, first 2 shown]
	s_clause 0x1
	global_load_dwordx4 v[41:44], v[41:42], off
	global_load_dwordx4 v[45:48], v[45:46], off
	v_add_nc_u32_e32 v14, 0xa00, v27
	v_add_nc_u32_e32 v49, s8, v1
	s_mul_hi_i32 s25, s8, s9
	s_mul_i32 s24, s8, s9
	s_waitcnt vmcnt(1)
	ds_write_b128 v27, v[41:44]
	s_waitcnt vmcnt(0)
	ds_write_b128 v14, v[45:48]
	s_waitcnt lgkmcnt(0)
	s_barrier
	buffer_gl0_inv
	ds_read_b128 v[41:44], v28
	ds_read_b128 v[45:48], v15
	v_mov_b32_e32 v14, 0
	v_ashrrev_i32_e32 v50, 31, v49
	s_lshl_b64 s[24:25], s[24:25], 2
	s_waitcnt lgkmcnt(0)
	;;#ASMSTART
	v_dot2_f32_f16 v14, v41, v45, v14
	;;#ASMEND
	;;#ASMSTART
	v_dot2_f32_f16 v14, v42, v46, v14
	;;#ASMEND
	;; [unrolled: 3-line block ×4, first 2 shown]
	ds_read_b128 v[41:44], v28 offset:16
	ds_read_b128 v[45:48], v15 offset:16
	v_lshlrev_b64 v[49:50], 1, v[49:50]
	s_add_u32 s19, s12, s24
	s_addc_u32 s24, s13, s25
	s_waitcnt lgkmcnt(0)
	;;#ASMSTART
	v_dot2_f32_f16 v14, v41, v45, v14
	;;#ASMEND
	;;#ASMSTART
	v_dot2_f32_f16 v14, v42, v46, v14
	;;#ASMEND
	;; [unrolled: 3-line block ×4, first 2 shown]
	ds_read_b128 v[41:44], v28 offset:32
	ds_read_b128 v[45:48], v15 offset:32
	v_add_co_u32 v49, s1, s36, v49
	v_add_co_ci_u32_e64 v50, null, s37, v50, s1
	v_cmp_gt_i32_e64 s1, 32, v25
	s_waitcnt lgkmcnt(0)
	;;#ASMSTART
	v_dot2_f32_f16 v14, v41, v45, v14
	;;#ASMEND
	;;#ASMSTART
	v_dot2_f32_f16 v14, v42, v46, v14
	;;#ASMEND
	;;#ASMSTART
	v_dot2_f32_f16 v14, v43, v47, v14
	;;#ASMEND
	;;#ASMSTART
	v_dot2_f32_f16 v14, v44, v48, v14
	;;#ASMEND
	ds_read_b128 v[41:44], v28 offset:48
	ds_read_b128 v[45:48], v15 offset:48
	s_waitcnt lgkmcnt(0)
	;;#ASMSTART
	v_dot2_f32_f16 v14, v41, v45, v14
	;;#ASMEND
	;;#ASMSTART
	v_dot2_f32_f16 v14, v42, v46, v14
	;;#ASMEND
	;;#ASMSTART
	v_dot2_f32_f16 v14, v43, v47, v14
	;;#ASMEND
	;;#ASMSTART
	v_dot2_f32_f16 v14, v44, v48, v14
	;;#ASMEND
	ds_read_b128 v[41:44], v28 offset:64
	ds_read_b128 v[45:48], v15 offset:64
	;; [unrolled: 15-line block ×6, first 2 shown]
	s_waitcnt lgkmcnt(0)
	;;#ASMSTART
	v_dot2_f32_f16 v14, v41, v45, v14
	;;#ASMEND
	;;#ASMSTART
	v_dot2_f32_f16 v14, v42, v46, v14
	;;#ASMEND
	;; [unrolled: 3-line block ×4, first 2 shown]
	global_load_ushort v39, v[49:50], off
	v_max_f32_e32 v41, v40, v40
	s_waitcnt vmcnt(0)
	s_barrier
	buffer_gl0_inv
	v_cvt_f32_f16_e32 v39, v39
	v_add_f32_e32 v39, v14, v39
	v_cndmask_b32_e64 v14, v19, v25, s1
	v_cmp_gt_i32_e64 s1, 32, v24
	v_add_f32_e32 v42, 0x40051340, v39
	v_lshlrev_b32_e32 v14, 2, v14
	v_max_f32_e32 v41, v41, v42
	v_cndmask_b32_e64 v42, v19, v24, s1
	v_cmp_gt_i32_e64 s1, 32, v23
	ds_bpermute_b32 v14, v14, v41
	v_lshlrev_b32_e32 v42, 2, v42
	s_waitcnt lgkmcnt(0)
	v_max_f32_e32 v14, v14, v14
	v_max_f32_e32 v14, v41, v14
	ds_bpermute_b32 v41, v42, v14
	v_cndmask_b32_e64 v42, v19, v23, s1
	v_cmp_gt_i32_e64 s1, 32, v22
	v_lshlrev_b32_e32 v42, 2, v42
	s_waitcnt lgkmcnt(0)
	v_max_f32_e32 v41, v41, v41
	v_max_f32_e32 v14, v14, v41
	ds_bpermute_b32 v41, v42, v14
	v_cndmask_b32_e64 v42, v19, v22, s1
	v_cmp_gt_i32_e64 s1, 32, v21
	v_lshlrev_b32_e32 v42, 2, v42
	s_waitcnt lgkmcnt(0)
	v_max_f32_e32 v41, v41, v41
	v_max_f32_e32 v14, v14, v41
	ds_bpermute_b32 v41, v42, v14
	v_cndmask_b32_e64 v42, v19, v21, s1
	v_lshlrev_b32_e32 v42, 2, v42
	s_waitcnt lgkmcnt(0)
	v_max_f32_e32 v41, v41, v41
	v_max_f32_e32 v14, v14, v41
	ds_bpermute_b32 v41, v42, v14
	s_waitcnt lgkmcnt(0)
	v_max_f32_e32 v41, v41, v41
	v_max_f32_e32 v14, v14, v41
	v_sub_f32_e32 v39, v39, v14
	v_mul_f32_e32 v41, 0x3fb8aa3b, v39
	v_cmp_ngt_f32_e64 s1, 0xc2ce8ed0, v39
	v_fma_f32 v42, 0x3fb8aa3b, v39, -v41
	v_rndne_f32_e32 v43, v41
	v_fmac_f32_e32 v42, 0x32a5705f, v39
	v_sub_f32_e32 v41, v41, v43
	v_add_f32_e32 v41, v41, v42
	v_cvt_i32_f32_e32 v42, v43
	v_exp_f32_e32 v41, v41
	v_ldexp_f32 v41, v41, v42
	v_cndmask_b32_e64 v41, 0, v41, s1
	v_cmp_nlt_f32_e64 s1, 0x42b17218, v39
	v_cndmask_b32_e64 v39, 0x7f800000, v41, s1
	v_cvt_f16_f32_e32 v41, v39
	ds_write_b16 v31, v41
	s_and_saveexec_b32 s25, vcc_lo
	s_cbranch_execz .LBB46_15
; %bb.14:                               ;   in Loop: Header=BB46_11 Depth=1
	v_add_co_u32 v41, s1, s19, v8
	v_add_co_ci_u32_e64 v42, null, s24, v9, s1
	global_load_dwordx4 v[41:44], v[41:42], off offset:128
	s_waitcnt vmcnt(0)
	ds_write_b128 v32, v[41:44]
.LBB46_15:                              ;   in Loop: Header=BB46_11 Depth=1
	s_or_b32 exec_lo, exec_lo, s25
	v_add_co_u32 v41, s1, s19, v12
	v_add_co_ci_u32_e64 v42, null, s24, v13, s1
	v_add_co_u32 v43, s1, s19, v10
	v_add_co_ci_u32_e64 v44, null, s24, v11, s1
	;; [unrolled: 2-line block ×4, first 2 shown]
	s_clause 0x1
	global_load_dwordx4 v[41:44], v[41:42], off
	global_load_dwordx4 v[45:48], v[45:46], off
	v_sub_f32_e32 v49, v40, v14
	s_waitcnt vmcnt(1)
	ds_write_b128 v34, v[41:44]
	s_waitcnt vmcnt(0)
	ds_write_b128 v33, v[45:48]
	v_mul_f32_e32 v40, 0x3fb8aa3b, v49
	s_waitcnt lgkmcnt(0)
	s_barrier
	buffer_gl0_inv
	ds_read2_b64 v[44:47], v18 offset1:18
	v_fma_f32 v50, 0x3fb8aa3b, v49, -v40
	v_rndne_f32_e32 v51, v40
	v_cmp_ngt_f32_e64 s1, 0xc2ce8ed0, v49
	v_fmac_f32_e32 v50, 0x32a5705f, v49
	v_sub_f32_e32 v40, v40, v51
	v_cvt_i32_f32_e32 v51, v51
	v_add_f32_e32 v40, v40, v50
	v_exp_f32_e32 v50, v40
	ds_read_b128 v[40:43], v30
	v_ldexp_f32 v48, v50, v51
	v_cndmask_b32_e64 v48, 0, v48, s1
	v_cmp_nlt_f32_e64 s1, 0x42b17218, v49
	v_cndmask_b32_e64 v60, 0x7f800000, v48, s1
	ds_read_b128 v[48:51], v30 offset:16
	ds_read2_b64 v[52:55], v18 offset0:36 offset1:54
	s_waitcnt lgkmcnt(2)
	v_mul_u32_u24_sdwa v57, v40, v37 dst_sel:DWORD dst_unused:UNUSED_PAD src0_sel:WORD_0 src1_sel:DWORD
	v_mul_u32_u24_sdwa v40, v40, v37 dst_sel:DWORD dst_unused:UNUSED_PAD src0_sel:WORD_1 src1_sel:DWORD
	v_cvt_f16_f32_e32 v56, v60
	v_fmac_f32_e32 v39, v38, v60
	v_pk_mul_f16 v44, v44, v57
	v_pk_mul_f16 v45, v45, v57
	v_mul_u32_u24_sdwa v61, v56, v37 dst_sel:DWORD dst_unused:UNUSED_PAD src0_sel:WORD_0 src1_sel:DWORD
	ds_read2_b64 v[56:59], v18 offset0:72 offset1:90
	v_pk_fma_f16 v26, v26, v61, v44
	v_pk_fma_f16 v36, v36, v61, v45
	v_mul_u32_u24_sdwa v61, v41, v37 dst_sel:DWORD dst_unused:UNUSED_PAD src0_sel:WORD_0 src1_sel:DWORD
	v_pk_fma_f16 v26, v46, v40, v26
	v_pk_fma_f16 v36, v47, v40, v36
	ds_read2_b64 v[44:47], v18 offset0:108 offset1:126
	v_mul_u32_u24_sdwa v40, v41, v37 dst_sel:DWORD dst_unused:UNUSED_PAD src0_sel:WORD_1 src1_sel:DWORD
	v_mul_u32_u24_sdwa v41, v42, v37 dst_sel:DWORD dst_unused:UNUSED_PAD src0_sel:WORD_0 src1_sel:DWORD
	s_waitcnt lgkmcnt(2)
	v_pk_fma_f16 v26, v52, v61, v26
	v_pk_fma_f16 v36, v53, v61, v36
	v_add_nc_u32_e32 v61, 0x800, v18
	v_mul_u32_u24_sdwa v62, v51, v37 dst_sel:DWORD dst_unused:UNUSED_PAD src0_sel:WORD_1 src1_sel:DWORD
	v_pk_fma_f16 v26, v54, v40, v26
	v_pk_fma_f16 v36, v55, v40, v36
	ds_read2_b64 v[52:55], v18 offset0:144 offset1:162
	v_mul_u32_u24_sdwa v40, v42, v37 dst_sel:DWORD dst_unused:UNUSED_PAD src0_sel:WORD_1 src1_sel:DWORD
	s_waitcnt lgkmcnt(2)
	v_pk_fma_f16 v26, v56, v41, v26
	v_pk_fma_f16 v36, v57, v41, v36
	v_mul_u32_u24_sdwa v41, v43, v37 dst_sel:DWORD dst_unused:UNUSED_PAD src0_sel:WORD_0 src1_sel:DWORD
	v_pk_fma_f16 v26, v58, v40, v26
	v_pk_fma_f16 v36, v59, v40, v36
	ds_read2_b64 v[56:59], v18 offset0:180 offset1:198
	v_mul_u32_u24_sdwa v40, v43, v37 dst_sel:DWORD dst_unused:UNUSED_PAD src0_sel:WORD_1 src1_sel:DWORD
	s_waitcnt lgkmcnt(2)
	v_pk_fma_f16 v26, v44, v41, v26
	v_pk_fma_f16 v36, v45, v41, v36
	v_mul_u32_u24_sdwa v44, v48, v37 dst_sel:DWORD dst_unused:UNUSED_PAD src0_sel:WORD_0 src1_sel:DWORD
	v_mul_u32_u24_sdwa v45, v48, v37 dst_sel:DWORD dst_unused:UNUSED_PAD src0_sel:WORD_1 src1_sel:DWORD
	v_mul_u32_u24_sdwa v48, v49, v37 dst_sel:DWORD dst_unused:UNUSED_PAD src0_sel:WORD_0 src1_sel:DWORD
	v_pk_fma_f16 v26, v46, v40, v26
	v_pk_fma_f16 v36, v47, v40, v36
	ds_read2_b64 v[40:43], v18 offset0:216 offset1:234
	v_mul_u32_u24_sdwa v49, v49, v37 dst_sel:DWORD dst_unused:UNUSED_PAD src0_sel:WORD_1 src1_sel:DWORD
	s_waitcnt lgkmcnt(2)
	v_pk_fma_f16 v26, v52, v44, v26
	v_pk_fma_f16 v36, v53, v44, v36
	v_add_nc_u32_e32 v44, 0x400, v18
	v_pk_fma_f16 v26, v54, v45, v26
	v_pk_fma_f16 v36, v55, v45, v36
	ds_read2_b64 v[44:47], v44 offset0:124 offset1:142
	ds_read_b128 v[52:55], v30 offset:32
	s_waitcnt lgkmcnt(3)
	v_pk_fma_f16 v26, v56, v48, v26
	v_pk_fma_f16 v36, v57, v48, v36
	v_mul_u32_u24_sdwa v48, v50, v37 dst_sel:DWORD dst_unused:UNUSED_PAD src0_sel:WORD_0 src1_sel:DWORD
	v_pk_fma_f16 v26, v58, v49, v26
	v_pk_fma_f16 v36, v59, v49, v36
	ds_read2_b64 v[56:59], v61 offset0:32 offset1:50
	v_mul_u32_u24_sdwa v49, v50, v37 dst_sel:DWORD dst_unused:UNUSED_PAD src0_sel:WORD_1 src1_sel:DWORD
	s_waitcnt lgkmcnt(3)
	v_pk_fma_f16 v26, v40, v48, v26
	v_pk_fma_f16 v36, v41, v48, v36
	v_mul_u32_u24_sdwa v48, v51, v37 dst_sel:DWORD dst_unused:UNUSED_PAD src0_sel:WORD_0 src1_sel:DWORD
	v_pk_fma_f16 v26, v42, v49, v26
	v_pk_fma_f16 v36, v43, v49, v36
	ds_read2_b64 v[40:43], v61 offset0:68 offset1:86
	s_waitcnt lgkmcnt(3)
	v_pk_fma_f16 v26, v44, v48, v26
	v_pk_fma_f16 v36, v45, v48, v36
	ds_read_b128 v[48:51], v30 offset:48
	s_waitcnt lgkmcnt(3)
	v_mul_u32_u24_sdwa v63, v52, v37 dst_sel:DWORD dst_unused:UNUSED_PAD src0_sel:WORD_0 src1_sel:DWORD
	v_mul_u32_u24_sdwa v52, v52, v37 dst_sel:DWORD dst_unused:UNUSED_PAD src0_sel:WORD_1 src1_sel:DWORD
	v_pk_fma_f16 v26, v46, v62, v26
	v_pk_fma_f16 v36, v47, v62, v36
	ds_read2_b64 v[44:47], v61 offset0:104 offset1:122
	v_mul_u32_u24_sdwa v62, v53, v37 dst_sel:DWORD dst_unused:UNUSED_PAD src0_sel:WORD_0 src1_sel:DWORD
	s_waitcnt lgkmcnt(3)
	v_pk_fma_f16 v26, v56, v63, v26
	v_pk_fma_f16 v36, v57, v63, v36
	;; [unrolled: 1-line block ×4, first 2 shown]
	ds_read2_b64 v[56:59], v61 offset0:140 offset1:158
	v_mul_u32_u24_sdwa v52, v53, v37 dst_sel:DWORD dst_unused:UNUSED_PAD src0_sel:WORD_1 src1_sel:DWORD
	v_mul_u32_u24_sdwa v53, v54, v37 dst_sel:DWORD dst_unused:UNUSED_PAD src0_sel:WORD_0 src1_sel:DWORD
	s_waitcnt lgkmcnt(3)
	v_pk_fma_f16 v26, v40, v62, v26
	v_pk_fma_f16 v36, v41, v62, v36
	;; [unrolled: 1-line block ×4, first 2 shown]
	ds_read2_b64 v[40:43], v61 offset0:176 offset1:194
	v_mul_u32_u24_sdwa v52, v54, v37 dst_sel:DWORD dst_unused:UNUSED_PAD src0_sel:WORD_1 src1_sel:DWORD
	s_waitcnt lgkmcnt(2)
	v_pk_fma_f16 v26, v44, v53, v26
	v_pk_fma_f16 v36, v45, v53, v36
	v_mul_u32_u24_sdwa v53, v55, v37 dst_sel:DWORD dst_unused:UNUSED_PAD src0_sel:WORD_0 src1_sel:DWORD
	v_pk_fma_f16 v26, v46, v52, v26
	v_pk_fma_f16 v36, v47, v52, v36
	ds_read2_b64 v[44:47], v61 offset0:212 offset1:230
	v_mul_u32_u24_sdwa v52, v55, v37 dst_sel:DWORD dst_unused:UNUSED_PAD src0_sel:WORD_1 src1_sel:DWORD
	s_waitcnt lgkmcnt(2)
	v_pk_fma_f16 v26, v56, v53, v26
	v_pk_fma_f16 v36, v57, v53, v36
	v_add_nc_u32_e32 v53, 0xc00, v18
	v_mul_u32_u24_sdwa v56, v48, v37 dst_sel:DWORD dst_unused:UNUSED_PAD src0_sel:WORD_0 src1_sel:DWORD
	v_mul_u32_u24_sdwa v48, v48, v37 dst_sel:DWORD dst_unused:UNUSED_PAD src0_sel:WORD_1 src1_sel:DWORD
	v_pk_fma_f16 v26, v58, v52, v26
	v_pk_fma_f16 v36, v59, v52, v36
	ds_read2_b64 v[52:55], v53 offset0:120 offset1:138
	v_add_nc_u32_e32 v57, 0x1000, v18
	s_waitcnt lgkmcnt(2)
	v_pk_fma_f16 v26, v40, v56, v26
	v_pk_fma_f16 v36, v41, v56, v36
	v_mul_u32_u24_sdwa v40, v49, v37 dst_sel:DWORD dst_unused:UNUSED_PAD src0_sel:WORD_0 src1_sel:DWORD
	ds_read2_b64 v[56:59], v57 offset0:28 offset1:46
	v_mul_u32_u24_sdwa v41, v49, v37 dst_sel:DWORD dst_unused:UNUSED_PAD src0_sel:WORD_1 src1_sel:DWORD
	v_pk_fma_f16 v26, v42, v48, v26
	v_pk_fma_f16 v36, v43, v48, v36
	s_waitcnt lgkmcnt(0)
	s_barrier
	buffer_gl0_inv
	v_pk_fma_f16 v26, v44, v40, v26
	v_pk_fma_f16 v36, v45, v40, v36
	s_load_dword s1, s[6:7], 0x4
	v_mul_u32_u24_sdwa v40, v50, v37 dst_sel:DWORD dst_unused:UNUSED_PAD src0_sel:WORD_0 src1_sel:DWORD
	v_pk_fma_f16 v26, v46, v41, v26
	v_pk_fma_f16 v36, v47, v41, v36
	v_mul_u32_u24_sdwa v41, v50, v37 dst_sel:DWORD dst_unused:UNUSED_PAD src0_sel:WORD_1 src1_sel:DWORD
	v_pk_fma_f16 v26, v52, v40, v26
	v_pk_fma_f16 v36, v53, v40, v36
	v_mul_u32_u24_sdwa v40, v51, v37 dst_sel:DWORD dst_unused:UNUSED_PAD src0_sel:WORD_0 src1_sel:DWORD
	v_pk_fma_f16 v26, v54, v41, v26
	v_pk_fma_f16 v36, v55, v41, v36
	v_mul_u32_u24_sdwa v41, v51, v37 dst_sel:DWORD dst_unused:UNUSED_PAD src0_sel:WORD_1 src1_sel:DWORD
	v_pk_fma_f16 v26, v56, v40, v26
	v_pk_fma_f16 v36, v57, v40, v36
	s_waitcnt lgkmcnt(0)
	s_lshl_b32 s1, s1, 5
	s_add_i32 s8, s1, s8
	v_pk_fma_f16 v26, v58, v41, v26
	v_pk_fma_f16 v36, v59, v41, v36
	s_cmp_ge_i32 s8, s34
	s_cbranch_scc1 .LBB46_17
; %bb.16:                               ;   in Loop: Header=BB46_11 Depth=1
	v_mov_b32_e32 v40, v14
	v_mov_b32_e32 v38, v39
	s_branch .LBB46_11
.LBB46_17:
	v_mov_b32_e32 v2, v19
.LBB46_18:
	v_cmp_lt_i32_e32 vcc_lo, v25, v20
	s_cmp_lg_u64 s[16:17], 0
	s_cselect_b32 s1, -1, 0
	s_cmp_eq_u32 s2, 0
	v_cndmask_b32_e32 v1, v2, v25, vcc_lo
	v_cmp_lt_i32_e32 vcc_lo, v24, v20
	s_cselect_b32 s6, -1, 0
	s_and_b32 s1, s6, s1
	v_lshlrev_b32_e32 v1, 2, v1
	v_cndmask_b32_e32 v3, v2, v24, vcc_lo
	v_cmp_lt_i32_e32 vcc_lo, v23, v20
	ds_bpermute_b32 v1, v1, v39
	v_lshlrev_b32_e32 v3, 2, v3
	v_cndmask_b32_e32 v4, v2, v23, vcc_lo
	v_cmp_lt_i32_e32 vcc_lo, v22, v20
	v_lshlrev_b32_e32 v4, 2, v4
	s_waitcnt lgkmcnt(0)
	v_add_f32_e32 v1, v39, v1
	ds_bpermute_b32 v3, v3, v1
	s_waitcnt lgkmcnt(0)
	v_add_f32_e32 v1, v1, v3
	ds_bpermute_b32 v3, v4, v1
	v_cndmask_b32_e32 v4, v2, v22, vcc_lo
	v_cmp_lt_i32_e32 vcc_lo, v21, v20
	v_lshlrev_b32_e32 v4, 2, v4
	v_cndmask_b32_e32 v2, v2, v21, vcc_lo
	s_and_b32 vcc_lo, exec_lo, s1
	v_lshlrev_b32_e32 v2, 2, v2
	s_waitcnt lgkmcnt(0)
	v_add_f32_e32 v1, v1, v3
	ds_bpermute_b32 v3, v4, v1
	s_waitcnt lgkmcnt(0)
	v_add_f32_e32 v1, v1, v3
	ds_bpermute_b32 v2, v2, v1
	s_waitcnt lgkmcnt(0)
	v_add_f32_e32 v15, v1, v2
	s_cbranch_vccz .LBB46_20
; %bb.19:
	v_add_nc_u32_e32 v1, s14, v16
	v_ashrrev_i32_e32 v2, 31, v1
	v_lshlrev_b64 v[1:2], 2, v[1:2]
	v_add_co_u32 v1, vcc_lo, s16, v1
	v_add_co_ci_u32_e64 v2, null, s17, v2, vcc_lo
	global_load_dword v1, v[1:2], off
	v_max_f32_e32 v2, v14, v14
	s_waitcnt vmcnt(0)
	v_max_f32_e32 v3, v1, v1
	v_max_f32_e32 v2, v2, v3
	v_sub_f32_e32 v3, v14, v2
	v_sub_f32_e32 v1, v1, v2
	v_mov_b32_e32 v14, v2
	v_mul_f32_e32 v4, 0x3fb8aa3b, v3
	v_mul_f32_e32 v5, 0x3fb8aa3b, v1
	v_cmp_ngt_f32_e32 vcc_lo, 0xc2ce8ed0, v3
	v_fma_f32 v6, 0x3fb8aa3b, v3, -v4
	v_rndne_f32_e32 v7, v4
	v_fma_f32 v8, 0x3fb8aa3b, v1, -v5
	v_rndne_f32_e32 v9, v5
	v_fmac_f32_e32 v6, 0x32a5705f, v3
	v_sub_f32_e32 v4, v4, v7
	v_fmac_f32_e32 v8, 0x32a5705f, v1
	v_sub_f32_e32 v5, v5, v9
	v_add_f32_e32 v4, v4, v6
	v_cvt_i32_f32_e32 v6, v7
	v_add_f32_e32 v5, v5, v8
	v_cvt_i32_f32_e32 v7, v9
	v_exp_f32_e32 v4, v4
	v_exp_f32_e32 v5, v5
	v_ldexp_f32 v4, v4, v6
	v_ldexp_f32 v5, v5, v7
	v_cndmask_b32_e32 v4, 0, v4, vcc_lo
	v_cmp_ngt_f32_e32 vcc_lo, 0xc2ce8ed0, v1
	v_cndmask_b32_e32 v5, 0, v5, vcc_lo
	v_cmp_nlt_f32_e32 vcc_lo, 0x42b17218, v3
	v_cndmask_b32_e32 v3, 0x7f800000, v4, vcc_lo
	v_cmp_nlt_f32_e32 vcc_lo, 0x42b17218, v1
	v_mov_b32_e32 v4, 0x10001
	v_cndmask_b32_e32 v1, 0x7f800000, v5, vcc_lo
	v_cvt_f16_f32_e32 v5, v3
	v_fmac_f32_e32 v1, v15, v3
	v_mul_u32_u24_sdwa v3, v5, v4 dst_sel:DWORD dst_unused:UNUSED_PAD src0_sel:WORD_0 src1_sel:DWORD
	v_mov_b32_e32 v15, v1
	v_pk_mul_f16 v26, v26, v3
	v_pk_mul_f16 v36, v36, v3
.LBB46_20:
	v_add_nc_u32_e32 v1, s15, v17
	s_mov_b32 s1, exec_lo
	v_cmpx_gt_i32_e64 s26, v1
	s_cbranch_execz .LBB46_25
; %bb.21:
	v_mad_u64_u32 v[1:2], null, s3, s26, v[1:2]
	s_load_dword s1, s[4:5], 0xd4
	v_mul_lo_u32 v1, v1, s27
	v_add3_u32 v1, s14, v16, v1
	s_waitcnt lgkmcnt(0)
	s_cmp_lg_u32 s1, 1
	v_mad_u64_u32 v[1:2], null, s1, v1, s[2:3]
	s_cselect_b32 s1, -1, 0
	s_and_saveexec_b32 s2, s0
	s_cbranch_execz .LBB46_23
; %bb.22:
	v_div_scale_f32 v2, null, v15, v15, 1.0
	v_div_scale_f32 v5, vcc_lo, 1.0, v15, 1.0
	v_cvt_f32_f16_sdwa v8, v36 dst_sel:DWORD dst_unused:UNUSED_PAD src0_sel:WORD_1
	v_rcp_f32_e32 v3, v2
	v_cvt_f32_f16_sdwa v10, v26 dst_sel:DWORD dst_unused:UNUSED_PAD src0_sel:WORD_1
	v_cvt_f32_f16_e32 v11, v26
	v_fma_f32 v4, -v2, v3, 1.0
	v_fmac_f32_e32 v3, v4, v3
	v_mul_f32_e32 v4, v5, v3
	v_fma_f32 v6, -v2, v4, v5
	v_fmac_f32_e32 v4, v6, v3
	v_fma_f32 v2, -v2, v4, v5
	v_div_fmas_f32 v2, v2, v3, v4
	v_mul_lo_u32 v4, 0x48, v1
	v_mov_b32_e32 v3, 0
	v_div_fixup_f32 v5, v2, v15, 1.0
	v_lshl_add_u32 v2, v0, 2, v4
	v_cndmask_b32_e64 v9, v5, 1.0, s1
	v_cvt_f32_f16_e32 v4, v36
	v_lshlrev_b64 v[6:7], 2, v[2:3]
	v_mul_f32_e32 v5, v9, v8
	v_mul_f32_e32 v4, v9, v4
	;; [unrolled: 1-line block ×4, first 2 shown]
	v_add_co_u32 v6, vcc_lo, s20, v6
	v_add_co_ci_u32_e64 v7, null, s21, v7, vcc_lo
	global_store_dwordx4 v[6:7], v[2:5], off
.LBB46_23:
	s_or_b32 exec_lo, exec_lo, s2
	v_cmp_eq_u32_e32 vcc_lo, 0, v0
	s_and_b32 s0, vcc_lo, s1
	s_and_b32 exec_lo, exec_lo, s0
	s_cbranch_execz .LBB46_25
; %bb.24:
	v_ashrrev_i32_e32 v2, 31, v1
	v_lshlrev_b64 v[0:1], 3, v[1:2]
	v_add_co_u32 v0, vcc_lo, s22, v0
	v_add_co_ci_u32_e64 v1, null, s23, v1, vcc_lo
	global_store_dwordx2 v[0:1], v[14:15], off
.LBB46_25:
	s_endpgm
	.section	.rodata,"a",@progbits
	.p2align	6, 0x0
	.amdhsa_kernel _ZL15flash_attn_tileILi72ELi72ELi2ELi2ELb0EEvPKcS1_S1_S1_S1_PKiPfP15HIP_vector_typeIfLj2EEffffjfiS5_IjLj3EEiiiiiiiiiiiliiliiiiil
		.amdhsa_group_segment_fixed_size 6176
		.amdhsa_private_segment_fixed_size 0
		.amdhsa_kernarg_size 464
		.amdhsa_user_sgpr_count 6
		.amdhsa_user_sgpr_private_segment_buffer 1
		.amdhsa_user_sgpr_dispatch_ptr 0
		.amdhsa_user_sgpr_queue_ptr 0
		.amdhsa_user_sgpr_kernarg_segment_ptr 1
		.amdhsa_user_sgpr_dispatch_id 0
		.amdhsa_user_sgpr_flat_scratch_init 0
		.amdhsa_user_sgpr_private_segment_size 0
		.amdhsa_wavefront_size32 1
		.amdhsa_uses_dynamic_stack 0
		.amdhsa_system_sgpr_private_segment_wavefront_offset 0
		.amdhsa_system_sgpr_workgroup_id_x 1
		.amdhsa_system_sgpr_workgroup_id_y 1
		.amdhsa_system_sgpr_workgroup_id_z 1
		.amdhsa_system_sgpr_workgroup_info 0
		.amdhsa_system_vgpr_workitem_id 1
		.amdhsa_next_free_vgpr 64
		.amdhsa_next_free_sgpr 44
		.amdhsa_reserve_vcc 1
		.amdhsa_reserve_flat_scratch 0
		.amdhsa_float_round_mode_32 0
		.amdhsa_float_round_mode_16_64 0
		.amdhsa_float_denorm_mode_32 3
		.amdhsa_float_denorm_mode_16_64 3
		.amdhsa_dx10_clamp 1
		.amdhsa_ieee_mode 1
		.amdhsa_fp16_overflow 0
		.amdhsa_workgroup_processor_mode 1
		.amdhsa_memory_ordered 1
		.amdhsa_forward_progress 1
		.amdhsa_shared_vgpr_count 0
		.amdhsa_exception_fp_ieee_invalid_op 0
		.amdhsa_exception_fp_denorm_src 0
		.amdhsa_exception_fp_ieee_div_zero 0
		.amdhsa_exception_fp_ieee_overflow 0
		.amdhsa_exception_fp_ieee_underflow 0
		.amdhsa_exception_fp_ieee_inexact 0
		.amdhsa_exception_int_div_zero 0
	.end_amdhsa_kernel
	.section	.text._ZL15flash_attn_tileILi72ELi72ELi2ELi2ELb0EEvPKcS1_S1_S1_S1_PKiPfP15HIP_vector_typeIfLj2EEffffjfiS5_IjLj3EEiiiiiiiiiiiliiliiiiil,"axG",@progbits,_ZL15flash_attn_tileILi72ELi72ELi2ELi2ELb0EEvPKcS1_S1_S1_S1_PKiPfP15HIP_vector_typeIfLj2EEffffjfiS5_IjLj3EEiiiiiiiiiiiliiliiiiil,comdat
.Lfunc_end46:
	.size	_ZL15flash_attn_tileILi72ELi72ELi2ELi2ELb0EEvPKcS1_S1_S1_S1_PKiPfP15HIP_vector_typeIfLj2EEffffjfiS5_IjLj3EEiiiiiiiiiiiliiliiiiil, .Lfunc_end46-_ZL15flash_attn_tileILi72ELi72ELi2ELi2ELb0EEvPKcS1_S1_S1_S1_PKiPfP15HIP_vector_typeIfLj2EEffffjfiS5_IjLj3EEiiiiiiiiiiiliiliiiiil
                                        ; -- End function
	.set _ZL15flash_attn_tileILi72ELi72ELi2ELi2ELb0EEvPKcS1_S1_S1_S1_PKiPfP15HIP_vector_typeIfLj2EEffffjfiS5_IjLj3EEiiiiiiiiiiiliiliiiiil.num_vgpr, 64
	.set _ZL15flash_attn_tileILi72ELi72ELi2ELi2ELb0EEvPKcS1_S1_S1_S1_PKiPfP15HIP_vector_typeIfLj2EEffffjfiS5_IjLj3EEiiiiiiiiiiiliiliiiiil.num_agpr, 0
	.set _ZL15flash_attn_tileILi72ELi72ELi2ELi2ELb0EEvPKcS1_S1_S1_S1_PKiPfP15HIP_vector_typeIfLj2EEffffjfiS5_IjLj3EEiiiiiiiiiiiliiliiiiil.numbered_sgpr, 44
	.set _ZL15flash_attn_tileILi72ELi72ELi2ELi2ELb0EEvPKcS1_S1_S1_S1_PKiPfP15HIP_vector_typeIfLj2EEffffjfiS5_IjLj3EEiiiiiiiiiiiliiliiiiil.num_named_barrier, 0
	.set _ZL15flash_attn_tileILi72ELi72ELi2ELi2ELb0EEvPKcS1_S1_S1_S1_PKiPfP15HIP_vector_typeIfLj2EEffffjfiS5_IjLj3EEiiiiiiiiiiiliiliiiiil.private_seg_size, 0
	.set _ZL15flash_attn_tileILi72ELi72ELi2ELi2ELb0EEvPKcS1_S1_S1_S1_PKiPfP15HIP_vector_typeIfLj2EEffffjfiS5_IjLj3EEiiiiiiiiiiiliiliiiiil.uses_vcc, 1
	.set _ZL15flash_attn_tileILi72ELi72ELi2ELi2ELb0EEvPKcS1_S1_S1_S1_PKiPfP15HIP_vector_typeIfLj2EEffffjfiS5_IjLj3EEiiiiiiiiiiiliiliiiiil.uses_flat_scratch, 0
	.set _ZL15flash_attn_tileILi72ELi72ELi2ELi2ELb0EEvPKcS1_S1_S1_S1_PKiPfP15HIP_vector_typeIfLj2EEffffjfiS5_IjLj3EEiiiiiiiiiiiliiliiiiil.has_dyn_sized_stack, 0
	.set _ZL15flash_attn_tileILi72ELi72ELi2ELi2ELb0EEvPKcS1_S1_S1_S1_PKiPfP15HIP_vector_typeIfLj2EEffffjfiS5_IjLj3EEiiiiiiiiiiiliiliiiiil.has_recursion, 0
	.set _ZL15flash_attn_tileILi72ELi72ELi2ELi2ELb0EEvPKcS1_S1_S1_S1_PKiPfP15HIP_vector_typeIfLj2EEffffjfiS5_IjLj3EEiiiiiiiiiiiliiliiiiil.has_indirect_call, 0
	.section	.AMDGPU.csdata,"",@progbits
; Kernel info:
; codeLenInByte = 5228
; TotalNumSgprs: 46
; NumVgprs: 64
; ScratchSize: 0
; MemoryBound: 0
; FloatMode: 240
; IeeeMode: 1
; LDSByteSize: 6176 bytes/workgroup (compile time only)
; SGPRBlocks: 0
; VGPRBlocks: 7
; NumSGPRsForWavesPerEU: 46
; NumVGPRsForWavesPerEU: 64
; Occupancy: 16
; WaveLimiterHint : 1
; COMPUTE_PGM_RSRC2:SCRATCH_EN: 0
; COMPUTE_PGM_RSRC2:USER_SGPR: 6
; COMPUTE_PGM_RSRC2:TRAP_HANDLER: 0
; COMPUTE_PGM_RSRC2:TGID_X_EN: 1
; COMPUTE_PGM_RSRC2:TGID_Y_EN: 1
; COMPUTE_PGM_RSRC2:TGID_Z_EN: 1
; COMPUTE_PGM_RSRC2:TIDIG_COMP_CNT: 1
	.section	.text._ZL33flash_attn_stream_k_fixup_uniformILi72ELi2ELi2EEvPfPK15HIP_vector_typeIfLj2EEiiiiiiS1_IjLj3EES5_S5_,"axG",@progbits,_ZL33flash_attn_stream_k_fixup_uniformILi72ELi2ELi2EEvPfPK15HIP_vector_typeIfLj2EEiiiiiiS1_IjLj3EES5_S5_,comdat
	.globl	_ZL33flash_attn_stream_k_fixup_uniformILi72ELi2ELi2EEvPfPK15HIP_vector_typeIfLj2EEiiiiiiS1_IjLj3EES5_S5_ ; -- Begin function _ZL33flash_attn_stream_k_fixup_uniformILi72ELi2ELi2EEvPfPK15HIP_vector_typeIfLj2EEiiiiiiS1_IjLj3EES5_S5_
	.p2align	8
	.type	_ZL33flash_attn_stream_k_fixup_uniformILi72ELi2ELi2EEvPfPK15HIP_vector_typeIfLj2EEiiiiiiS1_IjLj3EES5_S5_,@function
_ZL33flash_attn_stream_k_fixup_uniformILi72ELi2ELi2EEvPfPK15HIP_vector_typeIfLj2EEiiiiiiS1_IjLj3EES5_S5_: ; @_ZL33flash_attn_stream_k_fixup_uniformILi72ELi2ELi2EEvPfPK15HIP_vector_typeIfLj2EEiiiiiiS1_IjLj3EES5_S5_
; %bb.0:
	s_clause 0x2
	s_load_dwordx8 s[12:19], s[4:5], 0x1c
	s_load_dwordx4 s[20:23], s[4:5], 0x3c
	s_load_dwordx2 s[10:11], s[4:5], 0x10
	s_waitcnt lgkmcnt(0)
	s_mul_hi_u32 s0, s15, s6
	s_add_i32 s0, s6, s0
	s_lshr_b32 s0, s0, s16
	s_mul_i32 s1, s0, s17
	s_sub_i32 s1, s6, s1
	s_mul_hi_u32 s2, s1, s18
	s_add_i32 s2, s1, s2
	s_lshr_b32 s9, s2, s19
	s_mul_i32 s2, s9, s20
	s_sub_i32 s1, s1, s2
	s_mul_hi_u32 s2, s1, s21
	s_add_i32 s2, s1, s2
	s_lshr_b32 s2, s2, s22
	s_mul_i32 s3, s2, s23
	s_lshl_b32 s16, s2, 1
	s_sub_i32 s15, s1, s3
	s_lshl_b32 s1, s15, 1
	s_add_i32 s1, s1, s7
	s_cmp_lt_i32 s1, s10
	s_cselect_b32 s1, -1, 0
	s_add_i32 s16, s16, s8
	s_cmp_lt_i32 s16, s13
	s_cselect_b32 s2, -1, 0
	s_and_b32 s1, s1, s2
	s_andn2_b32 vcc_lo, exec_lo, s1
	s_cbranch_vccnz .LBB47_6
; %bb.1:
	s_mul_i32 s10, s0, s10
	s_load_dwordx4 s[0:3], s[4:5], 0x0
	s_add_i32 s4, s10, s7
	s_mul_i32 s9, s9, s13
	s_mul_i32 s4, s4, s11
	s_add_i32 s5, s16, s9
	s_mul_i32 s9, s11, s15
	s_add_i32 s4, s5, s4
	s_mulk_i32 s9, 0x90
	s_mulk_i32 s4, 0x48
	s_lshl_b32 s10, s7, 1
	v_add3_u32 v1, s4, s9, v0
	s_mul_i32 s4, s14, s6
	s_add_i32 s11, s4, s14
	v_ashrrev_i32_e32 v2, 31, v1
	v_lshlrev_b64 v[1:2], 2, v[1:2]
	s_waitcnt lgkmcnt(0)
	v_add_co_u32 v1, vcc_lo, s0, v1
	v_add_co_ci_u32_e64 v2, null, s1, v2, vcc_lo
	s_add_i32 s0, s10, s8
	s_lshl_b32 s1, s11, 2
	global_load_dword v5, v[1:2], off
	s_add_i32 s0, s0, s1
	s_add_i32 s0, s0, -4
	s_ashr_i32 s1, s0, 31
	s_lshl_b64 s[0:1], s[0:1], 3
	s_add_u32 s0, s2, s0
	s_addc_u32 s1, s3, s1
	s_add_i32 s5, s11, -2
	s_load_dword s13, s[0:1], 0x4
	s_cmp_lt_i32 s5, s4
	s_cbranch_scc1 .LBB47_4
; %bb.2:
	s_load_dword s15, s[0:1], 0x0
	s_lshl_b32 s16, s12, 4
	s_mulk_i32 s7, 0x90
	s_ashr_i32 s17, s16, 31
	s_waitcnt lgkmcnt(0)
	v_mov_b32_e32 v6, s13
	s_lshl_b64 s[0:1], s[16:17], 2
	s_add_u32 s5, s2, s0
	s_addc_u32 s9, s3, s1
	s_add_i32 s6, s6, 1
	s_mul_i32 s0, s14, s6
	s_mul_i32 s6, s8, 0x48
	s_lshl_b32 s1, s0, 2
	s_mulk_i32 s0, 0x120
	s_add_i32 s6, s6, s7
	s_add_i32 s1, s8, s1
	s_lshl_b32 s7, s12, 2
	s_add_i32 s6, s6, s0
	s_add_i32 s0, s1, s7
	v_add3_u32 v3, s6, v0, 0xfffffdc0
	v_mov_b32_e32 v0, s15
	s_add_i32 s0, s0, s10
	s_add_i32 s6, s11, -1
	s_add_i32 s0, s0, -8
.LBB47_3:                               ; =>This Inner Loop Header: Depth=1
	v_ashrrev_i32_e32 v4, 31, v3
	s_ashr_i32 s1, s0, 31
	s_lshl_b64 s[10:11], s[0:1], 3
	s_add_u32 s10, s2, s10
	v_lshlrev_b64 v[7:8], 2, v[3:4]
	s_addc_u32 s11, s3, s11
	v_add_nc_u32_e32 v3, 0xfffffee0, v3
	s_add_i32 s6, s6, -1
	s_add_i32 s0, s0, -4
	s_cmp_le_i32 s6, s4
	v_add_co_u32 v7, vcc_lo, s5, v7
	v_add_co_ci_u32_e64 v8, null, s9, v8, vcc_lo
	s_load_dwordx2 s[10:11], s[10:11], 0x0
	global_load_dword v4, v[7:8], off
	v_max_f32_e32 v7, v0, v0
	s_waitcnt lgkmcnt(0)
	v_max_f32_e64 v8, s10, s10
	v_max_f32_e32 v7, v7, v8
	v_sub_f32_e32 v8, s10, v7
	v_sub_f32_e32 v0, v0, v7
	v_mul_f32_e32 v9, 0x3fb8aa3b, v8
	v_mul_f32_e32 v12, 0x3fb8aa3b, v0
	v_cmp_ngt_f32_e32 vcc_lo, 0xc2ce8ed0, v8
	v_fma_f32 v10, 0x3fb8aa3b, v8, -v9
	v_rndne_f32_e32 v11, v9
	v_fma_f32 v13, 0x3fb8aa3b, v0, -v12
	v_rndne_f32_e32 v14, v12
	v_fmac_f32_e32 v10, 0x32a5705f, v8
	v_sub_f32_e32 v9, v9, v11
	v_fmac_f32_e32 v13, 0x32a5705f, v0
	v_cvt_i32_f32_e32 v11, v11
	v_add_f32_e32 v9, v9, v10
	v_sub_f32_e32 v10, v12, v14
	v_exp_f32_e32 v9, v9
	v_add_f32_e32 v10, v10, v13
	v_exp_f32_e32 v10, v10
	v_ldexp_f32 v9, v9, v11
	v_cvt_i32_f32_e32 v11, v14
	v_cndmask_b32_e32 v9, 0, v9, vcc_lo
	v_cmp_nlt_f32_e32 vcc_lo, 0x42b17218, v8
	v_ldexp_f32 v10, v10, v11
	v_mov_b32_e32 v11, v6
	v_cndmask_b32_e32 v9, 0x7f800000, v9, vcc_lo
	v_cmp_ngt_f32_e32 vcc_lo, 0xc2ce8ed0, v0
	v_cndmask_b32_e32 v10, 0, v10, vcc_lo
	v_cmp_le_f32_e32 vcc_lo, 0xc1a00000, v8
	v_cndmask_b32_e32 v8, 0, v9, vcc_lo
	v_cmp_nlt_f32_e32 vcc_lo, 0x42b17218, v0
	s_waitcnt vmcnt(1)
	v_mov_b32_e32 v9, v5
	v_cndmask_b32_e32 v5, 0x7f800000, v10, vcc_lo
	v_mul_f32_e32 v10, s11, v8
	v_cmp_le_f32_e32 vcc_lo, 0xc1a00000, v0
	v_mov_b32_e32 v0, v7
	v_mov_b32_e32 v6, v10
	v_cndmask_b32_e32 v12, 0, v5, vcc_lo
	v_fmac_f32_e32 v6, v11, v12
	s_waitcnt vmcnt(0)
	v_mul_f32_e32 v5, v4, v8
	v_fmac_f32_e32 v5, v9, v12
	s_cbranch_scc0 .LBB47_3
	s_branch .LBB47_5
.LBB47_4:
	s_waitcnt lgkmcnt(0)
	v_mov_b32_e32 v6, s13
.LBB47_5:
	s_waitcnt vmcnt(0)
	v_div_scale_f32 v0, null, v6, v6, v5
	v_rcp_f32_e32 v3, v0
	v_fma_f32 v4, -v0, v3, 1.0
	v_fmac_f32_e32 v3, v4, v3
	v_div_scale_f32 v4, vcc_lo, v5, v6, v5
	v_mul_f32_e32 v7, v4, v3
	v_fma_f32 v8, -v0, v7, v4
	v_fmac_f32_e32 v7, v8, v3
	v_fma_f32 v0, -v0, v7, v4
	v_div_fmas_f32 v0, v0, v3, v7
	v_div_fixup_f32 v0, v0, v6, v5
	global_store_dword v[1:2], v0, off
.LBB47_6:
	s_endpgm
	.section	.rodata,"a",@progbits
	.p2align	6, 0x0
	.amdhsa_kernel _ZL33flash_attn_stream_k_fixup_uniformILi72ELi2ELi2EEvPfPK15HIP_vector_typeIfLj2EEiiiiiiS1_IjLj3EES5_S5_
		.amdhsa_group_segment_fixed_size 0
		.amdhsa_private_segment_fixed_size 0
		.amdhsa_kernarg_size 76
		.amdhsa_user_sgpr_count 6
		.amdhsa_user_sgpr_private_segment_buffer 1
		.amdhsa_user_sgpr_dispatch_ptr 0
		.amdhsa_user_sgpr_queue_ptr 0
		.amdhsa_user_sgpr_kernarg_segment_ptr 1
		.amdhsa_user_sgpr_dispatch_id 0
		.amdhsa_user_sgpr_flat_scratch_init 0
		.amdhsa_user_sgpr_private_segment_size 0
		.amdhsa_wavefront_size32 1
		.amdhsa_uses_dynamic_stack 0
		.amdhsa_system_sgpr_private_segment_wavefront_offset 0
		.amdhsa_system_sgpr_workgroup_id_x 1
		.amdhsa_system_sgpr_workgroup_id_y 1
		.amdhsa_system_sgpr_workgroup_id_z 1
		.amdhsa_system_sgpr_workgroup_info 0
		.amdhsa_system_vgpr_workitem_id 0
		.amdhsa_next_free_vgpr 15
		.amdhsa_next_free_sgpr 24
		.amdhsa_reserve_vcc 1
		.amdhsa_reserve_flat_scratch 0
		.amdhsa_float_round_mode_32 0
		.amdhsa_float_round_mode_16_64 0
		.amdhsa_float_denorm_mode_32 3
		.amdhsa_float_denorm_mode_16_64 3
		.amdhsa_dx10_clamp 1
		.amdhsa_ieee_mode 1
		.amdhsa_fp16_overflow 0
		.amdhsa_workgroup_processor_mode 1
		.amdhsa_memory_ordered 1
		.amdhsa_forward_progress 1
		.amdhsa_shared_vgpr_count 0
		.amdhsa_exception_fp_ieee_invalid_op 0
		.amdhsa_exception_fp_denorm_src 0
		.amdhsa_exception_fp_ieee_div_zero 0
		.amdhsa_exception_fp_ieee_overflow 0
		.amdhsa_exception_fp_ieee_underflow 0
		.amdhsa_exception_fp_ieee_inexact 0
		.amdhsa_exception_int_div_zero 0
	.end_amdhsa_kernel
	.section	.text._ZL33flash_attn_stream_k_fixup_uniformILi72ELi2ELi2EEvPfPK15HIP_vector_typeIfLj2EEiiiiiiS1_IjLj3EES5_S5_,"axG",@progbits,_ZL33flash_attn_stream_k_fixup_uniformILi72ELi2ELi2EEvPfPK15HIP_vector_typeIfLj2EEiiiiiiS1_IjLj3EES5_S5_,comdat
.Lfunc_end47:
	.size	_ZL33flash_attn_stream_k_fixup_uniformILi72ELi2ELi2EEvPfPK15HIP_vector_typeIfLj2EEiiiiiiS1_IjLj3EES5_S5_, .Lfunc_end47-_ZL33flash_attn_stream_k_fixup_uniformILi72ELi2ELi2EEvPfPK15HIP_vector_typeIfLj2EEiiiiiiS1_IjLj3EES5_S5_
                                        ; -- End function
	.set _ZL33flash_attn_stream_k_fixup_uniformILi72ELi2ELi2EEvPfPK15HIP_vector_typeIfLj2EEiiiiiiS1_IjLj3EES5_S5_.num_vgpr, 15
	.set _ZL33flash_attn_stream_k_fixup_uniformILi72ELi2ELi2EEvPfPK15HIP_vector_typeIfLj2EEiiiiiiS1_IjLj3EES5_S5_.num_agpr, 0
	.set _ZL33flash_attn_stream_k_fixup_uniformILi72ELi2ELi2EEvPfPK15HIP_vector_typeIfLj2EEiiiiiiS1_IjLj3EES5_S5_.numbered_sgpr, 24
	.set _ZL33flash_attn_stream_k_fixup_uniformILi72ELi2ELi2EEvPfPK15HIP_vector_typeIfLj2EEiiiiiiS1_IjLj3EES5_S5_.num_named_barrier, 0
	.set _ZL33flash_attn_stream_k_fixup_uniformILi72ELi2ELi2EEvPfPK15HIP_vector_typeIfLj2EEiiiiiiS1_IjLj3EES5_S5_.private_seg_size, 0
	.set _ZL33flash_attn_stream_k_fixup_uniformILi72ELi2ELi2EEvPfPK15HIP_vector_typeIfLj2EEiiiiiiS1_IjLj3EES5_S5_.uses_vcc, 1
	.set _ZL33flash_attn_stream_k_fixup_uniformILi72ELi2ELi2EEvPfPK15HIP_vector_typeIfLj2EEiiiiiiS1_IjLj3EES5_S5_.uses_flat_scratch, 0
	.set _ZL33flash_attn_stream_k_fixup_uniformILi72ELi2ELi2EEvPfPK15HIP_vector_typeIfLj2EEiiiiiiS1_IjLj3EES5_S5_.has_dyn_sized_stack, 0
	.set _ZL33flash_attn_stream_k_fixup_uniformILi72ELi2ELi2EEvPfPK15HIP_vector_typeIfLj2EEiiiiiiS1_IjLj3EES5_S5_.has_recursion, 0
	.set _ZL33flash_attn_stream_k_fixup_uniformILi72ELi2ELi2EEvPfPK15HIP_vector_typeIfLj2EEiiiiiiS1_IjLj3EES5_S5_.has_indirect_call, 0
	.section	.AMDGPU.csdata,"",@progbits
; Kernel info:
; codeLenInByte = 848
; TotalNumSgprs: 26
; NumVgprs: 15
; ScratchSize: 0
; MemoryBound: 0
; FloatMode: 240
; IeeeMode: 1
; LDSByteSize: 0 bytes/workgroup (compile time only)
; SGPRBlocks: 0
; VGPRBlocks: 1
; NumSGPRsForWavesPerEU: 26
; NumVGPRsForWavesPerEU: 15
; Occupancy: 16
; WaveLimiterHint : 0
; COMPUTE_PGM_RSRC2:SCRATCH_EN: 0
; COMPUTE_PGM_RSRC2:USER_SGPR: 6
; COMPUTE_PGM_RSRC2:TRAP_HANDLER: 0
; COMPUTE_PGM_RSRC2:TGID_X_EN: 1
; COMPUTE_PGM_RSRC2:TGID_Y_EN: 1
; COMPUTE_PGM_RSRC2:TGID_Z_EN: 1
; COMPUTE_PGM_RSRC2:TIDIG_COMP_CNT: 0
	.section	.text._ZL33flash_attn_stream_k_fixup_generalILi72ELi2ELi2EEvPfPK15HIP_vector_typeIfLj2EEiiiiS1_IjLj3EES5_S5_S5_,"axG",@progbits,_ZL33flash_attn_stream_k_fixup_generalILi72ELi2ELi2EEvPfPK15HIP_vector_typeIfLj2EEiiiiS1_IjLj3EES5_S5_S5_,comdat
	.globl	_ZL33flash_attn_stream_k_fixup_generalILi72ELi2ELi2EEvPfPK15HIP_vector_typeIfLj2EEiiiiS1_IjLj3EES5_S5_S5_ ; -- Begin function _ZL33flash_attn_stream_k_fixup_generalILi72ELi2ELi2EEvPfPK15HIP_vector_typeIfLj2EEiiiiS1_IjLj3EES5_S5_S5_
	.p2align	8
	.type	_ZL33flash_attn_stream_k_fixup_generalILi72ELi2ELi2EEvPfPK15HIP_vector_typeIfLj2EEiiiiS1_IjLj3EES5_S5_S5_,@function
_ZL33flash_attn_stream_k_fixup_generalILi72ELi2ELi2EEvPfPK15HIP_vector_typeIfLj2EEiiiiS1_IjLj3EES5_S5_S5_: ; @_ZL33flash_attn_stream_k_fixup_generalILi72ELi2ELi2EEvPfPK15HIP_vector_typeIfLj2EEiiiiS1_IjLj3EES5_S5_S5_
; %bb.0:
	s_clause 0x1
	s_load_dwordx4 s[0:3], s[4:5], 0x10
	s_load_dword s9, s[4:5], 0x50
	s_mov_b32 s16, 0
	s_waitcnt lgkmcnt(0)
	s_mul_hi_i32 s17, s3, s6
	s_mul_i32 s18, s3, s6
	s_cmp_lg_u64 s[16:17], 0
	s_cbranch_scc0 .LBB48_21
; %bb.1:
	s_add_u32 s10, s9, 0
	s_addc_u32 s11, 0, 0
	s_xor_b64 s[10:11], s[10:11], 0
	v_cvt_f32_u32_e32 v1, s10
	v_cvt_f32_u32_e32 v2, s11
	s_sub_u32 s14, 0, s10
	s_subb_u32 s15, 0, s11
	v_fmamk_f32 v1, v2, 0x4f800000, v1
	v_rcp_f32_e32 v1, v1
	v_mul_f32_e32 v1, 0x5f7ffffc, v1
	v_mul_f32_e32 v2, 0x2f800000, v1
	v_trunc_f32_e32 v2, v2
	v_fmamk_f32 v1, v2, 0xcf800000, v1
	v_cvt_u32_f32_e32 v2, v2
	v_cvt_u32_f32_e32 v1, v1
	v_readfirstlane_b32 s12, v2
	v_readfirstlane_b32 s13, v1
	s_mul_i32 s19, s14, s12
	s_mul_hi_u32 s21, s14, s13
	s_mul_i32 s20, s15, s13
	s_add_i32 s19, s21, s19
	s_mul_i32 s22, s14, s13
	s_add_i32 s19, s19, s20
	s_mul_hi_u32 s21, s13, s22
	s_mul_i32 s24, s13, s19
	s_mul_hi_u32 s23, s12, s22
	s_mul_i32 s20, s12, s22
	s_mul_hi_u32 s22, s13, s19
	s_add_u32 s21, s21, s24
	s_addc_u32 s22, 0, s22
	s_mul_hi_u32 s25, s12, s19
	s_add_u32 s20, s21, s20
	s_mul_i32 s19, s12, s19
	s_addc_u32 s20, s22, s23
	s_addc_u32 s21, s25, 0
	s_add_u32 s19, s20, s19
	s_addc_u32 s20, 0, s21
	s_add_u32 s13, s13, s19
	s_cselect_b32 s19, -1, 0
	s_mul_hi_u32 s21, s14, s13
	s_cmp_lg_u32 s19, 0
	s_mul_i32 s19, s14, s13
	s_addc_u32 s12, s12, s20
	s_mul_i32 s15, s15, s13
	s_mul_i32 s14, s14, s12
	s_mul_hi_u32 s20, s13, s19
	s_add_i32 s14, s21, s14
	s_mul_hi_u32 s21, s12, s19
	s_add_i32 s14, s14, s15
	s_mul_i32 s15, s12, s19
	s_mul_i32 s23, s13, s14
	s_mul_hi_u32 s22, s13, s14
	s_add_u32 s20, s20, s23
	s_addc_u32 s22, 0, s22
	s_mul_hi_u32 s19, s12, s14
	s_add_u32 s15, s20, s15
	s_mul_i32 s14, s12, s14
	s_addc_u32 s15, s22, s21
	s_addc_u32 s19, s19, 0
	s_add_u32 s14, s15, s14
	s_addc_u32 s15, 0, s19
	s_add_u32 s19, s13, s14
	s_cselect_b32 s13, -1, 0
	s_cmp_lg_u32 s13, 0
	s_addc_u32 s20, s12, s15
	s_ashr_i32 s12, s17, 31
	s_add_u32 s14, s18, s12
	s_mov_b32 s13, s12
	s_addc_u32 s15, s17, s12
	s_xor_b64 s[14:15], s[14:15], s[12:13]
	s_mul_i32 s21, s14, s20
	s_mul_hi_u32 s22, s14, s19
	s_mul_hi_u32 s17, s14, s20
	;; [unrolled: 1-line block ×3, first 2 shown]
	s_mul_i32 s19, s15, s19
	s_add_u32 s21, s22, s21
	s_addc_u32 s17, 0, s17
	s_mul_hi_u32 s23, s15, s20
	s_add_u32 s19, s21, s19
	s_mul_i32 s20, s15, s20
	s_addc_u32 s17, s17, s24
	s_addc_u32 s19, s23, 0
	s_add_u32 s17, s17, s20
	s_addc_u32 s19, 0, s19
	s_mul_hi_u32 s20, s10, s17
	s_mul_i32 s21, s10, s19
	s_mul_i32 s22, s11, s17
	s_add_i32 s20, s20, s21
	s_mul_i32 s21, s10, s17
	s_add_i32 s20, s20, s22
	s_sub_i32 s22, s15, s20
	s_sub_u32 s14, s14, s21
	s_cselect_b32 s21, -1, 0
	s_cmp_lg_u32 s21, 0
	s_subb_u32 s22, s22, s11
	s_sub_u32 s23, s14, s10
	s_cselect_b32 s24, -1, 0
	s_cmp_lg_u32 s24, 0
	s_subb_u32 s22, s22, 0
	s_cmp_ge_u32 s22, s11
	s_cselect_b32 s24, -1, 0
	s_cmp_ge_u32 s23, s10
	s_cselect_b32 s23, -1, 0
	s_cmp_eq_u32 s22, s11
	s_cselect_b32 s22, s23, s24
	s_add_u32 s23, s17, 1
	s_addc_u32 s24, s19, 0
	s_add_u32 s25, s17, 2
	s_addc_u32 s26, s19, 0
	s_cmp_lg_u32 s22, 0
	s_cselect_b32 s22, s25, s23
	s_cselect_b32 s23, s26, s24
	s_cmp_lg_u32 s21, 0
	s_subb_u32 s15, s15, s20
	s_cmp_ge_u32 s15, s11
	s_cselect_b32 s20, -1, 0
	s_cmp_ge_u32 s14, s10
	s_cselect_b32 s10, -1, 0
	s_cmp_eq_u32 s15, s11
	s_cselect_b32 s10, s10, s20
	s_cmp_lg_u32 s10, 0
	s_cselect_b32 s11, s23, s19
	s_cselect_b32 s10, s22, s17
	s_xor_b64 s[12:13], s[12:13], 0
	s_xor_b64 s[10:11], s[10:11], s[12:13]
	s_sub_u32 s10, s10, s12
	s_load_dwordx4 s[12:15], s[4:5], 0x44
	s_andn2_b32 vcc_lo, exec_lo, s16
	s_cbranch_vccnz .LBB48_3
.LBB48_2:
	v_cvt_f32_u32_e32 v1, s9
	s_sub_i32 s11, 0, s9
	v_rcp_iflag_f32_e32 v1, v1
	v_mul_f32_e32 v1, 0x4f7ffffe, v1
	v_cvt_u32_f32_e32 v1, v1
	v_readfirstlane_b32 s10, v1
	s_mul_i32 s11, s11, s10
	s_mul_hi_u32 s11, s10, s11
	s_add_i32 s10, s10, s11
	s_mul_hi_u32 s10, s18, s10
	s_mul_i32 s11, s10, s9
	s_waitcnt lgkmcnt(0)
	s_add_i32 s15, s10, 1
	s_sub_i32 s11, s18, s11
	s_sub_i32 s16, s11, s9
	s_cmp_ge_u32 s11, s9
	s_cselect_b32 s10, s15, s10
	s_cselect_b32 s11, s16, s11
	s_add_i32 s15, s10, 1
	s_cmp_ge_u32 s11, s9
	s_cselect_b32 s10, s15, s10
.LBB48_3:
	s_add_i32 s11, s6, 1
	s_mov_b32 s16, 0
	s_mul_hi_i32 s17, s3, s11
	s_mul_i32 s11, s3, s11
	s_cmp_lg_u64 s[16:17], 0
	s_cbranch_scc0 .LBB48_22
; %bb.4:
	s_add_u32 s18, s9, 0
	s_addc_u32 s19, 0, 0
	s_xor_b64 s[18:19], s[18:19], 0
	v_cvt_f32_u32_e32 v1, s18
	v_cvt_f32_u32_e32 v2, s19
	s_sub_u32 s21, 0, s18
	s_subb_u32 s22, 0, s19
	v_fmamk_f32 v1, v2, 0x4f800000, v1
	v_rcp_f32_e32 v1, v1
	v_mul_f32_e32 v1, 0x5f7ffffc, v1
	v_mul_f32_e32 v2, 0x2f800000, v1
	v_trunc_f32_e32 v2, v2
	v_fmamk_f32 v1, v2, 0xcf800000, v1
	v_cvt_u32_f32_e32 v2, v2
	v_cvt_u32_f32_e32 v1, v1
	s_waitcnt lgkmcnt(0)
	v_readfirstlane_b32 s15, v2
	v_readfirstlane_b32 s20, v1
	s_mul_i32 s23, s21, s15
	s_mul_hi_u32 s25, s21, s20
	s_mul_i32 s24, s22, s20
	s_add_i32 s23, s25, s23
	s_mul_i32 s26, s21, s20
	s_add_i32 s23, s23, s24
	s_mul_hi_u32 s25, s20, s26
	s_mul_i32 s28, s20, s23
	s_mul_hi_u32 s27, s15, s26
	s_mul_i32 s24, s15, s26
	s_mul_hi_u32 s26, s20, s23
	s_add_u32 s25, s25, s28
	s_addc_u32 s26, 0, s26
	s_mul_hi_u32 s29, s15, s23
	s_add_u32 s24, s25, s24
	s_mul_i32 s23, s15, s23
	s_addc_u32 s24, s26, s27
	s_addc_u32 s25, s29, 0
	s_add_u32 s23, s24, s23
	s_addc_u32 s24, 0, s25
	s_add_u32 s20, s20, s23
	s_cselect_b32 s23, -1, 0
	s_mul_hi_u32 s25, s21, s20
	s_cmp_lg_u32 s23, 0
	s_mul_i32 s23, s21, s20
	s_addc_u32 s15, s15, s24
	s_mul_i32 s22, s22, s20
	s_mul_i32 s21, s21, s15
	s_mul_hi_u32 s24, s20, s23
	s_add_i32 s21, s25, s21
	s_mul_hi_u32 s25, s15, s23
	s_add_i32 s21, s21, s22
	s_mul_i32 s22, s15, s23
	s_mul_i32 s27, s20, s21
	s_mul_hi_u32 s26, s20, s21
	s_add_u32 s24, s24, s27
	s_addc_u32 s26, 0, s26
	s_mul_hi_u32 s23, s15, s21
	s_add_u32 s22, s24, s22
	s_mul_i32 s21, s15, s21
	s_addc_u32 s22, s26, s25
	s_addc_u32 s23, s23, 0
	s_add_u32 s21, s22, s21
	s_addc_u32 s22, 0, s23
	s_add_u32 s24, s20, s21
	s_cselect_b32 s20, -1, 0
	s_cmp_lg_u32 s20, 0
	s_addc_u32 s15, s15, s22
	s_ashr_i32 s20, s17, 31
	s_add_u32 s22, s11, s20
	s_mov_b32 s21, s20
	s_addc_u32 s23, s17, s20
	s_xor_b64 s[22:23], s[22:23], s[20:21]
	s_mul_i32 s25, s22, s15
	s_mul_hi_u32 s26, s22, s24
	s_mul_hi_u32 s17, s22, s15
	;; [unrolled: 1-line block ×3, first 2 shown]
	s_mul_i32 s24, s23, s24
	s_add_u32 s25, s26, s25
	s_addc_u32 s17, 0, s17
	s_mul_hi_u32 s27, s23, s15
	s_add_u32 s24, s25, s24
	s_mul_i32 s15, s23, s15
	s_addc_u32 s17, s17, s28
	s_addc_u32 s24, s27, 0
	s_add_u32 s15, s17, s15
	s_addc_u32 s17, 0, s24
	s_mul_hi_u32 s24, s18, s15
	s_mul_i32 s25, s18, s17
	s_mul_i32 s26, s19, s15
	s_add_i32 s24, s24, s25
	s_mul_i32 s25, s18, s15
	s_add_i32 s24, s24, s26
	s_sub_i32 s26, s23, s24
	s_sub_u32 s22, s22, s25
	s_cselect_b32 s25, -1, 0
	s_cmp_lg_u32 s25, 0
	s_subb_u32 s26, s26, s19
	s_sub_u32 s27, s22, s18
	s_cselect_b32 s28, -1, 0
	s_cmp_lg_u32 s28, 0
	s_subb_u32 s26, s26, 0
	s_cmp_ge_u32 s26, s19
	s_cselect_b32 s28, -1, 0
	s_cmp_ge_u32 s27, s18
	s_cselect_b32 s27, -1, 0
	s_cmp_eq_u32 s26, s19
	s_cselect_b32 s26, s27, s28
	s_add_u32 s27, s15, 1
	s_addc_u32 s28, s17, 0
	s_add_u32 s29, s15, 2
	s_addc_u32 s30, s17, 0
	s_cmp_lg_u32 s26, 0
	s_cselect_b32 s26, s29, s27
	s_cselect_b32 s27, s30, s28
	s_cmp_lg_u32 s25, 0
	s_subb_u32 s23, s23, s24
	s_cmp_ge_u32 s23, s19
	s_cselect_b32 s24, -1, 0
	s_cmp_ge_u32 s22, s18
	s_cselect_b32 s18, -1, 0
	s_cmp_eq_u32 s23, s19
	s_cselect_b32 s18, s18, s24
	s_cmp_lg_u32 s18, 0
	s_cselect_b32 s19, s27, s17
	s_cselect_b32 s18, s26, s15
	s_xor_b64 s[20:21], s[20:21], 0
	s_xor_b64 s[18:19], s[18:19], s[20:21]
	s_sub_u32 s18, s18, s20
	s_andn2_b32 vcc_lo, exec_lo, s16
	s_cbranch_vccnz .LBB48_6
.LBB48_5:
	v_cvt_f32_u32_e32 v1, s9
	s_sub_i32 s16, 0, s9
	v_rcp_iflag_f32_e32 v1, v1
	v_mul_f32_e32 v1, 0x4f7ffffe, v1
	v_cvt_u32_f32_e32 v1, v1
	s_waitcnt lgkmcnt(0)
	v_readfirstlane_b32 s15, v1
	s_mul_i32 s16, s16, s15
	s_mul_hi_u32 s16, s15, s16
	s_add_i32 s15, s15, s16
	s_mul_hi_u32 s15, s11, s15
	s_mul_i32 s16, s15, s9
	s_sub_i32 s11, s11, s16
	s_add_i32 s16, s15, 1
	s_sub_i32 s17, s11, s9
	s_cmp_ge_u32 s11, s9
	s_cselect_b32 s15, s16, s15
	s_cselect_b32 s11, s17, s11
	s_add_i32 s16, s15, 1
	s_cmp_ge_u32 s11, s9
	s_cselect_b32 s18, s16, s15
.LBB48_6:
	s_cmp_eq_u32 s10, s18
	s_waitcnt lgkmcnt(0)
	s_mul_hi_u32 s11, s10, s12
	s_cselect_b32 s15, -1, 0
	s_add_i32 s11, s11, s10
	s_lshr_b32 s11, s11, s13
	s_mul_i32 s16, s11, s14
	s_cmp_eq_u32 s16, s10
	s_mul_hi_u32 s16, s18, s12
	s_cselect_b32 s17, -1, 0
	s_add_i32 s16, s16, s18
	s_lshr_b32 s16, s16, s13
	s_cmp_eq_u32 s11, s16
	s_mul_i32 s16, s16, s14
	s_cselect_b32 s19, -1, 0
	s_cmp_lg_u32 s16, s18
	s_cselect_b32 s16, -1, 0
	s_or_b32 s15, s15, s17
	s_and_b32 s16, s19, s16
	s_or_b32 s15, s15, s16
	s_and_b32 vcc_lo, exec_lo, s15
	s_cbranch_vccnz .LBB48_24
; %bb.7:
	s_clause 0x1
	s_load_dwordx8 s[20:27], s[4:5], 0x20
	s_load_dword s16, s[4:5], 0x40
	s_waitcnt lgkmcnt(0)
	s_mul_hi_u32 s15, s10, s20
	s_add_i32 s15, s15, s10
	s_lshr_b32 s15, s15, s21
	s_mul_i32 s17, s15, s22
	s_sub_i32 s17, s10, s17
	s_mul_hi_u32 s18, s17, s23
	s_add_i32 s18, s17, s18
	s_lshr_b32 s21, s18, s24
	s_mul_i32 s18, s21, s25
	s_sub_i32 s17, s17, s18
	s_mul_hi_u32 s18, s17, s26
	s_add_i32 s18, s17, s18
	s_lshr_b32 s18, s18, s27
	s_mul_i32 s16, s18, s16
	s_lshl_b32 s22, s18, 1
	s_sub_i32 s16, s17, s16
	s_mul_hi_u32 s17, s16, s12
	s_add_i32 s16, s16, s17
	s_lshr_b32 s20, s16, s13
	s_lshl_b32 s16, s20, 1
	s_add_i32 s16, s16, s7
	s_cmp_lt_i32 s16, s0
	s_cselect_b32 s16, -1, 0
	s_add_i32 s22, s22, s8
	s_cmp_lt_i32 s22, s2
	s_cselect_b32 s17, -1, 0
	s_and_b32 s16, s16, s17
	s_andn2_b32 vcc_lo, exec_lo, s16
	s_cbranch_vccnz .LBB48_24
; %bb.8:
	s_load_dwordx4 s[16:19], s[4:5], 0x0
	s_mov_b32 s4, 0
	s_lshl_b32 s24, s9, 4
	s_mov_b32 s25, s4
	s_lshl_b32 s5, s7, 1
	s_lshl_b64 s[24:25], s[24:25], 2
	s_mul_i32 s21, s21, s2
	s_mul_i32 s0, s15, s0
	s_add_i32 s2, s5, s8
	v_cvt_f32_u32_e32 v3, s9
	v_rcp_iflag_f32_e32 v3, v3
	s_waitcnt lgkmcnt(0)
	s_add_u32 s8, s18, s24
	s_addc_u32 s15, s19, s25
	s_add_i32 s0, s0, s7
	s_add_i32 s5, s22, s21
	s_mul_i32 s0, s0, s1
	s_mul_i32 s1, s1, s20
	s_add_i32 s0, s5, s0
	s_mulk_i32 s1, 0x90
	s_mulk_i32 s0, 0x48
	v_mul_f32_e32 v7, 0x4f7ffffe, v3
	v_add3_u32 v1, s1, s0, v0
	s_lshl_b32 s0, s6, 2
	s_add_i32 s0, s2, s0
	v_ashrrev_i32_e32 v2, 31, v1
	s_ashr_i32 s1, s0, 31
	s_lshl_b64 s[0:1], s[0:1], 3
	v_lshlrev_b64 v[1:2], 2, v[1:2]
	s_add_u32 s0, s18, s0
	s_addc_u32 s1, s19, s1
	s_load_dwordx2 s[0:1], s[0:1], 0x0
	v_add_co_u32 v1, vcc_lo, s16, v1
	v_add_co_ci_u32_e64 v2, null, s17, v2, vcc_lo
	s_add_i32 s17, s6, -1
	v_mad_u64_u32 v[3:4], null, 0x48, s2, v[0:1]
	global_load_dword v5, v[1:2], off
	v_cvt_u32_f32_e32 v0, v7
	s_sub_i32 s16, 0, s9
	s_waitcnt lgkmcnt(0)
	v_mov_b32_e32 v4, s1
	v_mov_b32_e32 v6, s0
.LBB48_9:                               ; =>This Inner Loop Header: Depth=1
	s_mul_hi_i32 s5, s17, s3
	s_mul_i32 s6, s17, s3
	s_cmp_lg_u64 s[4:5], 0
	s_mov_b32 s7, -1
                                        ; implicit-def: $sgpr0_sgpr1
	s_cbranch_scc0 .LBB48_11
; %bb.10:                               ;   in Loop: Header=BB48_9 Depth=1
	s_add_u32 s0, s9, 0
	s_addc_u32 s1, 0, 0
	s_xor_b64 s[0:1], s[0:1], 0
	v_cvt_f32_u32_e32 v7, s0
	v_cvt_f32_u32_e32 v8, s1
	s_sub_u32 s21, 0, s0
	s_subb_u32 s22, 0, s1
	v_fmac_f32_e32 v7, 0x4f800000, v8
	v_rcp_f32_e32 v7, v7
	v_mul_f32_e32 v7, 0x5f7ffffc, v7
	v_mul_f32_e32 v8, 0x2f800000, v7
	v_trunc_f32_e32 v8, v8
	v_fmac_f32_e32 v7, 0xcf800000, v8
	v_cvt_u32_f32_e32 v8, v8
	v_cvt_u32_f32_e32 v7, v7
	v_readfirstlane_b32 s7, v8
	v_readfirstlane_b32 s20, v7
	s_mul_i32 s23, s21, s7
	s_mul_hi_u32 s25, s21, s20
	s_mul_i32 s24, s22, s20
	s_add_i32 s23, s25, s23
	s_mul_i32 s26, s21, s20
	s_add_i32 s23, s23, s24
	s_mul_hi_u32 s25, s20, s26
	s_mul_i32 s28, s20, s23
	s_mul_hi_u32 s27, s7, s26
	s_mul_i32 s24, s7, s26
	s_mul_hi_u32 s26, s20, s23
	s_add_u32 s25, s25, s28
	s_addc_u32 s26, 0, s26
	s_mul_hi_u32 s29, s7, s23
	s_add_u32 s24, s25, s24
	s_mul_i32 s23, s7, s23
	s_addc_u32 s24, s26, s27
	s_addc_u32 s25, s29, 0
	s_add_u32 s23, s24, s23
	s_addc_u32 s24, 0, s25
	s_add_u32 s20, s20, s23
	s_cselect_b32 s23, -1, 0
	s_mul_hi_u32 s25, s21, s20
	s_cmp_lg_u32 s23, 0
	s_mul_i32 s23, s21, s20
	s_addc_u32 s7, s7, s24
	s_mul_i32 s22, s22, s20
	s_mul_i32 s21, s21, s7
	s_mul_hi_u32 s24, s20, s23
	s_add_i32 s21, s25, s21
	s_mul_hi_u32 s25, s7, s23
	s_add_i32 s21, s21, s22
	s_mul_i32 s22, s7, s23
	s_mul_i32 s27, s20, s21
	s_mul_hi_u32 s26, s20, s21
	s_add_u32 s24, s24, s27
	s_addc_u32 s26, 0, s26
	s_mul_hi_u32 s23, s7, s21
	s_add_u32 s22, s24, s22
	s_mul_i32 s21, s7, s21
	s_addc_u32 s22, s26, s25
	s_addc_u32 s23, s23, 0
	s_add_u32 s21, s22, s21
	s_addc_u32 s22, 0, s23
	s_add_u32 s24, s20, s21
	s_cselect_b32 s20, -1, 0
	s_cmp_lg_u32 s20, 0
	s_addc_u32 s7, s7, s22
	s_ashr_i32 s20, s5, 31
	s_add_u32 s22, s6, s20
	s_mov_b32 s21, s20
	s_addc_u32 s23, s5, s20
	s_xor_b64 s[22:23], s[22:23], s[20:21]
	s_mul_i32 s25, s22, s7
	s_mul_hi_u32 s26, s22, s24
	s_mul_hi_u32 s5, s22, s7
	;; [unrolled: 1-line block ×3, first 2 shown]
	s_mul_i32 s24, s23, s24
	s_add_u32 s25, s26, s25
	s_addc_u32 s5, 0, s5
	s_mul_hi_u32 s27, s23, s7
	s_add_u32 s24, s25, s24
	s_mul_i32 s7, s23, s7
	s_addc_u32 s5, s5, s28
	s_addc_u32 s24, s27, 0
	s_add_u32 s5, s5, s7
	s_addc_u32 s7, 0, s24
	s_mul_hi_u32 s24, s0, s5
	s_mul_i32 s25, s0, s7
	s_mul_i32 s26, s1, s5
	s_add_i32 s24, s24, s25
	s_mul_i32 s25, s0, s5
	s_add_i32 s24, s24, s26
	s_sub_i32 s26, s23, s24
	s_sub_u32 s22, s22, s25
	s_cselect_b32 s25, -1, 0
	s_cmp_lg_u32 s25, 0
	s_subb_u32 s26, s26, s1
	s_sub_u32 s27, s22, s0
	s_cselect_b32 s28, -1, 0
	s_cmp_lg_u32 s28, 0
	s_subb_u32 s26, s26, 0
	s_cmp_ge_u32 s26, s1
	s_cselect_b32 s28, -1, 0
	s_cmp_ge_u32 s27, s0
	s_cselect_b32 s27, -1, 0
	s_cmp_eq_u32 s26, s1
	s_cselect_b32 s26, s27, s28
	s_add_u32 s27, s5, 1
	s_addc_u32 s28, s7, 0
	s_add_u32 s29, s5, 2
	s_addc_u32 s30, s7, 0
	s_cmp_lg_u32 s26, 0
	s_cselect_b32 s26, s29, s27
	s_cselect_b32 s27, s30, s28
	s_cmp_lg_u32 s25, 0
	s_subb_u32 s23, s23, s24
	s_cmp_ge_u32 s23, s1
	s_cselect_b32 s24, -1, 0
	s_cmp_ge_u32 s22, s0
	s_cselect_b32 s0, -1, 0
	s_cmp_eq_u32 s23, s1
	s_cselect_b32 s0, s0, s24
	s_cmp_lg_u32 s0, 0
	s_cselect_b32 s1, s27, s7
	s_cselect_b32 s0, s26, s5
	s_xor_b64 s[20:21], s[20:21], 0
	s_mov_b32 s7, 0
	s_xor_b64 s[0:1], s[0:1], s[20:21]
	s_sub_u32 s0, s0, s20
.LBB48_11:                              ;   in Loop: Header=BB48_9 Depth=1
	s_andn2_b32 vcc_lo, exec_lo, s7
	s_cbranch_vccnz .LBB48_13
; %bb.12:                               ;   in Loop: Header=BB48_9 Depth=1
	v_readfirstlane_b32 s0, v0
	s_mul_i32 s1, s16, s0
	s_mul_hi_u32 s1, s0, s1
	s_add_i32 s0, s0, s1
	s_mul_hi_u32 s0, s6, s0
	s_mul_i32 s1, s0, s9
	s_add_i32 s5, s0, 1
	s_sub_i32 s1, s6, s1
	s_sub_i32 s6, s1, s9
	s_cmp_ge_u32 s1, s9
	s_cselect_b32 s0, s5, s0
	s_cselect_b32 s1, s6, s1
	s_add_i32 s5, s0, 1
	s_cmp_ge_u32 s1, s9
	s_cselect_b32 s0, s5, s0
.LBB48_13:                              ;   in Loop: Header=BB48_9 Depth=1
	s_cmp_lg_u32 s10, s0
	s_mov_b32 s6, -1
                                        ; implicit-def: $sgpr5
                                        ; implicit-def: $vgpr8
                                        ; implicit-def: $vgpr7
                                        ; implicit-def: $vgpr9
                                        ; implicit-def: $sgpr1
                                        ; implicit-def: $sgpr20
	s_cbranch_scc0 .LBB48_18
; %bb.14:                               ;   in Loop: Header=BB48_9 Depth=1
	s_add_i32 s1, s17, s9
	s_mov_b32 s7, s4
	s_lshl_b32 s1, s1, 2
	s_mov_b32 s20, s10
	s_add_i32 s6, s1, s2
	s_mul_hi_u32 s1, s0, s12
	s_lshl_b64 s[6:7], s[6:7], 3
	s_add_u32 s6, s18, s6
	s_addc_u32 s7, s19, s7
	s_add_i32 s1, s1, s0
	s_lshr_b32 s1, s1, s13
	s_mul_i32 s5, s1, s14
	s_cmp_eq_u32 s5, s0
	s_cselect_b32 s5, -1, 0
	s_cmp_lt_u32 s1, s11
	s_cselect_b32 s1, -1, 0
	s_or_b32 s1, s1, s5
	s_mov_b32 s5, -1
	s_and_b32 vcc_lo, exec_lo, s1
	s_mov_b32 s1, s17
	s_cbranch_vccnz .LBB48_16
; %bb.15:                               ;   in Loop: Header=BB48_9 Depth=1
	s_add_i32 s1, s17, -1
	s_mov_b32 s5, 0
	s_mov_b32 s20, s0
.LBB48_16:                              ;   in Loop: Header=BB48_9 Depth=1
	v_mad_u64_u32 v[7:8], null, 0x120, s17, v[3:4]
	s_load_dwordx2 s[6:7], s[6:7], 0x0
	v_ashrrev_i32_e32 v8, 31, v7
	v_lshlrev_b64 v[7:8], 2, v[7:8]
	v_add_co_u32 v7, vcc_lo, s8, v7
	v_add_co_ci_u32_e64 v8, null, s15, v8, vcc_lo
	s_waitcnt lgkmcnt(0)
	v_max_f32_e64 v9, s6, s6
	global_load_dword v8, v[7:8], off
	v_max_f32_e32 v7, v6, v6
	v_max_f32_e32 v7, v7, v9
	v_sub_f32_e32 v9, s6, v7
	v_sub_f32_e32 v10, v6, v7
	v_mul_f32_e32 v11, 0x3fb8aa3b, v9
	v_mul_f32_e32 v12, 0x3fb8aa3b, v10
	v_cmp_ngt_f32_e32 vcc_lo, 0xc2ce8ed0, v9
	v_fma_f32 v13, 0x3fb8aa3b, v9, -v11
	v_rndne_f32_e32 v14, v11
	v_fma_f32 v15, 0x3fb8aa3b, v10, -v12
	v_rndne_f32_e32 v16, v12
	v_fmac_f32_e32 v13, 0x32a5705f, v9
	v_sub_f32_e32 v11, v11, v14
	v_fmac_f32_e32 v15, 0x32a5705f, v10
	v_sub_f32_e32 v12, v12, v16
	v_add_f32_e32 v11, v11, v13
	v_cvt_i32_f32_e32 v13, v14
	v_add_f32_e32 v12, v12, v15
	v_cvt_i32_f32_e32 v14, v16
	v_exp_f32_e32 v11, v11
	v_exp_f32_e32 v12, v12
	v_ldexp_f32 v11, v11, v13
	v_ldexp_f32 v12, v12, v14
	v_cndmask_b32_e32 v11, 0, v11, vcc_lo
	v_cmp_ngt_f32_e32 vcc_lo, 0xc2ce8ed0, v10
	v_cndmask_b32_e32 v12, 0, v12, vcc_lo
	v_cmp_nlt_f32_e32 vcc_lo, 0x42b17218, v9
	v_cndmask_b32_e32 v11, 0x7f800000, v11, vcc_lo
	v_cmp_nlt_f32_e32 vcc_lo, 0x42b17218, v10
	v_cndmask_b32_e32 v12, 0x7f800000, v12, vcc_lo
	v_cmp_le_f32_e32 vcc_lo, 0xc1a00000, v9
	v_cndmask_b32_e32 v9, 0, v11, vcc_lo
	v_cmp_le_f32_e32 vcc_lo, 0xc1a00000, v10
	v_cndmask_b32_e32 v10, 0, v12, vcc_lo
	s_waitcnt vmcnt(0)
	v_mul_f32_e32 v8, v8, v9
	v_mul_f32_e32 v9, s7, v9
	v_fmac_f32_e32 v8, v5, v10
	v_fmac_f32_e32 v9, v4, v10
	s_cbranch_execz .LBB48_19
.LBB48_17:                              ;   in Loop: Header=BB48_9 Depth=1
	s_andn2_b32 vcc_lo, exec_lo, s5
	s_cbranch_vccnz .LBB48_20
	s_branch .LBB48_23
.LBB48_18:                              ;   in Loop: Header=BB48_9 Depth=1
	s_andn2_b32 vcc_lo, exec_lo, s6
	s_cbranch_vccnz .LBB48_17
.LBB48_19:                              ;   in Loop: Header=BB48_9 Depth=1
	v_mov_b32_e32 v9, v4
	v_mov_b32_e32 v7, v6
	s_waitcnt vmcnt(0)
	v_mov_b32_e32 v8, v5
	s_add_i32 s1, s17, -1
	s_mov_b32 s20, s10
	s_cbranch_execz .LBB48_23
.LBB48_20:                              ;   in Loop: Header=BB48_9 Depth=1
	v_mov_b32_e32 v4, v9
	v_mov_b32_e32 v6, v7
	s_waitcnt vmcnt(0)
	v_mov_b32_e32 v5, v8
	s_mov_b32 s10, s20
	s_mov_b32 s17, s1
	s_branch .LBB48_9
.LBB48_21:
                                        ; implicit-def: $sgpr10_sgpr11
	s_load_dwordx4 s[12:15], s[4:5], 0x44
	s_branch .LBB48_2
.LBB48_22:
                                        ; implicit-def: $sgpr18_sgpr19
	s_branch .LBB48_5
.LBB48_23:
	v_div_scale_f32 v0, null, v9, v9, v8
	v_rcp_f32_e32 v3, v0
	v_fma_f32 v4, -v0, v3, 1.0
	v_fmac_f32_e32 v3, v4, v3
	v_div_scale_f32 v4, vcc_lo, v8, v9, v8
	s_waitcnt vmcnt(0)
	v_mul_f32_e32 v5, v4, v3
	v_fma_f32 v6, -v0, v5, v4
	v_fmac_f32_e32 v5, v6, v3
	v_fma_f32 v0, -v0, v5, v4
	v_div_fmas_f32 v0, v0, v3, v5
	v_div_fixup_f32 v0, v0, v9, v8
	global_store_dword v[1:2], v0, off
.LBB48_24:
	s_endpgm
	.section	.rodata,"a",@progbits
	.p2align	6, 0x0
	.amdhsa_kernel _ZL33flash_attn_stream_k_fixup_generalILi72ELi2ELi2EEvPfPK15HIP_vector_typeIfLj2EEiiiiS1_IjLj3EES5_S5_S5_
		.amdhsa_group_segment_fixed_size 0
		.amdhsa_private_segment_fixed_size 0
		.amdhsa_kernarg_size 336
		.amdhsa_user_sgpr_count 6
		.amdhsa_user_sgpr_private_segment_buffer 1
		.amdhsa_user_sgpr_dispatch_ptr 0
		.amdhsa_user_sgpr_queue_ptr 0
		.amdhsa_user_sgpr_kernarg_segment_ptr 1
		.amdhsa_user_sgpr_dispatch_id 0
		.amdhsa_user_sgpr_flat_scratch_init 0
		.amdhsa_user_sgpr_private_segment_size 0
		.amdhsa_wavefront_size32 1
		.amdhsa_uses_dynamic_stack 0
		.amdhsa_system_sgpr_private_segment_wavefront_offset 0
		.amdhsa_system_sgpr_workgroup_id_x 1
		.amdhsa_system_sgpr_workgroup_id_y 1
		.amdhsa_system_sgpr_workgroup_id_z 1
		.amdhsa_system_sgpr_workgroup_info 0
		.amdhsa_system_vgpr_workitem_id 0
		.amdhsa_next_free_vgpr 17
		.amdhsa_next_free_sgpr 31
		.amdhsa_reserve_vcc 1
		.amdhsa_reserve_flat_scratch 0
		.amdhsa_float_round_mode_32 0
		.amdhsa_float_round_mode_16_64 0
		.amdhsa_float_denorm_mode_32 3
		.amdhsa_float_denorm_mode_16_64 3
		.amdhsa_dx10_clamp 1
		.amdhsa_ieee_mode 1
		.amdhsa_fp16_overflow 0
		.amdhsa_workgroup_processor_mode 1
		.amdhsa_memory_ordered 1
		.amdhsa_forward_progress 1
		.amdhsa_shared_vgpr_count 0
		.amdhsa_exception_fp_ieee_invalid_op 0
		.amdhsa_exception_fp_denorm_src 0
		.amdhsa_exception_fp_ieee_div_zero 0
		.amdhsa_exception_fp_ieee_overflow 0
		.amdhsa_exception_fp_ieee_underflow 0
		.amdhsa_exception_fp_ieee_inexact 0
		.amdhsa_exception_int_div_zero 0
	.end_amdhsa_kernel
	.section	.text._ZL33flash_attn_stream_k_fixup_generalILi72ELi2ELi2EEvPfPK15HIP_vector_typeIfLj2EEiiiiS1_IjLj3EES5_S5_S5_,"axG",@progbits,_ZL33flash_attn_stream_k_fixup_generalILi72ELi2ELi2EEvPfPK15HIP_vector_typeIfLj2EEiiiiS1_IjLj3EES5_S5_S5_,comdat
.Lfunc_end48:
	.size	_ZL33flash_attn_stream_k_fixup_generalILi72ELi2ELi2EEvPfPK15HIP_vector_typeIfLj2EEiiiiS1_IjLj3EES5_S5_S5_, .Lfunc_end48-_ZL33flash_attn_stream_k_fixup_generalILi72ELi2ELi2EEvPfPK15HIP_vector_typeIfLj2EEiiiiS1_IjLj3EES5_S5_S5_
                                        ; -- End function
	.set _ZL33flash_attn_stream_k_fixup_generalILi72ELi2ELi2EEvPfPK15HIP_vector_typeIfLj2EEiiiiS1_IjLj3EES5_S5_S5_.num_vgpr, 17
	.set _ZL33flash_attn_stream_k_fixup_generalILi72ELi2ELi2EEvPfPK15HIP_vector_typeIfLj2EEiiiiS1_IjLj3EES5_S5_S5_.num_agpr, 0
	.set _ZL33flash_attn_stream_k_fixup_generalILi72ELi2ELi2EEvPfPK15HIP_vector_typeIfLj2EEiiiiS1_IjLj3EES5_S5_S5_.numbered_sgpr, 31
	.set _ZL33flash_attn_stream_k_fixup_generalILi72ELi2ELi2EEvPfPK15HIP_vector_typeIfLj2EEiiiiS1_IjLj3EES5_S5_S5_.num_named_barrier, 0
	.set _ZL33flash_attn_stream_k_fixup_generalILi72ELi2ELi2EEvPfPK15HIP_vector_typeIfLj2EEiiiiS1_IjLj3EES5_S5_S5_.private_seg_size, 0
	.set _ZL33flash_attn_stream_k_fixup_generalILi72ELi2ELi2EEvPfPK15HIP_vector_typeIfLj2EEiiiiS1_IjLj3EES5_S5_S5_.uses_vcc, 1
	.set _ZL33flash_attn_stream_k_fixup_generalILi72ELi2ELi2EEvPfPK15HIP_vector_typeIfLj2EEiiiiS1_IjLj3EES5_S5_S5_.uses_flat_scratch, 0
	.set _ZL33flash_attn_stream_k_fixup_generalILi72ELi2ELi2EEvPfPK15HIP_vector_typeIfLj2EEiiiiS1_IjLj3EES5_S5_S5_.has_dyn_sized_stack, 0
	.set _ZL33flash_attn_stream_k_fixup_generalILi72ELi2ELi2EEvPfPK15HIP_vector_typeIfLj2EEiiiiS1_IjLj3EES5_S5_S5_.has_recursion, 0
	.set _ZL33flash_attn_stream_k_fixup_generalILi72ELi2ELi2EEvPfPK15HIP_vector_typeIfLj2EEiiiiS1_IjLj3EES5_S5_S5_.has_indirect_call, 0
	.section	.AMDGPU.csdata,"",@progbits
; Kernel info:
; codeLenInByte = 2948
; TotalNumSgprs: 33
; NumVgprs: 17
; ScratchSize: 0
; MemoryBound: 0
; FloatMode: 240
; IeeeMode: 1
; LDSByteSize: 0 bytes/workgroup (compile time only)
; SGPRBlocks: 0
; VGPRBlocks: 2
; NumSGPRsForWavesPerEU: 33
; NumVGPRsForWavesPerEU: 17
; Occupancy: 16
; WaveLimiterHint : 0
; COMPUTE_PGM_RSRC2:SCRATCH_EN: 0
; COMPUTE_PGM_RSRC2:USER_SGPR: 6
; COMPUTE_PGM_RSRC2:TRAP_HANDLER: 0
; COMPUTE_PGM_RSRC2:TGID_X_EN: 1
; COMPUTE_PGM_RSRC2:TGID_Y_EN: 1
; COMPUTE_PGM_RSRC2:TGID_Z_EN: 1
; COMPUTE_PGM_RSRC2:TIDIG_COMP_CNT: 0
	.section	.text._ZL15flash_attn_tileILi72ELi72ELi1ELi2ELb0EEvPKcS1_S1_S1_S1_PKiPfP15HIP_vector_typeIfLj2EEffffjfiS5_IjLj3EEiiiiiiiiiiiliiliiiiil,"axG",@progbits,_ZL15flash_attn_tileILi72ELi72ELi1ELi2ELb0EEvPKcS1_S1_S1_S1_PKiPfP15HIP_vector_typeIfLj2EEffffjfiS5_IjLj3EEiiiiiiiiiiiliiliiiiil,comdat
	.globl	_ZL15flash_attn_tileILi72ELi72ELi1ELi2ELb0EEvPKcS1_S1_S1_S1_PKiPfP15HIP_vector_typeIfLj2EEffffjfiS5_IjLj3EEiiiiiiiiiiiliiliiiiil ; -- Begin function _ZL15flash_attn_tileILi72ELi72ELi1ELi2ELb0EEvPKcS1_S1_S1_S1_PKiPfP15HIP_vector_typeIfLj2EEffffjfiS5_IjLj3EEiiiiiiiiiiiliiliiiiil
	.p2align	8
	.type	_ZL15flash_attn_tileILi72ELi72ELi1ELi2ELb0EEvPKcS1_S1_S1_S1_PKiPfP15HIP_vector_typeIfLj2EEffffjfiS5_IjLj3EEiiiiiiiiiiiliiliiiiil,@function
_ZL15flash_attn_tileILi72ELi72ELi1ELi2ELb0EEvPKcS1_S1_S1_S1_PKiPfP15HIP_vector_typeIfLj2EEffffjfiS5_IjLj3EEiiiiiiiiiiiliiliiiiil: ; @_ZL15flash_attn_tileILi72ELi72ELi1ELi2ELb0EEvPKcS1_S1_S1_S1_PKiPfP15HIP_vector_typeIfLj2EEffffjfiS5_IjLj3EEiiiiiiiiiiiliiliiiiil
; %bb.0:
	s_clause 0x1
	s_load_dwordx4 s[24:27], s[4:5], 0x5c
	s_load_dwordx2 s[34:35], s[4:5], 0x80
	s_mov_b32 s2, s7
	s_mov_b64 s[36:37], 0
	s_waitcnt lgkmcnt(0)
	s_lshr_b32 s0, s27, 31
	s_add_i32 s0, s27, s0
	s_ashr_i32 s0, s0, 1
	v_cvt_f32_u32_e32 v2, s0
	s_sub_i32 s3, 0, s0
	v_rcp_iflag_f32_e32 v2, v2
	v_mul_f32_e32 v2, 0x4f7ffffe, v2
	v_cvt_u32_f32_e32 v2, v2
	v_readfirstlane_b32 s1, v2
	s_mul_i32 s3, s3, s1
	s_mul_hi_u32 s3, s1, s3
	s_add_i32 s1, s1, s3
	s_mul_hi_u32 s1, s8, s1
	s_mul_i32 s3, s1, s0
	s_add_i32 s7, s1, 1
	s_sub_i32 s3, s8, s3
	s_sub_i32 s9, s3, s0
	s_cmp_ge_u32 s3, s0
	s_cselect_b32 s1, s7, s1
	s_cselect_b32 s3, s9, s3
	s_add_i32 s7, s1, 1
	s_cmp_ge_u32 s3, s0
	s_cselect_b32 s3, s7, s1
	s_abs_i32 s0, s35
	s_abs_i32 s9, s27
	v_cvt_f32_u32_e32 v2, s0
	s_sub_i32 s7, 0, s0
	s_mul_i32 s28, s3, s27
	v_rcp_iflag_f32_e32 v2, v2
	v_mul_f32_e32 v2, 0x4f7ffffe, v2
	v_cvt_u32_f32_e32 v2, v2
	v_readfirstlane_b32 s1, v2
	s_mul_i32 s7, s7, s1
	s_mul_hi_u32 s7, s1, s7
	s_add_i32 s1, s1, s7
	s_lshl_b32 s7, s8, 1
	s_mul_hi_u32 s1, s9, s1
	s_xor_b32 s8, s27, s35
	s_mul_i32 s10, s1, s0
	s_ashr_i32 s8, s8, 31
	s_sub_i32 s9, s9, s10
	s_add_i32 s10, s1, 1
	s_sub_i32 s11, s9, s0
	s_cmp_ge_u32 s9, s0
	s_cselect_b32 s1, s10, s1
	s_cselect_b32 s9, s11, s9
	s_add_i32 s10, s1, 1
	s_cmp_ge_u32 s9, s0
	s_cselect_b32 s0, s10, s1
	s_xor_b32 s0, s0, s8
	s_sub_i32 s35, s0, s8
	s_clause 0x1
	s_load_dwordx16 s[8:23], s[4:5], 0x0
	s_load_dwordx2 s[0:1], s[4:5], 0xb8
	s_abs_i32 s33, s35
	v_cvt_f32_u32_e32 v2, s33
	v_rcp_iflag_f32_e32 v2, v2
	v_mul_f32_e32 v2, 0x4f7ffffe, v2
	s_waitcnt lgkmcnt(0)
	s_cmp_eq_u64 s[14:15], 0
	v_cvt_u32_f32_e32 v2, v2
	v_readfirstlane_b32 s38, v2
	s_cbranch_scc1 .LBB49_2
; %bb.1:
	s_abs_i32 s0, s0
	s_abs_i32 s36, s3
	v_cvt_f32_u32_e32 v2, s0
	s_sub_i32 s30, 0, s0
	v_rcp_iflag_f32_e32 v2, v2
	v_mul_f32_e32 v2, 0x4f7ffffe, v2
	v_cvt_u32_f32_e32 v2, v2
	v_readfirstlane_b32 s29, v2
	s_mul_i32 s30, s30, s29
	s_mul_hi_u32 s30, s29, s30
	s_add_i32 s29, s29, s30
	s_load_dwordx2 s[30:31], s[4:5], 0xc8
	s_mul_hi_u32 s29, s36, s29
	s_mul_i32 s29, s29, s0
	s_sub_i32 s29, s36, s29
	s_ashr_i32 s36, s3, 31
	s_sub_i32 s37, s29, s0
	s_cmp_ge_u32 s29, s0
	s_cselect_b32 s29, s37, s29
	s_sub_i32 s37, s29, s0
	s_cmp_ge_u32 s29, s0
	s_cselect_b32 s0, s37, s29
	s_xor_b32 s0, s0, s36
	s_sub_i32 s0, s0, s36
	s_ashr_i32 s29, s0, 31
	s_waitcnt lgkmcnt(0)
	s_mul_hi_u32 s36, s30, s0
	s_mul_i32 s29, s30, s29
	s_mul_i32 s31, s31, s0
	s_add_i32 s29, s36, s29
	s_mul_i32 s0, s30, s0
	s_add_i32 s29, s29, s31
	s_add_u32 s36, s14, s0
	s_addc_u32 s37, s15, s29
.LBB49_2:
	s_movk_i32 s14, 0x90
	v_cmp_gt_u32_e64 s0, 18, v0
	v_mad_u32_u24 v25, v1, s14, 0x14e0
	v_lshlrev_b32_e32 v26, 3, v0
	v_and_b32_e32 v23, 1, v1
	v_lshrrev_b32_e32 v24, 1, v1
	s_sub_i32 s7, s7, s28
	s_and_saveexec_b32 s14, s0
	s_cbranch_execz .LBB49_4
; %bb.3:
	v_add_nc_u32_e32 v2, s6, v24
	s_load_dwordx4 s[28:31], s[4:5], 0x70
	v_lshlrev_b32_e32 v6, 4, v0
	v_mul_hi_u32 v3, s24, v2
	v_add_nc_u32_e32 v3, v2, v3
	v_lshrrev_b32_e32 v3, s25, v3
	s_waitcnt lgkmcnt(0)
	s_mul_i32 s15, s3, s30
	s_mul_i32 s31, s7, s29
	v_mul_lo_u32 v3, v3, s26
	s_ashr_i32 s39, s15, 31
	s_add_u32 s8, s8, s15
	s_addc_u32 s9, s9, s39
	s_ashr_i32 s15, s31, 31
	s_add_u32 s39, s8, s31
	s_mov_b32 s30, s29
	s_addc_u32 s15, s9, s15
	v_sub_nc_u32_e32 v4, v2, v3
	s_ashr_i32 s31, s29, 31
	s_ashr_i32 s29, s28, 31
	s_lshr_b64 s[8:9], s[28:29], 2
	s_lshr_b32 s28, s29, 2
	v_mad_u64_u32 v[2:3], null, s8, v4, 0
	s_lshr_b64 s[8:9], s[30:31], 2
	s_lshr_b32 s9, s31, 2
	v_mul_lo_u32 v5, s9, v23
	v_mad_u64_u32 v[3:4], null, s28, v4, v[3:4]
	v_mul_lo_u32 v4, s8, v23
	s_load_dword s8, s[4:5], 0x40
	v_lshlrev_b64 v[2:3], 2, v[2:3]
	v_lshlrev_b64 v[4:5], 2, v[4:5]
	v_add_co_u32 v4, vcc_lo, s39, v4
	v_add_co_ci_u32_e64 v5, null, s15, v5, vcc_lo
	v_add_co_u32 v2, vcc_lo, v4, v2
	v_add_co_ci_u32_e64 v3, null, v5, v3, vcc_lo
	;; [unrolled: 2-line block ×3, first 2 shown]
	v_add_nc_u32_e32 v6, v25, v26
	global_load_dwordx4 v[2:5], v[2:3], off
	s_waitcnt vmcnt(0) lgkmcnt(0)
	v_fma_mixlo_f16 v3, s8, v3, 0
	v_fma_mixlo_f16 v2, s8, v2, 0
	;; [unrolled: 1-line block ×4, first 2 shown]
	v_lshlrev_b32_e32 v3, 16, v3
	v_and_b32_e32 v2, 0xffff, v2
	v_and_b32_e32 v4, 0xffff, v4
	v_lshlrev_b32_e32 v5, 16, v5
	v_or_b32_e32 v2, v3, v2
	v_or3_b32 v3, v5, v4, 0
	v_or3_b32 v2, 0, 0, v2
	ds_write_b64 v6, v[2:3]
.LBB49_4:
	s_or_b32 exec_lo, exec_lo, s14
	s_cmp_eq_u64 s[18:19], 0
	s_waitcnt lgkmcnt(0)
	s_barrier
	buffer_gl0_inv
	s_cbranch_scc1 .LBB49_6
; %bb.5:
	s_load_dword s8, s[4:5], 0xd0
	s_mov_b32 s9, 0
	s_waitcnt lgkmcnt(0)
	s_mul_i32 s8, s8, s3
	s_add_i32 s8, s8, s6
	s_lshl_b64 s[8:9], s[8:9], 2
	s_add_u32 s8, s18, s8
	s_addc_u32 s9, s19, s9
	s_load_dword s34, s[8:9], 0x0
.LBB49_6:
	v_mbcnt_lo_u32_b32 v27, -1, 0
	s_lshl_b32 s14, s2, 5
	s_waitcnt lgkmcnt(0)
	s_cmp_lt_i32 s14, s34
	s_cbranch_scc1 .LBB49_9
; %bb.7:
	v_mbcnt_lo_u32_b32 v2, -1, 0
	v_mov_b32_e32 v28, 32
	v_xor_b32_e32 v34, 16, v2
	v_xor_b32_e32 v32, 8, v2
	;; [unrolled: 1-line block ×5, first 2 shown]
	s_cbranch_execz .LBB49_10
; %bb.8:
	v_mov_b32_e32 v50, 0
	v_mov_b32_e32 v52, 0
	v_mov_b32_e32 v22, 0xfeffffff
	v_mov_b32_e32 v36, 0
	s_branch .LBB49_18
.LBB49_9:
                                        ; implicit-def: $vgpr2
                                        ; implicit-def: $vgpr28
                                        ; implicit-def: $vgpr34
                                        ; implicit-def: $vgpr32
                                        ; implicit-def: $vgpr31
                                        ; implicit-def: $vgpr30
                                        ; implicit-def: $vgpr29
.LBB49_10:
	s_clause 0x1
	s_load_dwordx4 s[28:31], s[4:5], 0x98
	s_load_dwordx2 s[8:9], s[4:5], 0x8c
	s_sub_i32 s15, 0, s33
	v_lshrrev_b32_e32 v2, 3, v0
	s_mul_i32 s15, s15, s38
	s_ashr_i32 s42, s3, 31
	s_mul_hi_u32 s15, s38, s15
	s_abs_i32 s19, s7
	s_add_i32 s38, s38, s15
	v_lshl_add_u32 v22, v1, 2, v2
	v_add_nc_u32_e32 v2, s6, v24
	s_mul_hi_u32 s38, s19, s38
	s_ashr_i32 s39, s7, 31
	s_ashr_i32 s35, s35, 31
	s_load_dwordx2 s[40:41], s[4:5], 0xa8
	s_ashr_i32 s1, s1, 1
	s_mul_i32 s43, s38, s33
	v_mul_hi_u32 v5, s24, v2
	v_add_nc_u32_e32 v15, 24, v22
	v_lshlrev_b32_e32 v3, 2, v0
	s_waitcnt lgkmcnt(0)
	s_ashr_i32 s15, s30, 2
	s_ashr_i32 s18, s8, 2
	s_mul_hi_u32 s8, s28, s3
	s_mul_i32 s30, s28, s42
	s_mul_i32 s29, s29, s3
	s_add_i32 s8, s8, s30
	s_mul_i32 s28, s28, s3
	s_add_i32 s8, s8, s29
	s_add_u32 s10, s10, s28
	s_addc_u32 s8, s11, s8
	s_sub_i32 s19, s19, s43
	s_xor_b32 s11, s39, s35
	s_add_i32 s28, s38, 1
	s_sub_i32 s29, s19, s33
	s_cmp_ge_u32 s19, s33
	v_add_nc_u32_e32 v7, v2, v5
	s_cselect_b32 s28, s28, s38
	s_cselect_b32 s19, s29, s19
	s_add_i32 s29, s28, 1
	s_cmp_ge_u32 s19, s33
	v_lshrrev_b32_e32 v9, s25, v7
	s_cselect_b32 s19, s29, s28
	s_mul_hi_u32 s28, s40, s3
	s_xor_b32 s19, s19, s11
	s_mul_i32 s29, s40, s42
	s_sub_i32 s19, s19, s11
	v_mul_lo_u32 v14, v9, s26
	s_mul_i32 s9, s19, s9
	s_mul_i32 s30, s41, s3
	s_ashr_i32 s11, s9, 31
	s_add_u32 s10, s10, s9
	s_addc_u32 s11, s8, s11
	s_add_i32 s8, s28, s29
	v_mul_lo_u32 v4, s18, v22
	s_mul_i32 s33, s40, s3
	s_mul_i32 s19, s19, s31
	s_add_i32 s8, s8, s30
	s_add_u32 s9, s12, s33
	s_addc_u32 s8, s13, s8
	s_ashr_i32 s13, s19, 31
	s_add_u32 s12, s9, s19
	v_sub_nc_u32_e32 v2, v2, v14
	v_mul_lo_u32 v14, s15, v15
	s_addc_u32 s13, s8, s13
	s_lshl_b32 s8, s18, 3
	v_and_b32_e32 v28, 28, v3
	v_add_nc_u32_e32 v6, s8, v4
	v_lshl_add_u32 v3, v1, 5, v0
	v_lshl_add_u32 v40, v1, 6, 0x1600
	v_mad_u64_u32 v[1:2], null, v2, s1, v[0:1]
	s_lshl_b32 s1, s15, 3
	v_add_nc_u32_e32 v8, s8, v6
	v_subrev_nc_u32_e32 v18, s1, v14
	v_mul_lo_u32 v10, s18, v3
	v_mul_lo_u32 v16, s15, v3
	;; [unrolled: 1-line block ×3, first 2 shown]
	v_lshlrev_b32_e32 v29, 2, v28
	v_add_nc_u32_e32 v12, s8, v8
	v_subrev_nc_u32_e32 v49, s1, v18
	v_ashrrev_i32_e32 v5, 31, v4
	v_ashrrev_i32_e32 v7, 31, v6
	;; [unrolled: 1-line block ×6, first 2 shown]
	v_mad_u32_u24 v43, 0x90, v15, v29
	v_ashrrev_i32_e32 v15, 31, v14
	v_ashrrev_i32_e32 v19, 31, v18
	;; [unrolled: 1-line block ×4, first 2 shown]
	v_mad_u32_u24 v33, 0xa0, v22, v29
	s_movk_i32 s8, 0x80
	v_cmp_gt_u32_e32 vcc_lo, 32, v3
	v_mad_u32_u24 v41, 0xa0, v3, s8
	s_movk_i32 s8, 0x90
	v_lshlrev_b64 v[4:5], 2, v[4:5]
	v_mad_u32_u24 v44, v3, s8, 0x80
	v_lshlrev_b64 v[2:3], 2, v[10:11]
	v_lshlrev_b64 v[6:7], 2, v[6:7]
	;; [unrolled: 1-line block ×9, first 2 shown]
	v_mov_b32_e32 v36, 0
	v_add_nc_u32_e32 v35, 0x500, v33
	v_add_nc_u32_e32 v37, 0xa00, v33
	;; [unrolled: 1-line block ×3, first 2 shown]
	v_mul_u32_u24_e32 v39, 0xa0, v0
	v_lshl_add_u32 v42, v0, 1, v40
	v_add_nc_u32_e32 v45, 0xfffffb80, v43
	v_add_nc_u32_e32 v46, 0xfffff700, v43
	v_mad_u32_u24 v47, 0x90, v22, v29
	v_mov_b32_e32 v53, 0xfeffffff
	v_lshlrev_b32_e32 v48, 2, v28
	v_mov_b32_e32 v28, 32
	v_xor_b32_e32 v34, 16, v27
	v_xor_b32_e32 v32, 8, v27
	v_xor_b32_e32 v31, 4, v27
	v_xor_b32_e32 v30, 2, v27
	v_xor_b32_e32 v29, 1, v27
	v_mov_b32_e32 v49, 0x10001
	v_mov_b32_e32 v50, 0
	;; [unrolled: 1-line block ×3, first 2 shown]
	s_add_u32 s8, s4, 0xd0
	s_addc_u32 s9, s5, 0
.LBB49_11:                              ; =>This Inner Loop Header: Depth=1
	s_mul_hi_i32 s25, s14, s18
	s_mul_i32 s24, s14, s18
	s_lshl_b64 s[24:25], s[24:25], 2
	s_add_u32 s19, s10, s24
	s_addc_u32 s24, s11, s25
	s_and_saveexec_b32 s25, vcc_lo
	s_cbranch_execz .LBB49_13
; %bb.12:                               ;   in Loop: Header=BB49_11 Depth=1
	v_add_co_u32 v54, s1, s19, v2
	v_add_co_ci_u32_e64 v55, null, s24, v3, s1
	global_load_dwordx4 v[54:57], v[54:55], off offset:128
	s_waitcnt vmcnt(0)
	ds_write_b128 v41, v[54:57]
.LBB49_13:                              ;   in Loop: Header=BB49_11 Depth=1
	s_or_b32 exec_lo, exec_lo, s25
	v_add_co_u32 v22, s1, s19, v4
	v_add_co_ci_u32_e64 v52, null, s24, v5, s1
	v_add_co_u32 v56, s1, s19, v6
	v_add_co_ci_u32_e64 v57, null, s24, v7, s1
	;; [unrolled: 2-line block ×8, first 2 shown]
	s_clause 0x3
	global_load_dwordx4 v[54:57], v[54:55], off
	global_load_dwordx4 v[58:61], v[58:59], off
	;; [unrolled: 1-line block ×4, first 2 shown]
	v_mov_b32_e32 v22, 0
	s_mul_hi_i32 s25, s14, s15
	s_mul_i32 s24, s14, s15
	s_waitcnt vmcnt(3)
	ds_write_b128 v33, v[54:57]
	s_waitcnt vmcnt(2)
	ds_write_b128 v35, v[58:61]
	s_waitcnt vmcnt(1)
	ds_write_b128 v37, v[62:65]
	s_waitcnt vmcnt(0)
	ds_write_b128 v38, v[66:69]
	s_waitcnt lgkmcnt(0)
	s_barrier
	buffer_gl0_inv
	ds_read_b128 v[54:57], v39
	ds_read_b128 v[58:61], v25
	v_add_nc_u32_e32 v62, s14, v1
	s_lshl_b64 s[24:25], s[24:25], 2
	s_waitcnt lgkmcnt(0)
	;;#ASMSTART
	v_dot2_f32_f16 v22, v54, v58, v22
	;;#ASMEND
	;;#ASMSTART
	v_dot2_f32_f16 v22, v55, v59, v22
	;;#ASMEND
	;; [unrolled: 3-line block ×4, first 2 shown]
	ds_read_b128 v[54:57], v39 offset:16
	ds_read_b128 v[58:61], v25 offset:16
	v_ashrrev_i32_e32 v63, 31, v62
	s_add_u32 s19, s12, s24
	s_waitcnt lgkmcnt(0)
	;;#ASMSTART
	v_dot2_f32_f16 v22, v54, v58, v22
	;;#ASMEND
	;;#ASMSTART
	v_dot2_f32_f16 v22, v55, v59, v22
	;;#ASMEND
	;; [unrolled: 3-line block ×4, first 2 shown]
	ds_read_b128 v[54:57], v39 offset:32
	ds_read_b128 v[58:61], v25 offset:32
	v_lshlrev_b64 v[62:63], 1, v[62:63]
	s_waitcnt lgkmcnt(0)
	;;#ASMSTART
	v_dot2_f32_f16 v22, v54, v58, v22
	;;#ASMEND
	;;#ASMSTART
	v_dot2_f32_f16 v22, v55, v59, v22
	;;#ASMEND
	;;#ASMSTART
	v_dot2_f32_f16 v22, v56, v60, v22
	;;#ASMEND
	;;#ASMSTART
	v_dot2_f32_f16 v22, v57, v61, v22
	;;#ASMEND
	ds_read_b128 v[54:57], v39 offset:48
	ds_read_b128 v[58:61], v25 offset:48
	s_waitcnt lgkmcnt(0)
	;;#ASMSTART
	v_dot2_f32_f16 v22, v54, v58, v22
	;;#ASMEND
	;;#ASMSTART
	v_dot2_f32_f16 v22, v55, v59, v22
	;;#ASMEND
	;;#ASMSTART
	v_dot2_f32_f16 v22, v56, v60, v22
	;;#ASMEND
	;;#ASMSTART
	v_dot2_f32_f16 v22, v57, v61, v22
	;;#ASMEND
	ds_read_b128 v[54:57], v39 offset:64
	ds_read_b128 v[58:61], v25 offset:64
	;; [unrolled: 15-line block ×6, first 2 shown]
	v_add_co_u32 v62, s1, s36, v62
	v_add_co_ci_u32_e64 v63, null, s37, v63, s1
	s_waitcnt lgkmcnt(0)
	;;#ASMSTART
	v_dot2_f32_f16 v22, v54, v58, v22
	;;#ASMEND
	;;#ASMSTART
	v_dot2_f32_f16 v22, v55, v59, v22
	;;#ASMEND
	;; [unrolled: 3-line block ×4, first 2 shown]
	global_load_ushort v52, v[62:63], off
	v_cmp_gt_i32_e64 s1, 32, v34
	v_max_f32_e32 v54, v53, v53
	s_addc_u32 s24, s13, s25
	s_waitcnt vmcnt(0)
	s_barrier
	buffer_gl0_inv
	v_cvt_f32_f16_e32 v52, v52
	v_add_f32_e32 v52, v22, v52
	v_cndmask_b32_e64 v22, v27, v34, s1
	v_cmp_gt_i32_e64 s1, 32, v32
	v_add_f32_e32 v55, 0x40051340, v52
	v_lshlrev_b32_e32 v22, 2, v22
	v_max_f32_e32 v54, v54, v55
	v_cndmask_b32_e64 v55, v27, v32, s1
	v_cmp_gt_i32_e64 s1, 32, v31
	ds_bpermute_b32 v22, v22, v54
	v_lshlrev_b32_e32 v55, 2, v55
	s_waitcnt lgkmcnt(0)
	v_max_f32_e32 v22, v22, v22
	v_max_f32_e32 v22, v54, v22
	ds_bpermute_b32 v54, v55, v22
	v_cndmask_b32_e64 v55, v27, v31, s1
	v_cmp_gt_i32_e64 s1, 32, v30
	v_lshlrev_b32_e32 v55, 2, v55
	s_waitcnt lgkmcnt(0)
	v_max_f32_e32 v54, v54, v54
	v_max_f32_e32 v22, v22, v54
	ds_bpermute_b32 v54, v55, v22
	v_cndmask_b32_e64 v55, v27, v30, s1
	v_cmp_gt_i32_e64 s1, 32, v29
	v_lshlrev_b32_e32 v55, 2, v55
	s_waitcnt lgkmcnt(0)
	v_max_f32_e32 v54, v54, v54
	v_max_f32_e32 v22, v22, v54
	ds_bpermute_b32 v54, v55, v22
	v_cndmask_b32_e64 v55, v27, v29, s1
	v_lshlrev_b32_e32 v55, 2, v55
	s_waitcnt lgkmcnt(0)
	v_max_f32_e32 v54, v54, v54
	v_max_f32_e32 v22, v22, v54
	ds_bpermute_b32 v54, v55, v22
	s_waitcnt lgkmcnt(0)
	v_max_f32_e32 v54, v54, v54
	v_max_f32_e32 v22, v22, v54
	v_sub_f32_e32 v52, v52, v22
	v_mul_f32_e32 v54, 0x3fb8aa3b, v52
	v_cmp_ngt_f32_e64 s1, 0xc2ce8ed0, v52
	v_fma_f32 v55, 0x3fb8aa3b, v52, -v54
	v_rndne_f32_e32 v56, v54
	v_fmac_f32_e32 v55, 0x32a5705f, v52
	v_sub_f32_e32 v54, v54, v56
	v_add_f32_e32 v54, v54, v55
	v_cvt_i32_f32_e32 v55, v56
	v_exp_f32_e32 v54, v54
	v_ldexp_f32 v54, v54, v55
	v_cndmask_b32_e64 v54, 0, v54, s1
	v_cmp_nlt_f32_e64 s1, 0x42b17218, v52
	v_cndmask_b32_e64 v52, 0x7f800000, v54, s1
	v_cvt_f16_f32_e32 v54, v52
	ds_write_b16 v42, v54
	s_and_saveexec_b32 s25, vcc_lo
	s_cbranch_execz .LBB49_15
; %bb.14:                               ;   in Loop: Header=BB49_11 Depth=1
	v_add_co_u32 v54, s1, s19, v12
	v_add_co_ci_u32_e64 v55, null, s24, v13, s1
	global_load_dwordx4 v[54:57], v[54:55], off offset:128
	s_waitcnt vmcnt(0)
	ds_write_b128 v44, v[54:57]
.LBB49_15:                              ;   in Loop: Header=BB49_11 Depth=1
	s_or_b32 exec_lo, exec_lo, s25
	v_add_co_u32 v54, s1, s19, v16
	v_add_co_ci_u32_e64 v55, null, s24, v17, s1
	v_add_co_u32 v56, s1, s19, v14
	v_add_co_ci_u32_e64 v57, null, s24, v15, s1
	;; [unrolled: 2-line block ×8, first 2 shown]
	s_clause 0x3
	global_load_dwordx4 v[54:57], v[54:55], off
	global_load_dwordx4 v[58:61], v[58:59], off
	;; [unrolled: 1-line block ×4, first 2 shown]
	v_sub_f32_e32 v70, v53, v22
	s_waitcnt vmcnt(3)
	ds_write_b128 v47, v[54:57]
	s_waitcnt vmcnt(2)
	ds_write_b128 v46, v[58:61]
	;; [unrolled: 2-line block ×4, first 2 shown]
	v_mul_f32_e32 v53, 0x3fb8aa3b, v70
	s_waitcnt lgkmcnt(0)
	s_barrier
	buffer_gl0_inv
	ds_read2_b64 v[57:60], v26 offset1:18
	v_fma_f32 v71, 0x3fb8aa3b, v70, -v53
	v_rndne_f32_e32 v72, v53
	v_cmp_ngt_f32_e64 s1, 0xc2ce8ed0, v70
	v_fmac_f32_e32 v71, 0x32a5705f, v70
	v_sub_f32_e32 v53, v53, v72
	v_add_f32_e32 v53, v53, v71
	v_cvt_i32_f32_e32 v71, v72
	v_exp_f32_e32 v72, v53
	ds_read_b128 v[53:56], v40
	v_ldexp_f32 v61, v72, v71
	v_cndmask_b32_e64 v61, 0, v61, s1
	v_cmp_nlt_f32_e64 s1, 0x42b17218, v70
	v_cndmask_b32_e64 v73, 0x7f800000, v61, s1
	ds_read_b128 v[61:64], v40 offset:16
	ds_read2_b64 v[65:68], v26 offset0:36 offset1:54
	s_waitcnt lgkmcnt(2)
	v_mul_u32_u24_sdwa v70, v53, v49 dst_sel:DWORD dst_unused:UNUSED_PAD src0_sel:WORD_0 src1_sel:DWORD
	v_mul_u32_u24_sdwa v53, v53, v49 dst_sel:DWORD dst_unused:UNUSED_PAD src0_sel:WORD_1 src1_sel:DWORD
	v_cvt_f16_f32_e32 v69, v73
	v_fmac_f32_e32 v52, v51, v73
	v_pk_mul_f16 v57, v57, v70
	v_pk_mul_f16 v58, v58, v70
	v_mul_u32_u24_sdwa v74, v69, v49 dst_sel:DWORD dst_unused:UNUSED_PAD src0_sel:WORD_0 src1_sel:DWORD
	ds_read2_b64 v[69:72], v26 offset0:72 offset1:90
	v_pk_fma_f16 v36, v36, v74, v57
	v_pk_fma_f16 v50, v50, v74, v58
	v_mul_u32_u24_sdwa v74, v54, v49 dst_sel:DWORD dst_unused:UNUSED_PAD src0_sel:WORD_0 src1_sel:DWORD
	v_pk_fma_f16 v36, v59, v53, v36
	v_pk_fma_f16 v50, v60, v53, v50
	ds_read2_b64 v[57:60], v26 offset0:108 offset1:126
	v_mul_u32_u24_sdwa v53, v54, v49 dst_sel:DWORD dst_unused:UNUSED_PAD src0_sel:WORD_1 src1_sel:DWORD
	v_mul_u32_u24_sdwa v54, v55, v49 dst_sel:DWORD dst_unused:UNUSED_PAD src0_sel:WORD_0 src1_sel:DWORD
	s_waitcnt lgkmcnt(2)
	v_pk_fma_f16 v36, v65, v74, v36
	v_pk_fma_f16 v50, v66, v74, v50
	v_add_nc_u32_e32 v74, 0x800, v26
	v_mul_u32_u24_sdwa v75, v64, v49 dst_sel:DWORD dst_unused:UNUSED_PAD src0_sel:WORD_1 src1_sel:DWORD
	v_pk_fma_f16 v36, v67, v53, v36
	v_pk_fma_f16 v50, v68, v53, v50
	ds_read2_b64 v[65:68], v26 offset0:144 offset1:162
	v_mul_u32_u24_sdwa v53, v55, v49 dst_sel:DWORD dst_unused:UNUSED_PAD src0_sel:WORD_1 src1_sel:DWORD
	s_waitcnt lgkmcnt(2)
	v_pk_fma_f16 v36, v69, v54, v36
	v_pk_fma_f16 v50, v70, v54, v50
	v_mul_u32_u24_sdwa v54, v56, v49 dst_sel:DWORD dst_unused:UNUSED_PAD src0_sel:WORD_0 src1_sel:DWORD
	v_pk_fma_f16 v36, v71, v53, v36
	v_pk_fma_f16 v50, v72, v53, v50
	ds_read2_b64 v[69:72], v26 offset0:180 offset1:198
	v_mul_u32_u24_sdwa v53, v56, v49 dst_sel:DWORD dst_unused:UNUSED_PAD src0_sel:WORD_1 src1_sel:DWORD
	s_waitcnt lgkmcnt(2)
	v_pk_fma_f16 v36, v57, v54, v36
	v_pk_fma_f16 v50, v58, v54, v50
	v_mul_u32_u24_sdwa v57, v61, v49 dst_sel:DWORD dst_unused:UNUSED_PAD src0_sel:WORD_0 src1_sel:DWORD
	v_mul_u32_u24_sdwa v58, v61, v49 dst_sel:DWORD dst_unused:UNUSED_PAD src0_sel:WORD_1 src1_sel:DWORD
	v_mul_u32_u24_sdwa v61, v62, v49 dst_sel:DWORD dst_unused:UNUSED_PAD src0_sel:WORD_0 src1_sel:DWORD
	v_pk_fma_f16 v36, v59, v53, v36
	v_pk_fma_f16 v50, v60, v53, v50
	ds_read2_b64 v[53:56], v26 offset0:216 offset1:234
	v_mul_u32_u24_sdwa v62, v62, v49 dst_sel:DWORD dst_unused:UNUSED_PAD src0_sel:WORD_1 src1_sel:DWORD
	s_waitcnt lgkmcnt(2)
	v_pk_fma_f16 v36, v65, v57, v36
	v_pk_fma_f16 v50, v66, v57, v50
	v_add_nc_u32_e32 v57, 0x400, v26
	v_pk_fma_f16 v36, v67, v58, v36
	v_pk_fma_f16 v50, v68, v58, v50
	ds_read2_b64 v[57:60], v57 offset0:124 offset1:142
	ds_read_b128 v[65:68], v40 offset:32
	s_waitcnt lgkmcnt(3)
	v_pk_fma_f16 v36, v69, v61, v36
	v_pk_fma_f16 v50, v70, v61, v50
	v_mul_u32_u24_sdwa v61, v63, v49 dst_sel:DWORD dst_unused:UNUSED_PAD src0_sel:WORD_0 src1_sel:DWORD
	v_pk_fma_f16 v36, v71, v62, v36
	v_pk_fma_f16 v50, v72, v62, v50
	ds_read2_b64 v[69:72], v74 offset0:32 offset1:50
	v_mul_u32_u24_sdwa v62, v63, v49 dst_sel:DWORD dst_unused:UNUSED_PAD src0_sel:WORD_1 src1_sel:DWORD
	s_waitcnt lgkmcnt(3)
	v_pk_fma_f16 v36, v53, v61, v36
	v_pk_fma_f16 v50, v54, v61, v50
	v_mul_u32_u24_sdwa v61, v64, v49 dst_sel:DWORD dst_unused:UNUSED_PAD src0_sel:WORD_0 src1_sel:DWORD
	v_pk_fma_f16 v36, v55, v62, v36
	v_pk_fma_f16 v50, v56, v62, v50
	ds_read2_b64 v[53:56], v74 offset0:68 offset1:86
	s_waitcnt lgkmcnt(3)
	v_pk_fma_f16 v36, v57, v61, v36
	v_pk_fma_f16 v50, v58, v61, v50
	ds_read_b128 v[61:64], v40 offset:48
	s_waitcnt lgkmcnt(3)
	v_mul_u32_u24_sdwa v76, v65, v49 dst_sel:DWORD dst_unused:UNUSED_PAD src0_sel:WORD_0 src1_sel:DWORD
	v_mul_u32_u24_sdwa v65, v65, v49 dst_sel:DWORD dst_unused:UNUSED_PAD src0_sel:WORD_1 src1_sel:DWORD
	v_pk_fma_f16 v36, v59, v75, v36
	v_pk_fma_f16 v50, v60, v75, v50
	ds_read2_b64 v[57:60], v74 offset0:104 offset1:122
	v_mul_u32_u24_sdwa v75, v66, v49 dst_sel:DWORD dst_unused:UNUSED_PAD src0_sel:WORD_0 src1_sel:DWORD
	s_waitcnt lgkmcnt(3)
	v_pk_fma_f16 v36, v69, v76, v36
	v_pk_fma_f16 v50, v70, v76, v50
	;; [unrolled: 1-line block ×4, first 2 shown]
	ds_read2_b64 v[69:72], v74 offset0:140 offset1:158
	v_mul_u32_u24_sdwa v65, v66, v49 dst_sel:DWORD dst_unused:UNUSED_PAD src0_sel:WORD_1 src1_sel:DWORD
	v_mul_u32_u24_sdwa v66, v67, v49 dst_sel:DWORD dst_unused:UNUSED_PAD src0_sel:WORD_0 src1_sel:DWORD
	s_waitcnt lgkmcnt(3)
	v_pk_fma_f16 v36, v53, v75, v36
	v_pk_fma_f16 v50, v54, v75, v50
	;; [unrolled: 1-line block ×4, first 2 shown]
	ds_read2_b64 v[53:56], v74 offset0:176 offset1:194
	v_mul_u32_u24_sdwa v65, v67, v49 dst_sel:DWORD dst_unused:UNUSED_PAD src0_sel:WORD_1 src1_sel:DWORD
	s_waitcnt lgkmcnt(2)
	v_pk_fma_f16 v36, v57, v66, v36
	v_pk_fma_f16 v50, v58, v66, v50
	v_mul_u32_u24_sdwa v66, v68, v49 dst_sel:DWORD dst_unused:UNUSED_PAD src0_sel:WORD_0 src1_sel:DWORD
	v_pk_fma_f16 v36, v59, v65, v36
	v_pk_fma_f16 v50, v60, v65, v50
	ds_read2_b64 v[57:60], v74 offset0:212 offset1:230
	v_mul_u32_u24_sdwa v65, v68, v49 dst_sel:DWORD dst_unused:UNUSED_PAD src0_sel:WORD_1 src1_sel:DWORD
	s_waitcnt lgkmcnt(2)
	v_pk_fma_f16 v36, v69, v66, v36
	v_pk_fma_f16 v50, v70, v66, v50
	v_add_nc_u32_e32 v66, 0xc00, v26
	v_mul_u32_u24_sdwa v69, v61, v49 dst_sel:DWORD dst_unused:UNUSED_PAD src0_sel:WORD_0 src1_sel:DWORD
	v_mul_u32_u24_sdwa v61, v61, v49 dst_sel:DWORD dst_unused:UNUSED_PAD src0_sel:WORD_1 src1_sel:DWORD
	v_pk_fma_f16 v36, v71, v65, v36
	v_pk_fma_f16 v50, v72, v65, v50
	ds_read2_b64 v[65:68], v66 offset0:120 offset1:138
	v_add_nc_u32_e32 v70, 0x1000, v26
	s_waitcnt lgkmcnt(2)
	v_pk_fma_f16 v36, v53, v69, v36
	v_pk_fma_f16 v50, v54, v69, v50
	v_mul_u32_u24_sdwa v53, v62, v49 dst_sel:DWORD dst_unused:UNUSED_PAD src0_sel:WORD_0 src1_sel:DWORD
	ds_read2_b64 v[69:72], v70 offset0:28 offset1:46
	v_mul_u32_u24_sdwa v54, v62, v49 dst_sel:DWORD dst_unused:UNUSED_PAD src0_sel:WORD_1 src1_sel:DWORD
	v_pk_fma_f16 v36, v55, v61, v36
	v_pk_fma_f16 v50, v56, v61, v50
	s_waitcnt lgkmcnt(0)
	s_barrier
	buffer_gl0_inv
	v_pk_fma_f16 v36, v57, v53, v36
	v_pk_fma_f16 v50, v58, v53, v50
	s_load_dword s1, s[8:9], 0x4
	v_mul_u32_u24_sdwa v53, v63, v49 dst_sel:DWORD dst_unused:UNUSED_PAD src0_sel:WORD_0 src1_sel:DWORD
	v_pk_fma_f16 v36, v59, v54, v36
	v_pk_fma_f16 v50, v60, v54, v50
	v_mul_u32_u24_sdwa v54, v63, v49 dst_sel:DWORD dst_unused:UNUSED_PAD src0_sel:WORD_1 src1_sel:DWORD
	v_pk_fma_f16 v36, v65, v53, v36
	v_pk_fma_f16 v50, v66, v53, v50
	v_mul_u32_u24_sdwa v53, v64, v49 dst_sel:DWORD dst_unused:UNUSED_PAD src0_sel:WORD_0 src1_sel:DWORD
	v_pk_fma_f16 v36, v67, v54, v36
	v_pk_fma_f16 v50, v68, v54, v50
	v_mul_u32_u24_sdwa v54, v64, v49 dst_sel:DWORD dst_unused:UNUSED_PAD src0_sel:WORD_1 src1_sel:DWORD
	v_pk_fma_f16 v36, v69, v53, v36
	v_pk_fma_f16 v50, v70, v53, v50
	s_waitcnt lgkmcnt(0)
	s_lshl_b32 s1, s1, 5
	s_add_i32 s14, s1, s14
	v_pk_fma_f16 v36, v71, v54, v36
	v_pk_fma_f16 v50, v72, v54, v50
	s_cmp_ge_i32 s14, s34
	s_cbranch_scc1 .LBB49_17
; %bb.16:                               ;   in Loop: Header=BB49_11 Depth=1
	v_mov_b32_e32 v53, v22
	v_mov_b32_e32 v51, v52
	s_branch .LBB49_11
.LBB49_17:
	v_mov_b32_e32 v2, v27
.LBB49_18:
	v_cmp_lt_i32_e32 vcc_lo, v34, v28
	s_cmp_lg_u64 s[16:17], 0
	s_cselect_b32 s1, -1, 0
	s_cmp_eq_u32 s2, 0
	v_cndmask_b32_e32 v1, v2, v34, vcc_lo
	v_cmp_lt_i32_e32 vcc_lo, v32, v28
	s_cselect_b32 s8, -1, 0
	s_and_b32 s1, s8, s1
	v_lshlrev_b32_e32 v1, 2, v1
	v_cndmask_b32_e32 v3, v2, v32, vcc_lo
	v_cmp_lt_i32_e32 vcc_lo, v31, v28
	ds_bpermute_b32 v1, v1, v52
	v_lshlrev_b32_e32 v3, 2, v3
	v_cndmask_b32_e32 v4, v2, v31, vcc_lo
	v_cmp_lt_i32_e32 vcc_lo, v30, v28
	v_lshlrev_b32_e32 v4, 2, v4
	s_waitcnt lgkmcnt(0)
	v_add_f32_e32 v1, v52, v1
	ds_bpermute_b32 v3, v3, v1
	s_waitcnt lgkmcnt(0)
	v_add_f32_e32 v1, v1, v3
	ds_bpermute_b32 v3, v4, v1
	v_cndmask_b32_e32 v4, v2, v30, vcc_lo
	v_cmp_lt_i32_e32 vcc_lo, v29, v28
	v_lshlrev_b32_e32 v4, 2, v4
	v_cndmask_b32_e32 v2, v2, v29, vcc_lo
	s_and_b32 vcc_lo, exec_lo, s1
	v_lshlrev_b32_e32 v2, 2, v2
	s_waitcnt lgkmcnt(0)
	v_add_f32_e32 v1, v1, v3
	ds_bpermute_b32 v3, v4, v1
	s_waitcnt lgkmcnt(0)
	v_add_f32_e32 v3, v1, v3
	v_add_nc_u32_e32 v1, s7, v23
	ds_bpermute_b32 v2, v2, v3
	s_waitcnt lgkmcnt(0)
	v_add_f32_e32 v23, v3, v2
	s_cbranch_vccz .LBB49_20
; %bb.19:
	v_ashrrev_i32_e32 v2, 31, v1
	v_lshlrev_b64 v[2:3], 2, v[1:2]
	v_add_co_u32 v2, vcc_lo, s16, v2
	v_add_co_ci_u32_e64 v3, null, s17, v3, vcc_lo
	global_load_dword v2, v[2:3], off
	v_max_f32_e32 v3, v22, v22
	s_waitcnt vmcnt(0)
	v_max_f32_e32 v4, v2, v2
	v_max_f32_e32 v3, v3, v4
	v_sub_f32_e32 v4, v22, v3
	v_sub_f32_e32 v2, v2, v3
	v_mov_b32_e32 v22, v3
	v_mul_f32_e32 v5, 0x3fb8aa3b, v4
	v_mul_f32_e32 v6, 0x3fb8aa3b, v2
	v_cmp_ngt_f32_e32 vcc_lo, 0xc2ce8ed0, v4
	v_fma_f32 v7, 0x3fb8aa3b, v4, -v5
	v_rndne_f32_e32 v8, v5
	v_fma_f32 v9, 0x3fb8aa3b, v2, -v6
	v_rndne_f32_e32 v10, v6
	v_fmac_f32_e32 v7, 0x32a5705f, v4
	v_sub_f32_e32 v5, v5, v8
	v_fmac_f32_e32 v9, 0x32a5705f, v2
	v_sub_f32_e32 v6, v6, v10
	v_add_f32_e32 v5, v5, v7
	v_cvt_i32_f32_e32 v7, v8
	v_add_f32_e32 v6, v6, v9
	v_cvt_i32_f32_e32 v8, v10
	v_exp_f32_e32 v5, v5
	v_exp_f32_e32 v6, v6
	v_ldexp_f32 v5, v5, v7
	v_ldexp_f32 v6, v6, v8
	v_cndmask_b32_e32 v5, 0, v5, vcc_lo
	v_cmp_ngt_f32_e32 vcc_lo, 0xc2ce8ed0, v2
	v_cndmask_b32_e32 v6, 0, v6, vcc_lo
	v_cmp_nlt_f32_e32 vcc_lo, 0x42b17218, v4
	v_cndmask_b32_e32 v4, 0x7f800000, v5, vcc_lo
	v_cmp_nlt_f32_e32 vcc_lo, 0x42b17218, v2
	v_mov_b32_e32 v5, 0x10001
	v_cndmask_b32_e32 v2, 0x7f800000, v6, vcc_lo
	v_cvt_f16_f32_e32 v6, v4
	v_fmac_f32_e32 v2, v23, v4
	v_mul_u32_u24_sdwa v4, v6, v5 dst_sel:DWORD dst_unused:UNUSED_PAD src0_sel:WORD_0 src1_sel:DWORD
	v_mov_b32_e32 v23, v2
	v_pk_mul_f16 v36, v36, v4
	v_pk_mul_f16 v50, v50, v4
.LBB49_20:
	s_load_dword s1, s[4:5], 0xd4
	s_mul_i32 s3, s3, s26
	v_add3_u32 v2, s3, s6, v24
	v_mad_u64_u32 v[1:2], null, v2, s27, v[1:2]
	s_waitcnt lgkmcnt(0)
	v_mad_u64_u32 v[1:2], null, s1, v1, s[2:3]
	s_cmp_lg_u32 s1, 1
	s_cselect_b32 s1, -1, 0
	s_and_saveexec_b32 s2, s0
	s_cbranch_execz .LBB49_22
; %bb.21:
	v_div_scale_f32 v2, null, v23, v23, 1.0
	v_div_scale_f32 v5, vcc_lo, 1.0, v23, 1.0
	v_mul_lo_u32 v7, 0x48, v1
	v_rcp_f32_e32 v4, v2
	v_cvt_f32_f16_e32 v8, v50
	v_cvt_f32_f16_sdwa v9, v36 dst_sel:DWORD dst_unused:UNUSED_PAD src0_sel:WORD_1
	v_cvt_f32_f16_e32 v10, v36
	v_fma_f32 v3, -v2, v4, 1.0
	v_fmac_f32_e32 v4, v3, v4
	v_mul_f32_e32 v6, v5, v4
	v_fma_f32 v3, -v2, v6, v5
	v_fmac_f32_e32 v6, v3, v4
	v_mov_b32_e32 v3, 0
	v_fma_f32 v2, -v2, v6, v5
	v_cvt_f32_f16_sdwa v5, v50 dst_sel:DWORD dst_unused:UNUSED_PAD src0_sel:WORD_1
	v_div_fmas_f32 v4, v2, v4, v6
	v_lshl_add_u32 v2, v0, 2, v7
	v_div_fixup_f32 v4, v4, v23, 1.0
	v_lshlrev_b64 v[2:3], 2, v[2:3]
	v_cndmask_b32_e64 v11, v4, 1.0, s1
	v_add_co_u32 v6, vcc_lo, s20, v2
	v_add_co_ci_u32_e64 v7, null, s21, v3, vcc_lo
	v_mul_f32_e32 v5, v11, v5
	v_mul_f32_e32 v4, v11, v8
	;; [unrolled: 1-line block ×4, first 2 shown]
	global_store_dwordx4 v[6:7], v[2:5], off
.LBB49_22:
	s_or_b32 exec_lo, exec_lo, s2
	v_cmp_eq_u32_e32 vcc_lo, 0, v0
	s_and_b32 s0, vcc_lo, s1
	s_and_saveexec_b32 s1, s0
	s_cbranch_execz .LBB49_24
; %bb.23:
	v_ashrrev_i32_e32 v2, 31, v1
	v_lshlrev_b64 v[0:1], 3, v[1:2]
	v_add_co_u32 v0, vcc_lo, s22, v0
	v_add_co_ci_u32_e64 v1, null, s23, v1, vcc_lo
	global_store_dwordx2 v[0:1], v[22:23], off
.LBB49_24:
	s_endpgm
	.section	.rodata,"a",@progbits
	.p2align	6, 0x0
	.amdhsa_kernel _ZL15flash_attn_tileILi72ELi72ELi1ELi2ELb0EEvPKcS1_S1_S1_S1_PKiPfP15HIP_vector_typeIfLj2EEffffjfiS5_IjLj3EEiiiiiiiiiiiliiliiiiil
		.amdhsa_group_segment_fixed_size 5760
		.amdhsa_private_segment_fixed_size 0
		.amdhsa_kernarg_size 464
		.amdhsa_user_sgpr_count 6
		.amdhsa_user_sgpr_private_segment_buffer 1
		.amdhsa_user_sgpr_dispatch_ptr 0
		.amdhsa_user_sgpr_queue_ptr 0
		.amdhsa_user_sgpr_kernarg_segment_ptr 1
		.amdhsa_user_sgpr_dispatch_id 0
		.amdhsa_user_sgpr_flat_scratch_init 0
		.amdhsa_user_sgpr_private_segment_size 0
		.amdhsa_wavefront_size32 1
		.amdhsa_uses_dynamic_stack 0
		.amdhsa_system_sgpr_private_segment_wavefront_offset 0
		.amdhsa_system_sgpr_workgroup_id_x 1
		.amdhsa_system_sgpr_workgroup_id_y 1
		.amdhsa_system_sgpr_workgroup_id_z 1
		.amdhsa_system_sgpr_workgroup_info 0
		.amdhsa_system_vgpr_workitem_id 1
		.amdhsa_next_free_vgpr 77
		.amdhsa_next_free_sgpr 44
		.amdhsa_reserve_vcc 1
		.amdhsa_reserve_flat_scratch 0
		.amdhsa_float_round_mode_32 0
		.amdhsa_float_round_mode_16_64 0
		.amdhsa_float_denorm_mode_32 3
		.amdhsa_float_denorm_mode_16_64 3
		.amdhsa_dx10_clamp 1
		.amdhsa_ieee_mode 1
		.amdhsa_fp16_overflow 0
		.amdhsa_workgroup_processor_mode 1
		.amdhsa_memory_ordered 1
		.amdhsa_forward_progress 1
		.amdhsa_shared_vgpr_count 0
		.amdhsa_exception_fp_ieee_invalid_op 0
		.amdhsa_exception_fp_denorm_src 0
		.amdhsa_exception_fp_ieee_div_zero 0
		.amdhsa_exception_fp_ieee_overflow 0
		.amdhsa_exception_fp_ieee_underflow 0
		.amdhsa_exception_fp_ieee_inexact 0
		.amdhsa_exception_int_div_zero 0
	.end_amdhsa_kernel
	.section	.text._ZL15flash_attn_tileILi72ELi72ELi1ELi2ELb0EEvPKcS1_S1_S1_S1_PKiPfP15HIP_vector_typeIfLj2EEffffjfiS5_IjLj3EEiiiiiiiiiiiliiliiiiil,"axG",@progbits,_ZL15flash_attn_tileILi72ELi72ELi1ELi2ELb0EEvPKcS1_S1_S1_S1_PKiPfP15HIP_vector_typeIfLj2EEffffjfiS5_IjLj3EEiiiiiiiiiiiliiliiiiil,comdat
.Lfunc_end49:
	.size	_ZL15flash_attn_tileILi72ELi72ELi1ELi2ELb0EEvPKcS1_S1_S1_S1_PKiPfP15HIP_vector_typeIfLj2EEffffjfiS5_IjLj3EEiiiiiiiiiiiliiliiiiil, .Lfunc_end49-_ZL15flash_attn_tileILi72ELi72ELi1ELi2ELb0EEvPKcS1_S1_S1_S1_PKiPfP15HIP_vector_typeIfLj2EEffffjfiS5_IjLj3EEiiiiiiiiiiiliiliiiiil
                                        ; -- End function
	.set _ZL15flash_attn_tileILi72ELi72ELi1ELi2ELb0EEvPKcS1_S1_S1_S1_PKiPfP15HIP_vector_typeIfLj2EEffffjfiS5_IjLj3EEiiiiiiiiiiiliiliiiiil.num_vgpr, 77
	.set _ZL15flash_attn_tileILi72ELi72ELi1ELi2ELb0EEvPKcS1_S1_S1_S1_PKiPfP15HIP_vector_typeIfLj2EEffffjfiS5_IjLj3EEiiiiiiiiiiiliiliiiiil.num_agpr, 0
	.set _ZL15flash_attn_tileILi72ELi72ELi1ELi2ELb0EEvPKcS1_S1_S1_S1_PKiPfP15HIP_vector_typeIfLj2EEffffjfiS5_IjLj3EEiiiiiiiiiiiliiliiiiil.numbered_sgpr, 44
	.set _ZL15flash_attn_tileILi72ELi72ELi1ELi2ELb0EEvPKcS1_S1_S1_S1_PKiPfP15HIP_vector_typeIfLj2EEffffjfiS5_IjLj3EEiiiiiiiiiiiliiliiiiil.num_named_barrier, 0
	.set _ZL15flash_attn_tileILi72ELi72ELi1ELi2ELb0EEvPKcS1_S1_S1_S1_PKiPfP15HIP_vector_typeIfLj2EEffffjfiS5_IjLj3EEiiiiiiiiiiiliiliiiiil.private_seg_size, 0
	.set _ZL15flash_attn_tileILi72ELi72ELi1ELi2ELb0EEvPKcS1_S1_S1_S1_PKiPfP15HIP_vector_typeIfLj2EEffffjfiS5_IjLj3EEiiiiiiiiiiiliiliiiiil.uses_vcc, 1
	.set _ZL15flash_attn_tileILi72ELi72ELi1ELi2ELb0EEvPKcS1_S1_S1_S1_PKiPfP15HIP_vector_typeIfLj2EEffffjfiS5_IjLj3EEiiiiiiiiiiiliiliiiiil.uses_flat_scratch, 0
	.set _ZL15flash_attn_tileILi72ELi72ELi1ELi2ELb0EEvPKcS1_S1_S1_S1_PKiPfP15HIP_vector_typeIfLj2EEffffjfiS5_IjLj3EEiiiiiiiiiiiliiliiiiil.has_dyn_sized_stack, 0
	.set _ZL15flash_attn_tileILi72ELi72ELi1ELi2ELb0EEvPKcS1_S1_S1_S1_PKiPfP15HIP_vector_typeIfLj2EEffffjfiS5_IjLj3EEiiiiiiiiiiiliiliiiiil.has_recursion, 0
	.set _ZL15flash_attn_tileILi72ELi72ELi1ELi2ELb0EEvPKcS1_S1_S1_S1_PKiPfP15HIP_vector_typeIfLj2EEffffjfiS5_IjLj3EEiiiiiiiiiiiliiliiiiil.has_indirect_call, 0
	.section	.AMDGPU.csdata,"",@progbits
; Kernel info:
; codeLenInByte = 5508
; TotalNumSgprs: 46
; NumVgprs: 77
; ScratchSize: 0
; MemoryBound: 0
; FloatMode: 240
; IeeeMode: 1
; LDSByteSize: 5760 bytes/workgroup (compile time only)
; SGPRBlocks: 0
; VGPRBlocks: 9
; NumSGPRsForWavesPerEU: 46
; NumVGPRsForWavesPerEU: 77
; Occupancy: 11
; WaveLimiterHint : 1
; COMPUTE_PGM_RSRC2:SCRATCH_EN: 0
; COMPUTE_PGM_RSRC2:USER_SGPR: 6
; COMPUTE_PGM_RSRC2:TRAP_HANDLER: 0
; COMPUTE_PGM_RSRC2:TGID_X_EN: 1
; COMPUTE_PGM_RSRC2:TGID_Y_EN: 1
; COMPUTE_PGM_RSRC2:TGID_Z_EN: 1
; COMPUTE_PGM_RSRC2:TIDIG_COMP_CNT: 1
	.section	.text._ZL33flash_attn_stream_k_fixup_uniformILi72ELi1ELi2EEvPfPK15HIP_vector_typeIfLj2EEiiiiiiS1_IjLj3EES5_S5_,"axG",@progbits,_ZL33flash_attn_stream_k_fixup_uniformILi72ELi1ELi2EEvPfPK15HIP_vector_typeIfLj2EEiiiiiiS1_IjLj3EES5_S5_,comdat
	.globl	_ZL33flash_attn_stream_k_fixup_uniformILi72ELi1ELi2EEvPfPK15HIP_vector_typeIfLj2EEiiiiiiS1_IjLj3EES5_S5_ ; -- Begin function _ZL33flash_attn_stream_k_fixup_uniformILi72ELi1ELi2EEvPfPK15HIP_vector_typeIfLj2EEiiiiiiS1_IjLj3EES5_S5_
	.p2align	8
	.type	_ZL33flash_attn_stream_k_fixup_uniformILi72ELi1ELi2EEvPfPK15HIP_vector_typeIfLj2EEiiiiiiS1_IjLj3EES5_S5_,@function
_ZL33flash_attn_stream_k_fixup_uniformILi72ELi1ELi2EEvPfPK15HIP_vector_typeIfLj2EEiiiiiiS1_IjLj3EES5_S5_: ; @_ZL33flash_attn_stream_k_fixup_uniformILi72ELi1ELi2EEvPfPK15HIP_vector_typeIfLj2EEiiiiiiS1_IjLj3EES5_S5_
; %bb.0:
	s_clause 0x1
	s_load_dwordx8 s[12:19], s[4:5], 0x1c
	s_load_dwordx4 s[20:23], s[4:5], 0x3c
	s_waitcnt lgkmcnt(0)
	s_mul_hi_u32 s0, s15, s6
	s_add_i32 s0, s6, s0
	s_lshr_b32 s2, s0, s16
	s_mul_i32 s0, s2, s17
	s_sub_i32 s9, s6, s0
	s_load_dwordx2 s[0:1], s[4:5], 0x10
	s_mul_hi_u32 s3, s9, s18
	s_add_i32 s3, s9, s3
	s_lshr_b32 s3, s3, s19
	s_mul_i32 s10, s3, s20
	s_sub_i32 s9, s9, s10
	s_mul_hi_u32 s10, s9, s21
	s_add_i32 s10, s9, s10
	s_lshr_b32 s10, s10, s22
	s_mul_i32 s11, s10, s23
	s_lshl_b32 s10, s10, 1
	s_sub_i32 s9, s9, s11
	s_add_i32 s9, s9, s7
	s_waitcnt lgkmcnt(0)
	s_cmp_lt_i32 s9, s0
	s_cselect_b32 s11, -1, 0
	s_add_i32 s10, s10, s8
	s_cmp_lt_i32 s10, s13
	s_cselect_b32 s15, -1, 0
	s_and_b32 s11, s11, s15
	s_andn2_b32 vcc_lo, exec_lo, s11
	s_cbranch_vccnz .LBB50_6
; %bb.1:
	s_mul_i32 s2, s2, s0
	s_mul_i32 s3, s3, s13
	s_add_i32 s0, s9, s2
	s_add_i32 s9, s10, s3
	s_mul_i32 s10, s0, s1
	s_load_dwordx4 s[0:3], s[4:5], 0x0
	s_add_i32 s9, s9, s10
	s_mul_i32 s4, s14, s6
	v_mad_u64_u32 v[1:2], null, 0x48, s9, v[0:1]
	s_add_i32 s10, s4, s14
	v_ashrrev_i32_e32 v2, 31, v1
	v_lshlrev_b64 v[1:2], 2, v[1:2]
	s_waitcnt lgkmcnt(0)
	v_add_co_u32 v1, vcc_lo, s0, v1
	v_add_co_ci_u32_e64 v2, null, s1, v2, vcc_lo
	s_add_i32 s0, s7, s10
	s_lshl_b32 s0, s0, 1
	global_load_dword v5, v[1:2], off
	s_add_i32 s0, s0, s8
	s_add_i32 s0, s0, -2
	s_ashr_i32 s1, s0, 31
	s_lshl_b64 s[0:1], s[0:1], 3
	s_add_u32 s0, s2, s0
	s_addc_u32 s1, s3, s1
	s_add_i32 s5, s10, -2
	s_load_dword s11, s[0:1], 0x4
	s_cmp_lt_i32 s5, s4
	s_cbranch_scc1 .LBB50_4
; %bb.2:
	s_load_dword s13, s[0:1], 0x0
	s_lshl_b32 s16, s12, 3
	s_waitcnt lgkmcnt(0)
	v_mov_b32_e32 v6, s11
	s_ashr_i32 s17, s16, 31
	s_lshl_b64 s[0:1], s[16:17], 2
	s_add_u32 s5, s2, s0
	s_addc_u32 s9, s3, s1
	s_add_i32 s6, s6, 1
	s_mul_i32 s1, s7, 0x90
	s_mul_i32 s0, s14, s6
	;; [unrolled: 1-line block ×3, first 2 shown]
	s_mulk_i32 s0, 0x90
	s_add_i32 s1, s6, s1
	s_add_i32 s6, s7, s12
	s_add_i32 s1, s1, s0
	s_add_i32 s6, s6, s10
	v_add3_u32 v3, s1, v0, 0xfffffee0
	s_lshl_b32 s0, s6, 1
	v_mov_b32_e32 v0, s13
	s_add_i32 s0, s8, s0
	s_add_i32 s6, s10, -1
	s_add_i32 s0, s0, -4
.LBB50_3:                               ; =>This Inner Loop Header: Depth=1
	v_ashrrev_i32_e32 v4, 31, v3
	s_ashr_i32 s1, s0, 31
	s_lshl_b64 s[10:11], s[0:1], 3
	s_add_u32 s10, s2, s10
	v_lshlrev_b64 v[7:8], 2, v[3:4]
	s_addc_u32 s11, s3, s11
	v_add_nc_u32_e32 v3, 0xffffff70, v3
	s_add_i32 s6, s6, -1
	s_add_i32 s0, s0, -2
	s_cmp_le_i32 s6, s4
	v_add_co_u32 v7, vcc_lo, s5, v7
	v_add_co_ci_u32_e64 v8, null, s9, v8, vcc_lo
	s_load_dwordx2 s[10:11], s[10:11], 0x0
	global_load_dword v4, v[7:8], off
	v_max_f32_e32 v7, v0, v0
	s_waitcnt lgkmcnt(0)
	v_max_f32_e64 v8, s10, s10
	v_max_f32_e32 v7, v7, v8
	v_sub_f32_e32 v8, s10, v7
	v_sub_f32_e32 v0, v0, v7
	v_mul_f32_e32 v9, 0x3fb8aa3b, v8
	v_mul_f32_e32 v12, 0x3fb8aa3b, v0
	v_cmp_ngt_f32_e32 vcc_lo, 0xc2ce8ed0, v8
	v_fma_f32 v10, 0x3fb8aa3b, v8, -v9
	v_rndne_f32_e32 v11, v9
	v_fma_f32 v13, 0x3fb8aa3b, v0, -v12
	v_rndne_f32_e32 v14, v12
	v_fmac_f32_e32 v10, 0x32a5705f, v8
	v_sub_f32_e32 v9, v9, v11
	v_fmac_f32_e32 v13, 0x32a5705f, v0
	v_cvt_i32_f32_e32 v11, v11
	v_add_f32_e32 v9, v9, v10
	v_sub_f32_e32 v10, v12, v14
	v_exp_f32_e32 v9, v9
	v_add_f32_e32 v10, v10, v13
	v_exp_f32_e32 v10, v10
	v_ldexp_f32 v9, v9, v11
	v_cvt_i32_f32_e32 v11, v14
	v_cndmask_b32_e32 v9, 0, v9, vcc_lo
	v_cmp_nlt_f32_e32 vcc_lo, 0x42b17218, v8
	v_ldexp_f32 v10, v10, v11
	v_mov_b32_e32 v11, v6
	v_cndmask_b32_e32 v9, 0x7f800000, v9, vcc_lo
	v_cmp_ngt_f32_e32 vcc_lo, 0xc2ce8ed0, v0
	v_cndmask_b32_e32 v10, 0, v10, vcc_lo
	v_cmp_le_f32_e32 vcc_lo, 0xc1a00000, v8
	v_cndmask_b32_e32 v8, 0, v9, vcc_lo
	v_cmp_nlt_f32_e32 vcc_lo, 0x42b17218, v0
	s_waitcnt vmcnt(1)
	v_mov_b32_e32 v9, v5
	v_cndmask_b32_e32 v5, 0x7f800000, v10, vcc_lo
	v_mul_f32_e32 v10, s11, v8
	v_cmp_le_f32_e32 vcc_lo, 0xc1a00000, v0
	v_mov_b32_e32 v0, v7
	v_mov_b32_e32 v6, v10
	v_cndmask_b32_e32 v12, 0, v5, vcc_lo
	v_fmac_f32_e32 v6, v11, v12
	s_waitcnt vmcnt(0)
	v_mul_f32_e32 v5, v4, v8
	v_fmac_f32_e32 v5, v9, v12
	s_cbranch_scc0 .LBB50_3
	s_branch .LBB50_5
.LBB50_4:
	s_waitcnt lgkmcnt(0)
	v_mov_b32_e32 v6, s11
.LBB50_5:
	s_waitcnt vmcnt(0)
	v_div_scale_f32 v0, null, v6, v6, v5
	v_rcp_f32_e32 v3, v0
	v_fma_f32 v4, -v0, v3, 1.0
	v_fmac_f32_e32 v3, v4, v3
	v_div_scale_f32 v4, vcc_lo, v5, v6, v5
	v_mul_f32_e32 v7, v4, v3
	v_fma_f32 v8, -v0, v7, v4
	v_fmac_f32_e32 v7, v8, v3
	v_fma_f32 v0, -v0, v7, v4
	v_div_fmas_f32 v0, v0, v3, v7
	v_div_fixup_f32 v0, v0, v6, v5
	global_store_dword v[1:2], v0, off
.LBB50_6:
	s_endpgm
	.section	.rodata,"a",@progbits
	.p2align	6, 0x0
	.amdhsa_kernel _ZL33flash_attn_stream_k_fixup_uniformILi72ELi1ELi2EEvPfPK15HIP_vector_typeIfLj2EEiiiiiiS1_IjLj3EES5_S5_
		.amdhsa_group_segment_fixed_size 0
		.amdhsa_private_segment_fixed_size 0
		.amdhsa_kernarg_size 76
		.amdhsa_user_sgpr_count 6
		.amdhsa_user_sgpr_private_segment_buffer 1
		.amdhsa_user_sgpr_dispatch_ptr 0
		.amdhsa_user_sgpr_queue_ptr 0
		.amdhsa_user_sgpr_kernarg_segment_ptr 1
		.amdhsa_user_sgpr_dispatch_id 0
		.amdhsa_user_sgpr_flat_scratch_init 0
		.amdhsa_user_sgpr_private_segment_size 0
		.amdhsa_wavefront_size32 1
		.amdhsa_uses_dynamic_stack 0
		.amdhsa_system_sgpr_private_segment_wavefront_offset 0
		.amdhsa_system_sgpr_workgroup_id_x 1
		.amdhsa_system_sgpr_workgroup_id_y 1
		.amdhsa_system_sgpr_workgroup_id_z 1
		.amdhsa_system_sgpr_workgroup_info 0
		.amdhsa_system_vgpr_workitem_id 0
		.amdhsa_next_free_vgpr 15
		.amdhsa_next_free_sgpr 24
		.amdhsa_reserve_vcc 1
		.amdhsa_reserve_flat_scratch 0
		.amdhsa_float_round_mode_32 0
		.amdhsa_float_round_mode_16_64 0
		.amdhsa_float_denorm_mode_32 3
		.amdhsa_float_denorm_mode_16_64 3
		.amdhsa_dx10_clamp 1
		.amdhsa_ieee_mode 1
		.amdhsa_fp16_overflow 0
		.amdhsa_workgroup_processor_mode 1
		.amdhsa_memory_ordered 1
		.amdhsa_forward_progress 1
		.amdhsa_shared_vgpr_count 0
		.amdhsa_exception_fp_ieee_invalid_op 0
		.amdhsa_exception_fp_denorm_src 0
		.amdhsa_exception_fp_ieee_div_zero 0
		.amdhsa_exception_fp_ieee_overflow 0
		.amdhsa_exception_fp_ieee_underflow 0
		.amdhsa_exception_fp_ieee_inexact 0
		.amdhsa_exception_int_div_zero 0
	.end_amdhsa_kernel
	.section	.text._ZL33flash_attn_stream_k_fixup_uniformILi72ELi1ELi2EEvPfPK15HIP_vector_typeIfLj2EEiiiiiiS1_IjLj3EES5_S5_,"axG",@progbits,_ZL33flash_attn_stream_k_fixup_uniformILi72ELi1ELi2EEvPfPK15HIP_vector_typeIfLj2EEiiiiiiS1_IjLj3EES5_S5_,comdat
.Lfunc_end50:
	.size	_ZL33flash_attn_stream_k_fixup_uniformILi72ELi1ELi2EEvPfPK15HIP_vector_typeIfLj2EEiiiiiiS1_IjLj3EES5_S5_, .Lfunc_end50-_ZL33flash_attn_stream_k_fixup_uniformILi72ELi1ELi2EEvPfPK15HIP_vector_typeIfLj2EEiiiiiiS1_IjLj3EES5_S5_
                                        ; -- End function
	.set _ZL33flash_attn_stream_k_fixup_uniformILi72ELi1ELi2EEvPfPK15HIP_vector_typeIfLj2EEiiiiiiS1_IjLj3EES5_S5_.num_vgpr, 15
	.set _ZL33flash_attn_stream_k_fixup_uniformILi72ELi1ELi2EEvPfPK15HIP_vector_typeIfLj2EEiiiiiiS1_IjLj3EES5_S5_.num_agpr, 0
	.set _ZL33flash_attn_stream_k_fixup_uniformILi72ELi1ELi2EEvPfPK15HIP_vector_typeIfLj2EEiiiiiiS1_IjLj3EES5_S5_.numbered_sgpr, 24
	.set _ZL33flash_attn_stream_k_fixup_uniformILi72ELi1ELi2EEvPfPK15HIP_vector_typeIfLj2EEiiiiiiS1_IjLj3EES5_S5_.num_named_barrier, 0
	.set _ZL33flash_attn_stream_k_fixup_uniformILi72ELi1ELi2EEvPfPK15HIP_vector_typeIfLj2EEiiiiiiS1_IjLj3EES5_S5_.private_seg_size, 0
	.set _ZL33flash_attn_stream_k_fixup_uniformILi72ELi1ELi2EEvPfPK15HIP_vector_typeIfLj2EEiiiiiiS1_IjLj3EES5_S5_.uses_vcc, 1
	.set _ZL33flash_attn_stream_k_fixup_uniformILi72ELi1ELi2EEvPfPK15HIP_vector_typeIfLj2EEiiiiiiS1_IjLj3EES5_S5_.uses_flat_scratch, 0
	.set _ZL33flash_attn_stream_k_fixup_uniformILi72ELi1ELi2EEvPfPK15HIP_vector_typeIfLj2EEiiiiiiS1_IjLj3EES5_S5_.has_dyn_sized_stack, 0
	.set _ZL33flash_attn_stream_k_fixup_uniformILi72ELi1ELi2EEvPfPK15HIP_vector_typeIfLj2EEiiiiiiS1_IjLj3EES5_S5_.has_recursion, 0
	.set _ZL33flash_attn_stream_k_fixup_uniformILi72ELi1ELi2EEvPfPK15HIP_vector_typeIfLj2EEiiiiiiS1_IjLj3EES5_S5_.has_indirect_call, 0
	.section	.AMDGPU.csdata,"",@progbits
; Kernel info:
; codeLenInByte = 836
; TotalNumSgprs: 26
; NumVgprs: 15
; ScratchSize: 0
; MemoryBound: 0
; FloatMode: 240
; IeeeMode: 1
; LDSByteSize: 0 bytes/workgroup (compile time only)
; SGPRBlocks: 0
; VGPRBlocks: 1
; NumSGPRsForWavesPerEU: 26
; NumVGPRsForWavesPerEU: 15
; Occupancy: 16
; WaveLimiterHint : 0
; COMPUTE_PGM_RSRC2:SCRATCH_EN: 0
; COMPUTE_PGM_RSRC2:USER_SGPR: 6
; COMPUTE_PGM_RSRC2:TRAP_HANDLER: 0
; COMPUTE_PGM_RSRC2:TGID_X_EN: 1
; COMPUTE_PGM_RSRC2:TGID_Y_EN: 1
; COMPUTE_PGM_RSRC2:TGID_Z_EN: 1
; COMPUTE_PGM_RSRC2:TIDIG_COMP_CNT: 0
	.section	.text._ZL33flash_attn_stream_k_fixup_generalILi72ELi1ELi2EEvPfPK15HIP_vector_typeIfLj2EEiiiiS1_IjLj3EES5_S5_S5_,"axG",@progbits,_ZL33flash_attn_stream_k_fixup_generalILi72ELi1ELi2EEvPfPK15HIP_vector_typeIfLj2EEiiiiS1_IjLj3EES5_S5_S5_,comdat
	.globl	_ZL33flash_attn_stream_k_fixup_generalILi72ELi1ELi2EEvPfPK15HIP_vector_typeIfLj2EEiiiiS1_IjLj3EES5_S5_S5_ ; -- Begin function _ZL33flash_attn_stream_k_fixup_generalILi72ELi1ELi2EEvPfPK15HIP_vector_typeIfLj2EEiiiiS1_IjLj3EES5_S5_S5_
	.p2align	8
	.type	_ZL33flash_attn_stream_k_fixup_generalILi72ELi1ELi2EEvPfPK15HIP_vector_typeIfLj2EEiiiiS1_IjLj3EES5_S5_S5_,@function
_ZL33flash_attn_stream_k_fixup_generalILi72ELi1ELi2EEvPfPK15HIP_vector_typeIfLj2EEiiiiS1_IjLj3EES5_S5_S5_: ; @_ZL33flash_attn_stream_k_fixup_generalILi72ELi1ELi2EEvPfPK15HIP_vector_typeIfLj2EEiiiiS1_IjLj3EES5_S5_S5_
; %bb.0:
	s_clause 0x1
	s_load_dwordx4 s[0:3], s[4:5], 0x10
	s_load_dword s9, s[4:5], 0x50
	s_mov_b32 s16, 0
	s_waitcnt lgkmcnt(0)
	s_mul_hi_i32 s17, s3, s6
	s_mul_i32 s18, s3, s6
	s_cmp_lg_u64 s[16:17], 0
	s_cbranch_scc0 .LBB51_21
; %bb.1:
	s_add_u32 s10, s9, 0
	s_addc_u32 s11, 0, 0
	s_xor_b64 s[10:11], s[10:11], 0
	v_cvt_f32_u32_e32 v1, s10
	v_cvt_f32_u32_e32 v2, s11
	s_sub_u32 s14, 0, s10
	s_subb_u32 s15, 0, s11
	v_fmamk_f32 v1, v2, 0x4f800000, v1
	v_rcp_f32_e32 v1, v1
	v_mul_f32_e32 v1, 0x5f7ffffc, v1
	v_mul_f32_e32 v2, 0x2f800000, v1
	v_trunc_f32_e32 v2, v2
	v_fmamk_f32 v1, v2, 0xcf800000, v1
	v_cvt_u32_f32_e32 v2, v2
	v_cvt_u32_f32_e32 v1, v1
	v_readfirstlane_b32 s12, v2
	v_readfirstlane_b32 s13, v1
	s_mul_i32 s19, s14, s12
	s_mul_hi_u32 s21, s14, s13
	s_mul_i32 s20, s15, s13
	s_add_i32 s19, s21, s19
	s_mul_i32 s22, s14, s13
	s_add_i32 s19, s19, s20
	s_mul_hi_u32 s21, s13, s22
	s_mul_i32 s24, s13, s19
	s_mul_hi_u32 s23, s12, s22
	s_mul_i32 s20, s12, s22
	s_mul_hi_u32 s22, s13, s19
	s_add_u32 s21, s21, s24
	s_addc_u32 s22, 0, s22
	s_mul_hi_u32 s25, s12, s19
	s_add_u32 s20, s21, s20
	s_mul_i32 s19, s12, s19
	s_addc_u32 s20, s22, s23
	s_addc_u32 s21, s25, 0
	s_add_u32 s19, s20, s19
	s_addc_u32 s20, 0, s21
	s_add_u32 s13, s13, s19
	s_cselect_b32 s19, -1, 0
	s_mul_hi_u32 s21, s14, s13
	s_cmp_lg_u32 s19, 0
	s_mul_i32 s19, s14, s13
	s_addc_u32 s12, s12, s20
	s_mul_i32 s15, s15, s13
	s_mul_i32 s14, s14, s12
	s_mul_hi_u32 s20, s13, s19
	s_add_i32 s14, s21, s14
	s_mul_hi_u32 s21, s12, s19
	s_add_i32 s14, s14, s15
	s_mul_i32 s15, s12, s19
	s_mul_i32 s23, s13, s14
	s_mul_hi_u32 s22, s13, s14
	s_add_u32 s20, s20, s23
	s_addc_u32 s22, 0, s22
	s_mul_hi_u32 s19, s12, s14
	s_add_u32 s15, s20, s15
	s_mul_i32 s14, s12, s14
	s_addc_u32 s15, s22, s21
	s_addc_u32 s19, s19, 0
	s_add_u32 s14, s15, s14
	s_addc_u32 s15, 0, s19
	s_add_u32 s19, s13, s14
	s_cselect_b32 s13, -1, 0
	s_cmp_lg_u32 s13, 0
	s_addc_u32 s20, s12, s15
	s_ashr_i32 s12, s17, 31
	s_add_u32 s14, s18, s12
	s_mov_b32 s13, s12
	s_addc_u32 s15, s17, s12
	s_xor_b64 s[14:15], s[14:15], s[12:13]
	s_mul_i32 s21, s14, s20
	s_mul_hi_u32 s22, s14, s19
	s_mul_hi_u32 s17, s14, s20
	s_mul_hi_u32 s24, s15, s19
	s_mul_i32 s19, s15, s19
	s_add_u32 s21, s22, s21
	s_addc_u32 s17, 0, s17
	s_mul_hi_u32 s23, s15, s20
	s_add_u32 s19, s21, s19
	s_mul_i32 s20, s15, s20
	s_addc_u32 s17, s17, s24
	s_addc_u32 s19, s23, 0
	s_add_u32 s17, s17, s20
	s_addc_u32 s19, 0, s19
	s_mul_hi_u32 s20, s10, s17
	s_mul_i32 s21, s10, s19
	s_mul_i32 s22, s11, s17
	s_add_i32 s20, s20, s21
	s_mul_i32 s21, s10, s17
	s_add_i32 s20, s20, s22
	s_sub_i32 s22, s15, s20
	s_sub_u32 s14, s14, s21
	s_cselect_b32 s21, -1, 0
	s_cmp_lg_u32 s21, 0
	s_subb_u32 s22, s22, s11
	s_sub_u32 s23, s14, s10
	s_cselect_b32 s24, -1, 0
	s_cmp_lg_u32 s24, 0
	s_subb_u32 s22, s22, 0
	s_cmp_ge_u32 s22, s11
	s_cselect_b32 s24, -1, 0
	s_cmp_ge_u32 s23, s10
	s_cselect_b32 s23, -1, 0
	s_cmp_eq_u32 s22, s11
	s_cselect_b32 s22, s23, s24
	s_add_u32 s23, s17, 1
	s_addc_u32 s24, s19, 0
	s_add_u32 s25, s17, 2
	s_addc_u32 s26, s19, 0
	s_cmp_lg_u32 s22, 0
	s_cselect_b32 s22, s25, s23
	s_cselect_b32 s23, s26, s24
	s_cmp_lg_u32 s21, 0
	s_subb_u32 s15, s15, s20
	s_cmp_ge_u32 s15, s11
	s_cselect_b32 s20, -1, 0
	s_cmp_ge_u32 s14, s10
	s_cselect_b32 s10, -1, 0
	s_cmp_eq_u32 s15, s11
	s_cselect_b32 s10, s10, s20
	s_cmp_lg_u32 s10, 0
	s_cselect_b32 s11, s23, s19
	s_cselect_b32 s10, s22, s17
	s_xor_b64 s[12:13], s[12:13], 0
	s_xor_b64 s[10:11], s[10:11], s[12:13]
	s_sub_u32 s10, s10, s12
	s_load_dwordx4 s[12:15], s[4:5], 0x44
	s_andn2_b32 vcc_lo, exec_lo, s16
	s_cbranch_vccnz .LBB51_3
.LBB51_2:
	v_cvt_f32_u32_e32 v1, s9
	s_sub_i32 s11, 0, s9
	v_rcp_iflag_f32_e32 v1, v1
	v_mul_f32_e32 v1, 0x4f7ffffe, v1
	v_cvt_u32_f32_e32 v1, v1
	v_readfirstlane_b32 s10, v1
	s_mul_i32 s11, s11, s10
	s_mul_hi_u32 s11, s10, s11
	s_add_i32 s10, s10, s11
	s_mul_hi_u32 s10, s18, s10
	s_mul_i32 s11, s10, s9
	s_waitcnt lgkmcnt(0)
	s_add_i32 s15, s10, 1
	s_sub_i32 s11, s18, s11
	s_sub_i32 s16, s11, s9
	s_cmp_ge_u32 s11, s9
	s_cselect_b32 s10, s15, s10
	s_cselect_b32 s11, s16, s11
	s_add_i32 s15, s10, 1
	s_cmp_ge_u32 s11, s9
	s_cselect_b32 s10, s15, s10
.LBB51_3:
	s_add_i32 s11, s6, 1
	s_mov_b32 s16, 0
	s_mul_hi_i32 s17, s3, s11
	s_mul_i32 s11, s3, s11
	s_cmp_lg_u64 s[16:17], 0
	s_cbranch_scc0 .LBB51_22
; %bb.4:
	s_add_u32 s18, s9, 0
	s_addc_u32 s19, 0, 0
	s_xor_b64 s[18:19], s[18:19], 0
	v_cvt_f32_u32_e32 v1, s18
	v_cvt_f32_u32_e32 v2, s19
	s_sub_u32 s21, 0, s18
	s_subb_u32 s22, 0, s19
	v_fmamk_f32 v1, v2, 0x4f800000, v1
	v_rcp_f32_e32 v1, v1
	v_mul_f32_e32 v1, 0x5f7ffffc, v1
	v_mul_f32_e32 v2, 0x2f800000, v1
	v_trunc_f32_e32 v2, v2
	v_fmamk_f32 v1, v2, 0xcf800000, v1
	v_cvt_u32_f32_e32 v2, v2
	v_cvt_u32_f32_e32 v1, v1
	s_waitcnt lgkmcnt(0)
	v_readfirstlane_b32 s15, v2
	v_readfirstlane_b32 s20, v1
	s_mul_i32 s23, s21, s15
	s_mul_hi_u32 s25, s21, s20
	s_mul_i32 s24, s22, s20
	s_add_i32 s23, s25, s23
	s_mul_i32 s26, s21, s20
	s_add_i32 s23, s23, s24
	s_mul_hi_u32 s25, s20, s26
	s_mul_i32 s28, s20, s23
	s_mul_hi_u32 s27, s15, s26
	s_mul_i32 s24, s15, s26
	s_mul_hi_u32 s26, s20, s23
	s_add_u32 s25, s25, s28
	s_addc_u32 s26, 0, s26
	s_mul_hi_u32 s29, s15, s23
	s_add_u32 s24, s25, s24
	s_mul_i32 s23, s15, s23
	s_addc_u32 s24, s26, s27
	s_addc_u32 s25, s29, 0
	s_add_u32 s23, s24, s23
	s_addc_u32 s24, 0, s25
	s_add_u32 s20, s20, s23
	s_cselect_b32 s23, -1, 0
	s_mul_hi_u32 s25, s21, s20
	s_cmp_lg_u32 s23, 0
	s_mul_i32 s23, s21, s20
	s_addc_u32 s15, s15, s24
	s_mul_i32 s22, s22, s20
	s_mul_i32 s21, s21, s15
	s_mul_hi_u32 s24, s20, s23
	s_add_i32 s21, s25, s21
	s_mul_hi_u32 s25, s15, s23
	s_add_i32 s21, s21, s22
	s_mul_i32 s22, s15, s23
	s_mul_i32 s27, s20, s21
	s_mul_hi_u32 s26, s20, s21
	s_add_u32 s24, s24, s27
	s_addc_u32 s26, 0, s26
	s_mul_hi_u32 s23, s15, s21
	s_add_u32 s22, s24, s22
	s_mul_i32 s21, s15, s21
	s_addc_u32 s22, s26, s25
	s_addc_u32 s23, s23, 0
	s_add_u32 s21, s22, s21
	s_addc_u32 s22, 0, s23
	s_add_u32 s24, s20, s21
	s_cselect_b32 s20, -1, 0
	s_cmp_lg_u32 s20, 0
	s_addc_u32 s15, s15, s22
	s_ashr_i32 s20, s17, 31
	s_add_u32 s22, s11, s20
	s_mov_b32 s21, s20
	s_addc_u32 s23, s17, s20
	s_xor_b64 s[22:23], s[22:23], s[20:21]
	s_mul_i32 s25, s22, s15
	s_mul_hi_u32 s26, s22, s24
	s_mul_hi_u32 s17, s22, s15
	;; [unrolled: 1-line block ×3, first 2 shown]
	s_mul_i32 s24, s23, s24
	s_add_u32 s25, s26, s25
	s_addc_u32 s17, 0, s17
	s_mul_hi_u32 s27, s23, s15
	s_add_u32 s24, s25, s24
	s_mul_i32 s15, s23, s15
	s_addc_u32 s17, s17, s28
	s_addc_u32 s24, s27, 0
	s_add_u32 s15, s17, s15
	s_addc_u32 s17, 0, s24
	s_mul_hi_u32 s24, s18, s15
	s_mul_i32 s25, s18, s17
	s_mul_i32 s26, s19, s15
	s_add_i32 s24, s24, s25
	s_mul_i32 s25, s18, s15
	s_add_i32 s24, s24, s26
	s_sub_i32 s26, s23, s24
	s_sub_u32 s22, s22, s25
	s_cselect_b32 s25, -1, 0
	s_cmp_lg_u32 s25, 0
	s_subb_u32 s26, s26, s19
	s_sub_u32 s27, s22, s18
	s_cselect_b32 s28, -1, 0
	s_cmp_lg_u32 s28, 0
	s_subb_u32 s26, s26, 0
	s_cmp_ge_u32 s26, s19
	s_cselect_b32 s28, -1, 0
	s_cmp_ge_u32 s27, s18
	s_cselect_b32 s27, -1, 0
	s_cmp_eq_u32 s26, s19
	s_cselect_b32 s26, s27, s28
	s_add_u32 s27, s15, 1
	s_addc_u32 s28, s17, 0
	s_add_u32 s29, s15, 2
	s_addc_u32 s30, s17, 0
	s_cmp_lg_u32 s26, 0
	s_cselect_b32 s26, s29, s27
	s_cselect_b32 s27, s30, s28
	s_cmp_lg_u32 s25, 0
	s_subb_u32 s23, s23, s24
	s_cmp_ge_u32 s23, s19
	s_cselect_b32 s24, -1, 0
	s_cmp_ge_u32 s22, s18
	s_cselect_b32 s18, -1, 0
	s_cmp_eq_u32 s23, s19
	s_cselect_b32 s18, s18, s24
	s_cmp_lg_u32 s18, 0
	s_cselect_b32 s19, s27, s17
	s_cselect_b32 s18, s26, s15
	s_xor_b64 s[20:21], s[20:21], 0
	s_xor_b64 s[18:19], s[18:19], s[20:21]
	s_sub_u32 s18, s18, s20
	s_andn2_b32 vcc_lo, exec_lo, s16
	s_cbranch_vccnz .LBB51_6
.LBB51_5:
	v_cvt_f32_u32_e32 v1, s9
	s_sub_i32 s16, 0, s9
	v_rcp_iflag_f32_e32 v1, v1
	v_mul_f32_e32 v1, 0x4f7ffffe, v1
	v_cvt_u32_f32_e32 v1, v1
	s_waitcnt lgkmcnt(0)
	v_readfirstlane_b32 s15, v1
	s_mul_i32 s16, s16, s15
	s_mul_hi_u32 s16, s15, s16
	s_add_i32 s15, s15, s16
	s_mul_hi_u32 s15, s11, s15
	s_mul_i32 s16, s15, s9
	s_sub_i32 s11, s11, s16
	s_add_i32 s16, s15, 1
	s_sub_i32 s17, s11, s9
	s_cmp_ge_u32 s11, s9
	s_cselect_b32 s15, s16, s15
	s_cselect_b32 s11, s17, s11
	s_add_i32 s16, s15, 1
	s_cmp_ge_u32 s11, s9
	s_cselect_b32 s18, s16, s15
.LBB51_6:
	s_cmp_eq_u32 s10, s18
	s_waitcnt lgkmcnt(0)
	s_mul_hi_u32 s11, s10, s12
	s_cselect_b32 s15, -1, 0
	s_add_i32 s11, s11, s10
	s_lshr_b32 s11, s11, s13
	s_mul_i32 s16, s11, s14
	s_cmp_eq_u32 s16, s10
	s_mul_hi_u32 s16, s18, s12
	s_cselect_b32 s17, -1, 0
	s_add_i32 s16, s16, s18
	s_lshr_b32 s16, s16, s13
	s_cmp_eq_u32 s11, s16
	s_mul_i32 s16, s16, s14
	s_cselect_b32 s19, -1, 0
	s_cmp_lg_u32 s16, s18
	s_cselect_b32 s16, -1, 0
	s_or_b32 s15, s15, s17
	s_and_b32 s16, s19, s16
	s_or_b32 s15, s15, s16
	s_and_b32 vcc_lo, exec_lo, s15
	s_cbranch_vccnz .LBB51_24
; %bb.7:
	s_load_dwordx8 s[16:23], s[4:5], 0x20
	s_waitcnt lgkmcnt(0)
	s_mul_hi_u32 s15, s10, s16
	s_load_dword s16, s[4:5], 0x40
	s_add_i32 s15, s15, s10
	s_lshr_b32 s15, s15, s17
	s_mul_i32 s17, s15, s18
	s_sub_i32 s17, s10, s17
	s_mul_hi_u32 s18, s17, s19
	s_add_i32 s18, s17, s18
	s_lshr_b32 s20, s18, s20
	s_mul_i32 s18, s20, s21
	s_sub_i32 s17, s17, s18
	s_mul_hi_u32 s18, s17, s22
	s_add_i32 s18, s17, s18
	s_lshr_b32 s18, s18, s23
	s_waitcnt lgkmcnt(0)
	s_mul_i32 s16, s18, s16
	s_lshl_b32 s22, s18, 1
	s_sub_i32 s16, s17, s16
	s_mul_hi_u32 s17, s16, s12
	s_add_i32 s16, s16, s17
	s_lshr_b32 s21, s16, s13
	s_add_i32 s21, s21, s7
	s_cmp_lt_i32 s21, s0
	s_cselect_b32 s16, -1, 0
	s_add_i32 s22, s22, s8
	s_cmp_lt_i32 s22, s2
	s_cselect_b32 s17, -1, 0
	s_and_b32 s16, s16, s17
	s_andn2_b32 vcc_lo, exec_lo, s16
	s_cbranch_vccnz .LBB51_24
; %bb.8:
	s_load_dwordx4 s[16:19], s[4:5], 0x0
	s_mov_b32 s4, 0
	s_lshl_b32 s24, s9, 3
	s_mov_b32 s25, s4
	s_lshl_b32 s5, s7, 1
	s_lshl_b64 s[24:25], s[24:25], 2
	s_mul_i32 s0, s15, s0
	s_add_i32 s5, s5, s8
	s_mul_i32 s20, s20, s2
	v_cvt_f32_u32_e32 v3, s9
	v_rcp_iflag_f32_e32 v3, v3
	s_waitcnt lgkmcnt(0)
	s_add_u32 s2, s18, s24
	s_addc_u32 s15, s19, s25
	s_add_i32 s0, s21, s0
	s_add_i32 s20, s22, s20
	s_mul_i32 s0, s0, s1
	v_mul_f32_e32 v7, 0x4f7ffffe, v3
	s_add_i32 s20, s20, s0
	s_add_i32 s0, s7, s6
	v_mad_u64_u32 v[1:2], null, 0x48, s20, v[0:1]
	s_lshl_b32 s0, s0, 1
	s_add_i32 s0, s0, s8
	s_ashr_i32 s1, s0, 31
	v_ashrrev_i32_e32 v2, 31, v1
	s_lshl_b64 s[0:1], s[0:1], 3
	s_add_u32 s0, s18, s0
	s_addc_u32 s1, s19, s1
	v_lshlrev_b64 v[1:2], 2, v[1:2]
	s_load_dwordx2 s[0:1], s[0:1], 0x0
	v_add_co_u32 v1, vcc_lo, s16, v1
	v_add_co_ci_u32_e64 v2, null, s17, v2, vcc_lo
	s_add_i32 s17, s6, -1
	v_mad_u64_u32 v[3:4], null, 0x48, s5, v[0:1]
	global_load_dword v5, v[1:2], off
	v_cvt_u32_f32_e32 v0, v7
	s_add_i32 s16, s9, s7
	s_waitcnt lgkmcnt(0)
	v_mov_b32_e32 v4, s1
	v_mov_b32_e32 v6, s0
.LBB51_9:                               ; =>This Inner Loop Header: Depth=1
	s_mul_hi_i32 s5, s17, s3
	s_mul_i32 s6, s17, s3
	s_cmp_lg_u64 s[4:5], 0
	s_mov_b32 s7, -1
                                        ; implicit-def: $sgpr0_sgpr1
	s_cbranch_scc0 .LBB51_11
; %bb.10:                               ;   in Loop: Header=BB51_9 Depth=1
	s_add_u32 s0, s9, 0
	s_addc_u32 s1, 0, 0
	s_xor_b64 s[0:1], s[0:1], 0
	v_cvt_f32_u32_e32 v7, s0
	v_cvt_f32_u32_e32 v8, s1
	s_sub_u32 s21, 0, s0
	s_subb_u32 s22, 0, s1
	v_fmac_f32_e32 v7, 0x4f800000, v8
	v_rcp_f32_e32 v7, v7
	v_mul_f32_e32 v7, 0x5f7ffffc, v7
	v_mul_f32_e32 v8, 0x2f800000, v7
	v_trunc_f32_e32 v8, v8
	v_fmac_f32_e32 v7, 0xcf800000, v8
	v_cvt_u32_f32_e32 v8, v8
	v_cvt_u32_f32_e32 v7, v7
	v_readfirstlane_b32 s7, v8
	v_readfirstlane_b32 s20, v7
	s_mul_i32 s23, s21, s7
	s_mul_hi_u32 s25, s21, s20
	s_mul_i32 s24, s22, s20
	s_add_i32 s23, s25, s23
	s_mul_i32 s26, s21, s20
	s_add_i32 s23, s23, s24
	s_mul_hi_u32 s25, s20, s26
	s_mul_i32 s28, s20, s23
	s_mul_hi_u32 s27, s7, s26
	s_mul_i32 s24, s7, s26
	s_mul_hi_u32 s26, s20, s23
	s_add_u32 s25, s25, s28
	s_addc_u32 s26, 0, s26
	s_mul_hi_u32 s29, s7, s23
	s_add_u32 s24, s25, s24
	s_mul_i32 s23, s7, s23
	s_addc_u32 s24, s26, s27
	s_addc_u32 s25, s29, 0
	s_add_u32 s23, s24, s23
	s_addc_u32 s24, 0, s25
	s_add_u32 s20, s20, s23
	s_cselect_b32 s23, -1, 0
	s_mul_hi_u32 s25, s21, s20
	s_cmp_lg_u32 s23, 0
	s_mul_i32 s23, s21, s20
	s_addc_u32 s7, s7, s24
	s_mul_i32 s22, s22, s20
	s_mul_i32 s21, s21, s7
	s_mul_hi_u32 s24, s20, s23
	s_add_i32 s21, s25, s21
	s_mul_hi_u32 s25, s7, s23
	s_add_i32 s21, s21, s22
	s_mul_i32 s22, s7, s23
	s_mul_i32 s27, s20, s21
	s_mul_hi_u32 s26, s20, s21
	s_add_u32 s24, s24, s27
	s_addc_u32 s26, 0, s26
	s_mul_hi_u32 s23, s7, s21
	s_add_u32 s22, s24, s22
	s_mul_i32 s21, s7, s21
	s_addc_u32 s22, s26, s25
	s_addc_u32 s23, s23, 0
	s_add_u32 s21, s22, s21
	s_addc_u32 s22, 0, s23
	s_add_u32 s24, s20, s21
	s_cselect_b32 s20, -1, 0
	s_cmp_lg_u32 s20, 0
	s_addc_u32 s7, s7, s22
	s_ashr_i32 s20, s5, 31
	s_add_u32 s22, s6, s20
	s_mov_b32 s21, s20
	s_addc_u32 s23, s5, s20
	s_xor_b64 s[22:23], s[22:23], s[20:21]
	s_mul_i32 s25, s22, s7
	s_mul_hi_u32 s26, s22, s24
	s_mul_hi_u32 s5, s22, s7
	;; [unrolled: 1-line block ×3, first 2 shown]
	s_mul_i32 s24, s23, s24
	s_add_u32 s25, s26, s25
	s_addc_u32 s5, 0, s5
	s_mul_hi_u32 s27, s23, s7
	s_add_u32 s24, s25, s24
	s_mul_i32 s7, s23, s7
	s_addc_u32 s5, s5, s28
	s_addc_u32 s24, s27, 0
	s_add_u32 s5, s5, s7
	s_addc_u32 s7, 0, s24
	s_mul_hi_u32 s24, s0, s5
	s_mul_i32 s25, s0, s7
	s_mul_i32 s26, s1, s5
	s_add_i32 s24, s24, s25
	s_mul_i32 s25, s0, s5
	s_add_i32 s24, s24, s26
	s_sub_i32 s26, s23, s24
	s_sub_u32 s22, s22, s25
	s_cselect_b32 s25, -1, 0
	s_cmp_lg_u32 s25, 0
	s_subb_u32 s26, s26, s1
	s_sub_u32 s27, s22, s0
	s_cselect_b32 s28, -1, 0
	s_cmp_lg_u32 s28, 0
	s_subb_u32 s26, s26, 0
	s_cmp_ge_u32 s26, s1
	s_cselect_b32 s28, -1, 0
	s_cmp_ge_u32 s27, s0
	s_cselect_b32 s27, -1, 0
	s_cmp_eq_u32 s26, s1
	s_cselect_b32 s26, s27, s28
	s_add_u32 s27, s5, 1
	s_addc_u32 s28, s7, 0
	s_add_u32 s29, s5, 2
	s_addc_u32 s30, s7, 0
	s_cmp_lg_u32 s26, 0
	s_cselect_b32 s26, s29, s27
	s_cselect_b32 s27, s30, s28
	s_cmp_lg_u32 s25, 0
	s_subb_u32 s23, s23, s24
	s_cmp_ge_u32 s23, s1
	s_cselect_b32 s24, -1, 0
	s_cmp_ge_u32 s22, s0
	s_cselect_b32 s0, -1, 0
	s_cmp_eq_u32 s23, s1
	s_cselect_b32 s0, s0, s24
	s_cmp_lg_u32 s0, 0
	s_cselect_b32 s1, s27, s7
	s_cselect_b32 s0, s26, s5
	s_xor_b64 s[20:21], s[20:21], 0
	s_mov_b32 s7, 0
	s_xor_b64 s[0:1], s[0:1], s[20:21]
	s_sub_u32 s0, s0, s20
.LBB51_11:                              ;   in Loop: Header=BB51_9 Depth=1
	s_andn2_b32 vcc_lo, exec_lo, s7
	s_cbranch_vccnz .LBB51_13
; %bb.12:                               ;   in Loop: Header=BB51_9 Depth=1
	v_readfirstlane_b32 s0, v0
	s_sub_i32 s1, 0, s9
	s_mul_i32 s1, s1, s0
	s_mul_hi_u32 s1, s0, s1
	s_add_i32 s0, s0, s1
	s_mul_hi_u32 s0, s6, s0
	s_mul_i32 s1, s0, s9
	s_add_i32 s5, s0, 1
	s_sub_i32 s1, s6, s1
	s_sub_i32 s6, s1, s9
	s_cmp_ge_u32 s1, s9
	s_cselect_b32 s0, s5, s0
	s_cselect_b32 s1, s6, s1
	s_add_i32 s5, s0, 1
	s_cmp_ge_u32 s1, s9
	s_cselect_b32 s0, s5, s0
.LBB51_13:                              ;   in Loop: Header=BB51_9 Depth=1
	s_cmp_lg_u32 s10, s0
	s_mov_b32 s6, -1
                                        ; implicit-def: $sgpr5
                                        ; implicit-def: $vgpr8
                                        ; implicit-def: $vgpr7
                                        ; implicit-def: $vgpr9
                                        ; implicit-def: $sgpr1
                                        ; implicit-def: $sgpr20
	s_cbranch_scc0 .LBB51_18
; %bb.14:                               ;   in Loop: Header=BB51_9 Depth=1
	s_add_i32 s1, s16, s17
	s_mov_b32 s7, s4
	s_lshl_b32 s1, s1, 1
	s_mov_b32 s20, s10
	s_add_i32 s6, s1, s8
	s_mul_hi_u32 s1, s0, s12
	s_lshl_b64 s[6:7], s[6:7], 3
	s_add_u32 s6, s18, s6
	s_addc_u32 s7, s19, s7
	s_add_i32 s1, s1, s0
	s_lshr_b32 s1, s1, s13
	s_mul_i32 s5, s1, s14
	s_cmp_eq_u32 s5, s0
	s_cselect_b32 s5, -1, 0
	s_cmp_lt_u32 s1, s11
	s_cselect_b32 s1, -1, 0
	s_or_b32 s1, s1, s5
	s_mov_b32 s5, -1
	s_and_b32 vcc_lo, exec_lo, s1
	s_mov_b32 s1, s17
	s_cbranch_vccnz .LBB51_16
; %bb.15:                               ;   in Loop: Header=BB51_9 Depth=1
	s_add_i32 s1, s17, -1
	s_mov_b32 s5, 0
	s_mov_b32 s20, s0
.LBB51_16:                              ;   in Loop: Header=BB51_9 Depth=1
	v_mad_u64_u32 v[7:8], null, 0x90, s17, v[3:4]
	s_load_dwordx2 s[6:7], s[6:7], 0x0
	v_ashrrev_i32_e32 v8, 31, v7
	v_lshlrev_b64 v[7:8], 2, v[7:8]
	v_add_co_u32 v7, vcc_lo, s2, v7
	v_add_co_ci_u32_e64 v8, null, s15, v8, vcc_lo
	s_waitcnt lgkmcnt(0)
	v_max_f32_e64 v9, s6, s6
	global_load_dword v8, v[7:8], off
	v_max_f32_e32 v7, v6, v6
	v_max_f32_e32 v7, v7, v9
	v_sub_f32_e32 v9, s6, v7
	v_sub_f32_e32 v10, v6, v7
	v_mul_f32_e32 v11, 0x3fb8aa3b, v9
	v_mul_f32_e32 v12, 0x3fb8aa3b, v10
	v_cmp_ngt_f32_e32 vcc_lo, 0xc2ce8ed0, v9
	v_fma_f32 v13, 0x3fb8aa3b, v9, -v11
	v_rndne_f32_e32 v14, v11
	v_fma_f32 v15, 0x3fb8aa3b, v10, -v12
	v_rndne_f32_e32 v16, v12
	v_fmac_f32_e32 v13, 0x32a5705f, v9
	v_sub_f32_e32 v11, v11, v14
	v_fmac_f32_e32 v15, 0x32a5705f, v10
	v_sub_f32_e32 v12, v12, v16
	v_add_f32_e32 v11, v11, v13
	v_cvt_i32_f32_e32 v13, v14
	v_add_f32_e32 v12, v12, v15
	v_cvt_i32_f32_e32 v14, v16
	v_exp_f32_e32 v11, v11
	v_exp_f32_e32 v12, v12
	v_ldexp_f32 v11, v11, v13
	v_ldexp_f32 v12, v12, v14
	v_cndmask_b32_e32 v11, 0, v11, vcc_lo
	v_cmp_ngt_f32_e32 vcc_lo, 0xc2ce8ed0, v10
	v_cndmask_b32_e32 v12, 0, v12, vcc_lo
	v_cmp_nlt_f32_e32 vcc_lo, 0x42b17218, v9
	v_cndmask_b32_e32 v11, 0x7f800000, v11, vcc_lo
	v_cmp_nlt_f32_e32 vcc_lo, 0x42b17218, v10
	v_cndmask_b32_e32 v12, 0x7f800000, v12, vcc_lo
	v_cmp_le_f32_e32 vcc_lo, 0xc1a00000, v9
	v_cndmask_b32_e32 v9, 0, v11, vcc_lo
	v_cmp_le_f32_e32 vcc_lo, 0xc1a00000, v10
	v_cndmask_b32_e32 v10, 0, v12, vcc_lo
	s_waitcnt vmcnt(0)
	v_mul_f32_e32 v8, v8, v9
	v_mul_f32_e32 v9, s7, v9
	v_fmac_f32_e32 v8, v5, v10
	v_fmac_f32_e32 v9, v4, v10
	s_cbranch_execz .LBB51_19
.LBB51_17:                              ;   in Loop: Header=BB51_9 Depth=1
	s_andn2_b32 vcc_lo, exec_lo, s5
	s_cbranch_vccnz .LBB51_20
	s_branch .LBB51_23
.LBB51_18:                              ;   in Loop: Header=BB51_9 Depth=1
	s_andn2_b32 vcc_lo, exec_lo, s6
	s_cbranch_vccnz .LBB51_17
.LBB51_19:                              ;   in Loop: Header=BB51_9 Depth=1
	v_mov_b32_e32 v9, v4
	v_mov_b32_e32 v7, v6
	s_waitcnt vmcnt(0)
	v_mov_b32_e32 v8, v5
	s_add_i32 s1, s17, -1
	s_mov_b32 s20, s10
	s_cbranch_execz .LBB51_23
.LBB51_20:                              ;   in Loop: Header=BB51_9 Depth=1
	v_mov_b32_e32 v4, v9
	v_mov_b32_e32 v6, v7
	s_waitcnt vmcnt(0)
	v_mov_b32_e32 v5, v8
	s_mov_b32 s10, s20
	s_mov_b32 s17, s1
	s_branch .LBB51_9
.LBB51_21:
                                        ; implicit-def: $sgpr10_sgpr11
	s_load_dwordx4 s[12:15], s[4:5], 0x44
	s_branch .LBB51_2
.LBB51_22:
                                        ; implicit-def: $sgpr18_sgpr19
	s_branch .LBB51_5
.LBB51_23:
	v_div_scale_f32 v0, null, v9, v9, v8
	v_rcp_f32_e32 v3, v0
	v_fma_f32 v4, -v0, v3, 1.0
	v_fmac_f32_e32 v3, v4, v3
	v_div_scale_f32 v4, vcc_lo, v8, v9, v8
	s_waitcnt vmcnt(0)
	v_mul_f32_e32 v5, v4, v3
	v_fma_f32 v6, -v0, v5, v4
	v_fmac_f32_e32 v5, v6, v3
	v_fma_f32 v0, -v0, v5, v4
	v_div_fmas_f32 v0, v0, v3, v5
	v_div_fixup_f32 v0, v0, v9, v8
	global_store_dword v[1:2], v0, off
.LBB51_24:
	s_endpgm
	.section	.rodata,"a",@progbits
	.p2align	6, 0x0
	.amdhsa_kernel _ZL33flash_attn_stream_k_fixup_generalILi72ELi1ELi2EEvPfPK15HIP_vector_typeIfLj2EEiiiiS1_IjLj3EES5_S5_S5_
		.amdhsa_group_segment_fixed_size 0
		.amdhsa_private_segment_fixed_size 0
		.amdhsa_kernarg_size 336
		.amdhsa_user_sgpr_count 6
		.amdhsa_user_sgpr_private_segment_buffer 1
		.amdhsa_user_sgpr_dispatch_ptr 0
		.amdhsa_user_sgpr_queue_ptr 0
		.amdhsa_user_sgpr_kernarg_segment_ptr 1
		.amdhsa_user_sgpr_dispatch_id 0
		.amdhsa_user_sgpr_flat_scratch_init 0
		.amdhsa_user_sgpr_private_segment_size 0
		.amdhsa_wavefront_size32 1
		.amdhsa_uses_dynamic_stack 0
		.amdhsa_system_sgpr_private_segment_wavefront_offset 0
		.amdhsa_system_sgpr_workgroup_id_x 1
		.amdhsa_system_sgpr_workgroup_id_y 1
		.amdhsa_system_sgpr_workgroup_id_z 1
		.amdhsa_system_sgpr_workgroup_info 0
		.amdhsa_system_vgpr_workitem_id 0
		.amdhsa_next_free_vgpr 17
		.amdhsa_next_free_sgpr 31
		.amdhsa_reserve_vcc 1
		.amdhsa_reserve_flat_scratch 0
		.amdhsa_float_round_mode_32 0
		.amdhsa_float_round_mode_16_64 0
		.amdhsa_float_denorm_mode_32 3
		.amdhsa_float_denorm_mode_16_64 3
		.amdhsa_dx10_clamp 1
		.amdhsa_ieee_mode 1
		.amdhsa_fp16_overflow 0
		.amdhsa_workgroup_processor_mode 1
		.amdhsa_memory_ordered 1
		.amdhsa_forward_progress 1
		.amdhsa_shared_vgpr_count 0
		.amdhsa_exception_fp_ieee_invalid_op 0
		.amdhsa_exception_fp_denorm_src 0
		.amdhsa_exception_fp_ieee_div_zero 0
		.amdhsa_exception_fp_ieee_overflow 0
		.amdhsa_exception_fp_ieee_underflow 0
		.amdhsa_exception_fp_ieee_inexact 0
		.amdhsa_exception_int_div_zero 0
	.end_amdhsa_kernel
	.section	.text._ZL33flash_attn_stream_k_fixup_generalILi72ELi1ELi2EEvPfPK15HIP_vector_typeIfLj2EEiiiiS1_IjLj3EES5_S5_S5_,"axG",@progbits,_ZL33flash_attn_stream_k_fixup_generalILi72ELi1ELi2EEvPfPK15HIP_vector_typeIfLj2EEiiiiS1_IjLj3EES5_S5_S5_,comdat
.Lfunc_end51:
	.size	_ZL33flash_attn_stream_k_fixup_generalILi72ELi1ELi2EEvPfPK15HIP_vector_typeIfLj2EEiiiiS1_IjLj3EES5_S5_S5_, .Lfunc_end51-_ZL33flash_attn_stream_k_fixup_generalILi72ELi1ELi2EEvPfPK15HIP_vector_typeIfLj2EEiiiiS1_IjLj3EES5_S5_S5_
                                        ; -- End function
	.set _ZL33flash_attn_stream_k_fixup_generalILi72ELi1ELi2EEvPfPK15HIP_vector_typeIfLj2EEiiiiS1_IjLj3EES5_S5_S5_.num_vgpr, 17
	.set _ZL33flash_attn_stream_k_fixup_generalILi72ELi1ELi2EEvPfPK15HIP_vector_typeIfLj2EEiiiiS1_IjLj3EES5_S5_S5_.num_agpr, 0
	.set _ZL33flash_attn_stream_k_fixup_generalILi72ELi1ELi2EEvPfPK15HIP_vector_typeIfLj2EEiiiiS1_IjLj3EES5_S5_S5_.numbered_sgpr, 31
	.set _ZL33flash_attn_stream_k_fixup_generalILi72ELi1ELi2EEvPfPK15HIP_vector_typeIfLj2EEiiiiS1_IjLj3EES5_S5_S5_.num_named_barrier, 0
	.set _ZL33flash_attn_stream_k_fixup_generalILi72ELi1ELi2EEvPfPK15HIP_vector_typeIfLj2EEiiiiS1_IjLj3EES5_S5_S5_.private_seg_size, 0
	.set _ZL33flash_attn_stream_k_fixup_generalILi72ELi1ELi2EEvPfPK15HIP_vector_typeIfLj2EEiiiiS1_IjLj3EES5_S5_S5_.uses_vcc, 1
	.set _ZL33flash_attn_stream_k_fixup_generalILi72ELi1ELi2EEvPfPK15HIP_vector_typeIfLj2EEiiiiS1_IjLj3EES5_S5_S5_.uses_flat_scratch, 0
	.set _ZL33flash_attn_stream_k_fixup_generalILi72ELi1ELi2EEvPfPK15HIP_vector_typeIfLj2EEiiiiS1_IjLj3EES5_S5_S5_.has_dyn_sized_stack, 0
	.set _ZL33flash_attn_stream_k_fixup_generalILi72ELi1ELi2EEvPfPK15HIP_vector_typeIfLj2EEiiiiS1_IjLj3EES5_S5_S5_.has_recursion, 0
	.set _ZL33flash_attn_stream_k_fixup_generalILi72ELi1ELi2EEvPfPK15HIP_vector_typeIfLj2EEiiiiS1_IjLj3EES5_S5_S5_.has_indirect_call, 0
	.section	.AMDGPU.csdata,"",@progbits
; Kernel info:
; codeLenInByte = 2944
; TotalNumSgprs: 33
; NumVgprs: 17
; ScratchSize: 0
; MemoryBound: 0
; FloatMode: 240
; IeeeMode: 1
; LDSByteSize: 0 bytes/workgroup (compile time only)
; SGPRBlocks: 0
; VGPRBlocks: 2
; NumSGPRsForWavesPerEU: 33
; NumVGPRsForWavesPerEU: 17
; Occupancy: 16
; WaveLimiterHint : 0
; COMPUTE_PGM_RSRC2:SCRATCH_EN: 0
; COMPUTE_PGM_RSRC2:USER_SGPR: 6
; COMPUTE_PGM_RSRC2:TRAP_HANDLER: 0
; COMPUTE_PGM_RSRC2:TGID_X_EN: 1
; COMPUTE_PGM_RSRC2:TGID_Y_EN: 1
; COMPUTE_PGM_RSRC2:TGID_Z_EN: 1
; COMPUTE_PGM_RSRC2:TIDIG_COMP_CNT: 0
	.section	.text._ZL15flash_attn_tileILi72ELi72ELi64ELi1ELb0EEvPKcS1_S1_S1_S1_PKiPfP15HIP_vector_typeIfLj2EEffffjfiS5_IjLj3EEiiiiiiiiiiiliiliiiiil,"axG",@progbits,_ZL15flash_attn_tileILi72ELi72ELi64ELi1ELb0EEvPKcS1_S1_S1_S1_PKiPfP15HIP_vector_typeIfLj2EEffffjfiS5_IjLj3EEiiiiiiiiiiiliiliiiiil,comdat
	.globl	_ZL15flash_attn_tileILi72ELi72ELi64ELi1ELb0EEvPKcS1_S1_S1_S1_PKiPfP15HIP_vector_typeIfLj2EEffffjfiS5_IjLj3EEiiiiiiiiiiiliiliiiiil ; -- Begin function _ZL15flash_attn_tileILi72ELi72ELi64ELi1ELb0EEvPKcS1_S1_S1_S1_PKiPfP15HIP_vector_typeIfLj2EEffffjfiS5_IjLj3EEiiiiiiiiiiiliiliiiiil
	.p2align	8
	.type	_ZL15flash_attn_tileILi72ELi72ELi64ELi1ELb0EEvPKcS1_S1_S1_S1_PKiPfP15HIP_vector_typeIfLj2EEffffjfiS5_IjLj3EEiiiiiiiiiiiliiliiiiil,@function
_ZL15flash_attn_tileILi72ELi72ELi64ELi1ELb0EEvPKcS1_S1_S1_S1_PKiPfP15HIP_vector_typeIfLj2EEffffjfiS5_IjLj3EEiiiiiiiiiiiliiliiiiil: ; @_ZL15flash_attn_tileILi72ELi72ELi64ELi1ELb0EEvPKcS1_S1_S1_S1_PKiPfP15HIP_vector_typeIfLj2EEffffjfiS5_IjLj3EEiiiiiiiiiiiliiliiiiil
; %bb.0:
	s_add_u32 s6, s6, s11
	s_addc_u32 s7, s7, 0
	s_setreg_b32 hwreg(HW_REG_FLAT_SCR_LO), s6
	s_setreg_b32 hwreg(HW_REG_FLAT_SCR_HI), s7
	s_clause 0x1
	s_load_dwordx4 s[36:39], s[4:5], 0x5c
	s_load_dwordx2 s[44:45], s[4:5], 0x80
	s_add_u32 s0, s0, s11
	s_addc_u32 s1, s1, 0
	s_mov_b32 s34, s9
	s_clause 0x1
	s_load_dwordx16 s[16:31], s[4:5], 0x0
	s_load_dwordx2 s[46:47], s[4:5], 0xb8
	s_mov_b64 s[42:43], 0
	s_waitcnt lgkmcnt(0)
	v_cvt_f32_u32_e32 v2, s39
	s_sub_i32 s7, 0, s39
	v_rcp_iflag_f32_e32 v2, v2
	v_mul_f32_e32 v2, 0x4f7ffffe, v2
	v_cvt_u32_f32_e32 v2, v2
	v_readfirstlane_b32 s6, v2
	s_mul_i32 s7, s7, s6
	s_mul_hi_u32 s7, s6, s7
	s_add_i32 s6, s6, s7
	s_mul_hi_u32 s6, s10, s6
	s_mul_i32 s7, s6, s39
	s_add_i32 s9, s6, 1
	s_sub_i32 s7, s10, s7
	s_sub_i32 s11, s7, s39
	s_cmp_ge_u32 s7, s39
	s_cselect_b32 s6, s9, s6
	s_cselect_b32 s7, s11, s7
	s_add_i32 s9, s6, 1
	s_cmp_ge_u32 s7, s39
	s_cselect_b32 s35, s9, s6
	s_abs_i32 s6, s45
	s_abs_i32 s11, s39
	v_cvt_f32_u32_e32 v2, s6
	s_sub_i32 s9, 0, s6
	v_rcp_iflag_f32_e32 v2, v2
	v_mul_f32_e32 v2, 0x4f7ffffe, v2
	v_cvt_u32_f32_e32 v2, v2
	v_readfirstlane_b32 s7, v2
	s_mul_i32 s9, s9, s7
	s_mul_hi_u32 s9, s7, s9
	s_add_i32 s7, s7, s9
	s_xor_b32 s9, s39, s45
	s_mul_hi_u32 s7, s11, s7
	s_ashr_i32 s9, s9, 31
	s_mul_i32 s12, s7, s6
	s_sub_i32 s11, s11, s12
	s_add_i32 s12, s7, 1
	s_sub_i32 s13, s11, s6
	s_cmp_ge_u32 s11, s6
	s_cselect_b32 s7, s12, s7
	s_cselect_b32 s11, s13, s11
	s_add_i32 s12, s7, 1
	s_cmp_ge_u32 s11, s6
	s_cselect_b32 s6, s12, s7
	s_xor_b32 s6, s6, s9
	s_sub_i32 s45, s6, s9
	s_mul_i32 s6, s35, s39
	s_abs_i32 s48, s45
	s_cmp_eq_u64 s[22:23], 0
	v_cvt_f32_u32_e32 v2, s48
	v_rcp_iflag_f32_e32 v2, v2
	v_mul_f32_e32 v2, 0x4f7ffffe, v2
	v_cvt_u32_f32_e32 v2, v2
	v_readfirstlane_b32 s41, v2
	s_cbranch_scc1 .LBB52_2
; %bb.1:
	s_abs_i32 s7, s46
	s_abs_i32 s14, s35
	v_cvt_f32_u32_e32 v2, s7
	s_sub_i32 s11, 0, s7
	s_load_dwordx2 s[12:13], s[4:5], 0xc8
	v_rcp_iflag_f32_e32 v2, v2
	v_mul_f32_e32 v2, 0x4f7ffffe, v2
	v_cvt_u32_f32_e32 v2, v2
	v_readfirstlane_b32 s9, v2
	s_mul_i32 s11, s11, s9
	s_mul_hi_u32 s11, s9, s11
	s_add_i32 s9, s9, s11
	s_ashr_i32 s11, s35, 31
	s_mul_hi_u32 s9, s14, s9
	s_mul_i32 s9, s9, s7
	s_sub_i32 s9, s14, s9
	s_sub_i32 s14, s9, s7
	s_cmp_ge_u32 s9, s7
	s_cselect_b32 s9, s14, s9
	s_sub_i32 s14, s9, s7
	s_cmp_ge_u32 s9, s7
	s_cselect_b32 s7, s14, s9
	s_xor_b32 s7, s7, s11
	s_sub_i32 s7, s7, s11
	s_ashr_i32 s9, s7, 31
	s_waitcnt lgkmcnt(0)
	s_mul_hi_u32 s11, s12, s7
	s_mul_i32 s9, s12, s9
	s_add_i32 s9, s11, s9
	s_mul_i32 s11, s13, s7
	s_mul_i32 s7, s12, s7
	s_add_i32 s9, s9, s11
	s_add_u32 s42, s22, s7
	s_addc_u32 s43, s23, s9
.LBB52_2:
	s_clause 0x1
	s_load_dwordx4 s[12:15], s[4:5], 0x40
	s_load_dword s7, s[4:5], 0x50
	v_mov_b32_e32 v76, 1.0
	s_sub_i32 s40, s10, s6
	s_waitcnt lgkmcnt(0)
	v_cmp_le_f32_e64 s9, s13, 0
	s_and_b32 vcc_lo, exec_lo, s9
	s_cbranch_vccnz .LBB52_4
; %bb.3:
	v_sub_co_u32 v3, vcc_lo, s40, s7
	v_mov_b32_e32 v2, s14
	s_add_i32 s6, s40, 1
	v_lshlrev_b32_e32 v3, 1, v3
	v_cndmask_b32_e32 v2, s15, v2, vcc_lo
	v_or_b32_e32 v3, 1, v3
	v_cndmask_b32_e64 v3, v3, s6, vcc_lo
	v_cmp_neq_f32_e32 vcc_lo, 1.0, v2
	s_mov_b32 s6, 0x3e76c4e1
	v_cvt_f32_i32_e32 v3, v3
	v_cndmask_b32_e32 v4, 1.0, v3, vcc_lo
	v_cmp_neq_f32_e32 vcc_lo, 0, v4
	v_cndmask_b32_e32 v5, 1.0, v2, vcc_lo
	v_frexp_mant_f32_e64 v2, |v5|
	v_cmp_eq_f32_e64 s9, 0, v5
	v_cmp_gt_f32_e32 vcc_lo, 0x3f2aaaab, v2
	v_cndmask_b32_e64 v3, 1.0, 2.0, vcc_lo
	v_mul_f32_e32 v2, v2, v3
	v_add_f32_e32 v3, 1.0, v2
	v_add_f32_e32 v7, -1.0, v2
	v_rcp_f32_e32 v6, v3
	v_add_f32_e32 v9, -1.0, v3
	v_sub_f32_e32 v2, v2, v9
	v_mul_f32_e32 v8, v7, v6
	v_mul_f32_e32 v10, v3, v8
	v_fma_f32 v3, v8, v3, -v10
	v_fmac_f32_e32 v3, v8, v2
	v_add_f32_e32 v2, v10, v3
	v_sub_f32_e32 v9, v7, v2
	v_sub_f32_e32 v10, v2, v10
	;; [unrolled: 1-line block ×5, first 2 shown]
	v_add_f32_e32 v2, v3, v2
	v_add_f32_e32 v2, v9, v2
	v_mul_f32_e32 v2, v6, v2
	v_add_f32_e32 v6, v8, v2
	v_sub_f32_e32 v3, v6, v8
	v_mul_f32_e32 v7, v6, v6
	v_sub_f32_e32 v8, v2, v3
	v_fma_f32 v2, v6, v6, -v7
	v_add_f32_e32 v3, v8, v8
	v_fmac_f32_e32 v2, v6, v3
	v_add_f32_e32 v9, v7, v2
	v_fmaak_f32 v3, s6, v9, 0x3e91f4c4
	v_sub_f32_e32 v7, v9, v7
	v_mul_f32_e32 v14, v6, v9
	v_fmaak_f32 v3, v9, v3, 0x3ecccdef
	v_sub_f32_e32 v7, v2, v7
	v_fma_f32 v15, v9, v6, -v14
	v_mul_f32_e32 v10, v9, v3
	v_fmac_f32_e32 v15, v9, v8
	v_ldexp_f32 v8, v8, 1
	v_fma_f32 v11, v9, v3, -v10
	v_fmac_f32_e32 v15, v7, v6
	v_fmac_f32_e32 v11, v7, v3
	v_cvt_f64_f32_e64 v[2:3], |v5|
	v_add_f32_e32 v12, v10, v11
	v_sub_f32_e32 v10, v12, v10
	v_add_f32_e32 v13, 0x3f2aaaaa, v12
	v_sub_f32_e32 v10, v11, v10
	v_add_f32_e32 v11, 0xbf2aaaaa, v13
	v_add_f32_e32 v10, 0x31739010, v10
	v_sub_f32_e32 v11, v12, v11
	v_frexp_exp_i32_f64_e32 v2, v[2:3]
	v_add_f32_e32 v9, v10, v11
	v_add_f32_e32 v10, v14, v15
	;; [unrolled: 1-line block ×3, first 2 shown]
	v_sub_f32_e32 v12, v10, v14
	v_sub_f32_e32 v3, v13, v7
	v_mul_f32_e32 v11, v10, v7
	v_sub_f32_e32 v12, v15, v12
	v_add_f32_e32 v3, v9, v3
	v_fma_f32 v9, v10, v7, -v11
	v_subrev_co_ci_u32_e64 v2, null, 0, v2, vcc_lo
	v_fmac_f32_e32 v9, v10, v3
	v_ldexp_f32 v3, v6, 1
	v_cvt_f32_i32_e32 v2, v2
	v_fmac_f32_e32 v9, v12, v7
	v_add_f32_e32 v6, v11, v9
	v_add_f32_e32 v7, v3, v6
	v_sub_f32_e32 v10, v6, v11
	v_mul_f32_e32 v11, 0x3f317218, v2
	v_sub_f32_e32 v3, v7, v3
	v_sub_f32_e32 v9, v9, v10
	v_fma_f32 v10, 0x3f317218, v2, -v11
	v_sub_f32_e32 v3, v6, v3
	v_add_f32_e32 v6, v8, v9
	v_fmamk_f32 v2, v2, 0xb102e308, v10
	v_add_f32_e32 v3, v6, v3
	v_add_f32_e32 v6, v11, v2
	;; [unrolled: 1-line block ×3, first 2 shown]
	v_sub_f32_e32 v11, v6, v11
	v_add_f32_e32 v9, v6, v8
	v_sub_f32_e32 v7, v8, v7
	v_sub_f32_e32 v2, v2, v11
	;; [unrolled: 1-line block ×6, first 2 shown]
	v_add_f32_e32 v8, v2, v3
	v_sub_f32_e32 v6, v6, v12
	v_add_f32_e32 v6, v7, v6
	v_sub_f32_e32 v7, v8, v2
	;; [unrolled: 2-line block ×3, first 2 shown]
	v_sub_f32_e32 v3, v3, v7
	v_add_f32_e32 v10, v9, v6
	v_sub_f32_e32 v2, v2, v8
	v_sub_f32_e32 v7, v10, v9
	v_add_f32_e32 v2, v3, v2
	v_sub_f32_e32 v3, v6, v7
	v_add_f32_e32 v2, v2, v3
	v_add_f32_e32 v3, v10, v2
	v_sub_f32_e32 v6, v3, v10
	v_mul_f32_e32 v7, v4, v3
	v_sub_f32_e32 v2, v2, v6
	v_fma_f32 v3, v4, v3, -v7
	v_cmp_class_f32_e64 vcc_lo, v7, 0x204
	v_fmac_f32_e32 v3, v4, v2
	v_add_f32_e32 v2, v7, v3
	v_cndmask_b32_e32 v6, v2, v7, vcc_lo
	v_sub_f32_e32 v2, v2, v7
	v_cmp_eq_f32_e32 vcc_lo, 0x42b17218, v6
	v_sub_f32_e32 v2, v3, v2
	v_cndmask_b32_e64 v8, 0, 0x37000000, vcc_lo
	v_cmp_neq_f32_e64 vcc_lo, 0x7f800000, |v6|
	v_sub_f32_e32 v9, v6, v8
	v_cndmask_b32_e32 v2, 0, v2, vcc_lo
	v_trunc_f32_e32 v6, v4
	v_mul_f32_e32 v10, 0x3fb8aa3b, v9
	v_cmp_ngt_f32_e32 vcc_lo, 0xc2ce8ed0, v9
	v_add_f32_e32 v2, v8, v2
	v_fma_f32 v11, 0x3fb8aa3b, v9, -v10
	v_rndne_f32_e32 v12, v10
	v_fmamk_f32 v11, v9, 0x32a5705f, v11
	v_sub_f32_e32 v10, v10, v12
	v_cvt_i32_f32_e32 v7, v12
	v_add_f32_e32 v10, v10, v11
	v_exp_f32_e32 v10, v10
	v_ldexp_f32 v3, v10, v7
	v_mul_f32_e32 v7, 0.5, v4
	v_cndmask_b32_e32 v3, 0, v3, vcc_lo
	v_cmp_nlt_f32_e32 vcc_lo, 0x42b17218, v9
	v_trunc_f32_e32 v10, v7
	v_cndmask_b32_e32 v3, 0x7f800000, v3, vcc_lo
	v_cmp_eq_f32_e32 vcc_lo, v6, v4
	v_cmp_neq_f32_e64 s6, v10, v7
	v_fma_f32 v2, v3, v2, v3
	v_cmp_class_f32_e64 s7, v3, 0x204
	s_and_b32 s6, vcc_lo, s6
	v_cndmask_b32_e64 v6, 1.0, v5, s6
	v_cndmask_b32_e64 v2, v2, v3, s7
	v_cmp_gt_f32_e64 s7, 0, v4
	v_bfi_b32 v2, 0x7fffffff, v2, v6
	s_xor_b32 s7, s7, s9
	v_cndmask_b32_e64 v6, 0, v5, s6
	v_cndmask_b32_e64 v3, 0x7f800000, 0, s7
	v_cmp_class_f32_e64 s6, v5, 0x204
	v_cndmask_b32_e32 v4, 0x7fc00000, v2, vcc_lo
	v_cmp_gt_f32_e32 vcc_lo, 0, v5
	v_bfi_b32 v3, 0x7fffffff, v3, v6
	v_cndmask_b32_e32 v2, v2, v4, vcc_lo
	s_or_b32 vcc_lo, s9, s6
	v_cndmask_b32_e32 v2, v2, v3, vcc_lo
	v_cmp_o_f32_e32 vcc_lo, v5, v5
	v_cndmask_b32_e32 v76, 0x7fc00000, v2, vcc_lo
.LBB52_4:
	s_load_dwordx4 s[52:55], s[4:5], 0x70
	s_lshl_b32 s33, s8, 6
	v_lshlrev_b32_e32 v2, 4, v0
	v_lshlrev_b32_e32 v70, 3, v1
	v_cmp_gt_u32_e64 s6, 18, v0
	v_lshlrev_b32_e32 v74, 3, v0
	v_add_nc_u32_e32 v72, s33, v70
	s_waitcnt lgkmcnt(0)
	s_mul_i32 s7, s35, s54
	s_mul_i32 s9, s40, s53
	s_ashr_i32 s10, s7, 31
	s_add_u32 s7, s16, s7
	s_addc_u32 s10, s17, s10
	s_ashr_i32 s11, s9, 31
	s_add_u32 s7, s7, s9
	s_addc_u32 s9, s10, s11
	v_add_co_u32 v3, s7, s7, v2
	v_add_co_ci_u32_e64 v4, null, s9, 0, s7
	s_ashr_i32 s53, s52, 31
	s_lshr_b64 s[10:11], s[52:53], 2
	s_and_saveexec_b32 s7, s6
	s_cbranch_execz .LBB52_6
; %bb.5:
	v_mul_hi_u32 v5, v72, s36
	v_mad_u32_u24 v9, 0x480, v1, v74
	v_add_nc_u32_e32 v5, v72, v5
	v_lshrrev_b32_e32 v5, s37, v5
	v_mul_lo_u32 v5, v5, s38
	v_sub_nc_u32_e32 v7, v72, v5
	v_mad_u64_u32 v[5:6], null, s10, v7, 0
	v_mad_u64_u32 v[6:7], null, s11, v7, v[6:7]
	v_lshlrev_b64 v[5:6], 2, v[5:6]
	v_add_co_u32 v5, vcc_lo, v3, v5
	v_add_co_ci_u32_e64 v6, null, v4, v6, vcc_lo
	global_load_dwordx4 v[5:8], v[5:6], off
	s_waitcnt vmcnt(0)
	v_fma_mixlo_f16 v6, s12, v6, 0
	v_fma_mixlo_f16 v5, s12, v5, 0
	;; [unrolled: 1-line block ×4, first 2 shown]
	v_lshlrev_b32_e32 v6, 16, v6
	v_and_b32_e32 v5, 0xffff, v5
	v_and_b32_e32 v7, 0xffff, v7
	v_lshlrev_b32_e32 v8, 16, v8
	v_or_b32_e32 v5, v6, v5
	v_or3_b32 v6, v8, v7, 0
	v_or3_b32 v5, 0, 0, v5
	ds_write_b64 v9, v[5:6]
.LBB52_6:
	s_or_b32 exec_lo, exec_lo, s7
	v_or_b32_e32 v69, 1, v70
	v_add_nc_u32_e32 v71, s33, v69
	s_and_saveexec_b32 s7, s6
	s_cbranch_execz .LBB52_8
; %bb.7:
	v_mul_hi_u32 v5, v71, s36
	v_mad_u32_u24 v9, 0x90, v69, v74
	v_add_nc_u32_e32 v5, v71, v5
	v_lshrrev_b32_e32 v5, s37, v5
	v_mul_lo_u32 v5, v5, s38
	v_sub_nc_u32_e32 v7, v71, v5
	v_mad_u64_u32 v[5:6], null, s10, v7, 0
	v_mad_u64_u32 v[6:7], null, s11, v7, v[6:7]
	v_lshlrev_b64 v[5:6], 2, v[5:6]
	v_add_co_u32 v5, vcc_lo, v3, v5
	v_add_co_ci_u32_e64 v6, null, v4, v6, vcc_lo
	global_load_dwordx4 v[5:8], v[5:6], off
	s_waitcnt vmcnt(0)
	v_fma_mixlo_f16 v6, s12, v6, 0
	v_fma_mixlo_f16 v5, s12, v5, 0
	;; [unrolled: 1-line block ×4, first 2 shown]
	v_lshlrev_b32_e32 v6, 16, v6
	v_and_b32_e32 v5, 0xffff, v5
	v_and_b32_e32 v7, 0xffff, v7
	v_lshlrev_b32_e32 v8, 16, v8
	v_or_b32_e32 v5, v6, v5
	v_or3_b32 v6, v8, v7, 0
	v_or3_b32 v5, 0, 0, v5
	ds_write_b64 v9, v[5:6]
.LBB52_8:
	s_or_b32 exec_lo, exec_lo, s7
	v_or_b32_e32 v68, 2, v70
	s_and_saveexec_b32 s7, s6
	s_cbranch_execz .LBB52_10
; %bb.9:
	v_add_nc_u32_e32 v5, s33, v68
	v_mad_u32_u24 v9, 0x90, v68, v74
	v_mul_hi_u32 v6, v5, s36
	v_add_nc_u32_e32 v6, v5, v6
	v_lshrrev_b32_e32 v6, s37, v6
	v_mul_lo_u32 v6, v6, s38
	v_sub_nc_u32_e32 v7, v5, v6
	v_mad_u64_u32 v[5:6], null, s10, v7, 0
	v_mad_u64_u32 v[6:7], null, s11, v7, v[6:7]
	v_lshlrev_b64 v[5:6], 2, v[5:6]
	v_add_co_u32 v5, vcc_lo, v3, v5
	v_add_co_ci_u32_e64 v6, null, v4, v6, vcc_lo
	global_load_dwordx4 v[5:8], v[5:6], off
	s_waitcnt vmcnt(0)
	v_fma_mixlo_f16 v6, s12, v6, 0
	v_fma_mixlo_f16 v5, s12, v5, 0
	;; [unrolled: 1-line block ×4, first 2 shown]
	v_lshlrev_b32_e32 v6, 16, v6
	v_and_b32_e32 v5, 0xffff, v5
	v_and_b32_e32 v7, 0xffff, v7
	v_lshlrev_b32_e32 v8, 16, v8
	v_or_b32_e32 v5, v6, v5
	v_or3_b32 v6, v8, v7, 0
	v_or3_b32 v5, 0, 0, v5
	ds_write_b64 v9, v[5:6]
.LBB52_10:
	s_or_b32 exec_lo, exec_lo, s7
	v_or_b32_e32 v67, 3, v70
	s_sub_i32 s7, 0, s48
	s_and_saveexec_b32 s9, s6
	s_cbranch_execz .LBB52_12
; %bb.11:
	v_add_nc_u32_e32 v5, s33, v67
	v_mad_u32_u24 v9, 0x90, v67, v74
	v_mul_hi_u32 v6, v5, s36
	v_add_nc_u32_e32 v6, v5, v6
	v_lshrrev_b32_e32 v6, s37, v6
	v_mul_lo_u32 v6, v6, s38
	v_sub_nc_u32_e32 v7, v5, v6
	v_mad_u64_u32 v[5:6], null, s10, v7, 0
	v_mad_u64_u32 v[6:7], null, s11, v7, v[6:7]
	v_lshlrev_b64 v[5:6], 2, v[5:6]
	v_add_co_u32 v5, vcc_lo, v3, v5
	v_add_co_ci_u32_e64 v6, null, v4, v6, vcc_lo
	global_load_dwordx4 v[5:8], v[5:6], off
	s_waitcnt vmcnt(0)
	v_fma_mixlo_f16 v6, s12, v6, 0
	v_fma_mixlo_f16 v5, s12, v5, 0
	;; [unrolled: 1-line block ×4, first 2 shown]
	v_lshlrev_b32_e32 v6, 16, v6
	v_and_b32_e32 v5, 0xffff, v5
	v_and_b32_e32 v7, 0xffff, v7
	v_lshlrev_b32_e32 v8, 16, v8
	v_or_b32_e32 v5, v6, v5
	v_or3_b32 v6, v8, v7, 0
	v_or3_b32 v5, 0, 0, v5
	ds_write_b64 v9, v[5:6]
.LBB52_12:
	s_or_b32 exec_lo, exec_lo, s9
	v_or_b32_e32 v66, 4, v70
	s_mul_i32 s7, s7, s41
	s_and_saveexec_b32 s9, s6
	s_cbranch_execz .LBB52_14
; %bb.13:
	v_add_nc_u32_e32 v5, s33, v66
	v_mad_u32_u24 v9, 0x90, v66, v74
	v_mul_hi_u32 v6, v5, s36
	v_add_nc_u32_e32 v6, v5, v6
	v_lshrrev_b32_e32 v6, s37, v6
	v_mul_lo_u32 v6, v6, s38
	v_sub_nc_u32_e32 v7, v5, v6
	v_mad_u64_u32 v[5:6], null, s10, v7, 0
	v_mad_u64_u32 v[6:7], null, s11, v7, v[6:7]
	v_lshlrev_b64 v[5:6], 2, v[5:6]
	v_add_co_u32 v5, vcc_lo, v3, v5
	v_add_co_ci_u32_e64 v6, null, v4, v6, vcc_lo
	global_load_dwordx4 v[5:8], v[5:6], off
	s_waitcnt vmcnt(0)
	v_fma_mixlo_f16 v6, s12, v6, 0
	v_fma_mixlo_f16 v5, s12, v5, 0
	;; [unrolled: 1-line block ×4, first 2 shown]
	v_lshlrev_b32_e32 v6, 16, v6
	v_and_b32_e32 v5, 0xffff, v5
	v_and_b32_e32 v7, 0xffff, v7
	v_lshlrev_b32_e32 v8, 16, v8
	v_or_b32_e32 v5, v6, v5
	v_or3_b32 v6, v8, v7, 0
	v_or3_b32 v5, 0, 0, v5
	ds_write_b64 v9, v[5:6]
.LBB52_14:
	s_or_b32 exec_lo, exec_lo, s9
	v_or_b32_e32 v65, 5, v70
	s_mul_hi_u32 s9, s41, s7
	s_and_saveexec_b32 s7, s6
	s_cbranch_execz .LBB52_16
; %bb.15:
	v_add_nc_u32_e32 v5, s33, v65
	v_mad_u32_u24 v9, 0x90, v65, v74
	v_mul_hi_u32 v6, v5, s36
	v_add_nc_u32_e32 v6, v5, v6
	v_lshrrev_b32_e32 v6, s37, v6
	v_mul_lo_u32 v6, v6, s38
	v_sub_nc_u32_e32 v7, v5, v6
	v_mad_u64_u32 v[5:6], null, s10, v7, 0
	v_mad_u64_u32 v[6:7], null, s11, v7, v[6:7]
	v_lshlrev_b64 v[5:6], 2, v[5:6]
	v_add_co_u32 v5, vcc_lo, v3, v5
	v_add_co_ci_u32_e64 v6, null, v4, v6, vcc_lo
	global_load_dwordx4 v[5:8], v[5:6], off
	s_waitcnt vmcnt(0)
	v_fma_mixlo_f16 v6, s12, v6, 0
	v_fma_mixlo_f16 v5, s12, v5, 0
	;; [unrolled: 1-line block ×4, first 2 shown]
	v_lshlrev_b32_e32 v6, 16, v6
	v_and_b32_e32 v5, 0xffff, v5
	v_and_b32_e32 v7, 0xffff, v7
	v_lshlrev_b32_e32 v8, 16, v8
	v_or_b32_e32 v5, v6, v5
	v_or3_b32 v6, v8, v7, 0
	v_or3_b32 v5, 0, 0, v5
	ds_write_b64 v9, v[5:6]
.LBB52_16:
	s_or_b32 exec_lo, exec_lo, s7
	v_or_b32_e32 v64, 6, v70
	s_abs_i32 s7, s40
	s_add_i32 s41, s41, s9
	s_and_saveexec_b32 s9, s6
	s_cbranch_execz .LBB52_18
; %bb.17:
	v_add_nc_u32_e32 v5, s33, v64
	v_mad_u32_u24 v9, 0x90, v64, v74
	v_mul_hi_u32 v6, v5, s36
	v_add_nc_u32_e32 v6, v5, v6
	v_lshrrev_b32_e32 v6, s37, v6
	v_mul_lo_u32 v6, v6, s38
	v_sub_nc_u32_e32 v7, v5, v6
	v_mad_u64_u32 v[5:6], null, s10, v7, 0
	v_mad_u64_u32 v[6:7], null, s11, v7, v[6:7]
	v_lshlrev_b64 v[5:6], 2, v[5:6]
	v_add_co_u32 v5, vcc_lo, v3, v5
	v_add_co_ci_u32_e64 v6, null, v4, v6, vcc_lo
	global_load_dwordx4 v[5:8], v[5:6], off
	s_waitcnt vmcnt(0)
	v_fma_mixlo_f16 v6, s12, v6, 0
	v_fma_mixlo_f16 v5, s12, v5, 0
	;; [unrolled: 1-line block ×4, first 2 shown]
	v_lshlrev_b32_e32 v6, 16, v6
	v_and_b32_e32 v5, 0xffff, v5
	v_and_b32_e32 v7, 0xffff, v7
	v_lshlrev_b32_e32 v8, 16, v8
	v_or_b32_e32 v5, v6, v5
	v_or3_b32 v6, v8, v7, 0
	v_or3_b32 v5, 0, 0, v5
	ds_write_b64 v9, v[5:6]
.LBB52_18:
	s_or_b32 exec_lo, exec_lo, s9
	v_or_b32_e32 v63, 7, v70
	s_mul_hi_u32 s13, s7, s41
	s_and_saveexec_b32 s9, s6
	s_cbranch_execz .LBB52_20
; %bb.19:
	v_add_nc_u32_e32 v5, s33, v63
	v_mul_hi_u32 v6, v5, s36
	v_add_nc_u32_e32 v6, v5, v6
	v_lshrrev_b32_e32 v6, s37, v6
	v_mul_lo_u32 v6, v6, s38
	v_sub_nc_u32_e32 v7, v5, v6
	v_mad_u64_u32 v[5:6], null, s10, v7, 0
	v_mad_u64_u32 v[6:7], null, s11, v7, v[6:7]
	v_mad_u32_u24 v7, 0x90, v63, v74
	v_lshlrev_b64 v[5:6], 2, v[5:6]
	v_add_co_u32 v3, vcc_lo, v3, v5
	v_add_co_ci_u32_e64 v4, null, v4, v6, vcc_lo
	global_load_dwordx4 v[3:6], v[3:4], off
	s_waitcnt vmcnt(0)
	v_fma_mixlo_f16 v4, s12, v4, 0
	v_fma_mixlo_f16 v3, s12, v3, 0
	;; [unrolled: 1-line block ×4, first 2 shown]
	v_lshlrev_b32_e32 v4, 16, v4
	v_and_b32_e32 v3, 0xffff, v3
	v_and_b32_e32 v5, 0xffff, v5
	v_lshlrev_b32_e32 v6, 16, v6
	v_or_b32_e32 v3, v4, v3
	v_or3_b32 v4, v6, v5, 0
	v_or3_b32 v3, 0, 0, v3
	ds_write_b64 v7, v[3:4]
.LBB52_20:
	s_or_b32 exec_lo, exec_lo, s9
	s_ashr_i32 s41, s40, 31
	s_ashr_i32 s12, s45, 31
	s_cmp_eq_u64 s[26:27], 0
	s_waitcnt lgkmcnt(0)
	s_barrier
	buffer_gl0_inv
	s_cbranch_scc1 .LBB52_22
; %bb.21:
	s_load_dword s9, s[4:5], 0xd0
	s_waitcnt lgkmcnt(0)
	s_mul_i32 s9, s9, s35
	s_add_i32 s8, s9, s8
	s_mov_b32 s9, 0
	s_lshl_b64 s[8:9], s[8:9], 2
	s_add_u32 s8, s26, s8
	s_addc_u32 s9, s27, s9
	s_load_dword s44, s[8:9], 0x0
.LBB52_22:
	s_clause 0x1
	s_load_dwordx2 s[14:15], s[4:5], 0x8c
	s_load_dwordx4 s[8:11], s[4:5], 0x98
	s_ashr_i32 s22, s35, 31
	s_load_dwordx2 s[16:17], s[4:5], 0xa8
	s_ashr_i32 s51, s47, 1
	s_mul_i32 s23, s13, s48
	v_lshlrev_b32_e32 v54, 2, v0
	v_lshl_add_u32 v77, v1, 5, v0
	v_lshrrev_b32_e32 v88, 3, v0
	v_mul_u32_u24_e32 v79, 0xa0, v0
	v_mul_u32_u24_e32 v78, 0x480, v1
	v_lshl_add_u32 v75, v1, 9, 0x38e0
	v_and_b32_e32 v89, 28, v54
	v_mbcnt_lo_u32_b32 v73, -1, 0
	s_waitcnt lgkmcnt(0)
	s_ashr_i32 s52, s14, 2
	s_ashr_i32 s45, s10, 2
	s_mul_hi_u32 s10, s8, s35
	s_mul_i32 s14, s8, s22
	s_mul_i32 s9, s9, s35
	s_add_i32 s10, s10, s14
	s_mul_i32 s8, s8, s35
	s_add_i32 s10, s10, s9
	s_add_u32 s8, s18, s8
	s_addc_u32 s9, s19, s10
	s_sub_i32 s7, s7, s23
	s_xor_b32 s10, s41, s12
	s_add_i32 s12, s13, 1
	s_sub_i32 s14, s7, s48
	s_cmp_ge_u32 s7, s48
	s_cselect_b32 s12, s12, s13
	s_cselect_b32 s7, s14, s7
	s_add_i32 s13, s12, 1
	s_cmp_ge_u32 s7, s48
	s_cselect_b32 s7, s13, s12
	s_mul_hi_u32 s12, s16, s35
	s_xor_b32 s7, s7, s10
	s_mul_i32 s13, s16, s22
	s_sub_i32 s7, s7, s10
	s_mul_i32 s10, s17, s35
	s_mul_i32 s14, s7, s15
	;; [unrolled: 1-line block ×3, first 2 shown]
	s_ashr_i32 s16, s14, 31
	s_add_u32 s53, s8, s14
	s_addc_u32 s54, s9, s16
	s_add_i32 s8, s12, s13
	s_mul_i32 s7, s7, s11
	s_add_i32 s8, s8, s10
	s_add_u32 s9, s20, s15
	s_addc_u32 s8, s21, s8
	s_ashr_i32 s10, s7, 31
	s_add_u32 s48, s9, s7
	s_addc_u32 s49, s8, s10
	s_lshl_b32 s50, s34, 5
	s_sub_i32 s55, s44, 32
	s_cmp_ge_i32 s50, s55
	s_cbranch_scc1 .LBB52_46
; %bb.23:
	v_or_b32_e32 v7, 1, v72
	v_or_b32_e32 v12, 2, v72
	v_or_b32_e32 v14, 3, v72
	v_lshl_add_u32 v8, v1, 2, v88
	v_mul_hi_u32 v6, s36, v72
	v_mul_hi_u32 v10, s36, v7
	;; [unrolled: 1-line block ×4, first 2 shown]
	v_or_b32_e32 v16, 4, v72
	v_lshlrev_b32_e32 v11, 2, v89
	v_mul_u32_u24_e32 v9, 0xa0, v8
	v_or_b32_e32 v17, 5, v72
	v_or_b32_e32 v18, 6, v72
	v_add_nc_u32_e32 v10, v7, v10
	v_add_nc_u32_e32 v13, v12, v13
	;; [unrolled: 1-line block ×3, first 2 shown]
	v_mul_hi_u32 v20, s36, v16
	v_add3_u32 v90, v9, v11, 0x2400
	v_lshrrev_b32_e32 v10, s37, v10
	v_lshrrev_b32_e32 v13, s37, v13
	v_add_nc_u32_e32 v9, v72, v6
	v_lshrrev_b32_e32 v15, s37, v15
	v_or_b32_e32 v19, 7, v72
	v_mul_lo_u32 v10, v10, s38
	v_mul_lo_u32 v13, v13, s38
	v_lshrrev_b32_e32 v9, s37, v9
	v_mul_hi_u32 v21, s36, v17
	v_mul_hi_u32 v22, s36, v18
	;; [unrolled: 1-line block ×3, first 2 shown]
	v_mul_lo_u32 v3, s52, v77
	v_mul_lo_u32 v9, v9, s38
	v_sub_nc_u32_e32 v7, v7, v10
	v_mul_lo_u32 v10, v15, s38
	v_add_nc_u32_e32 v15, v16, v20
	v_sub_nc_u32_e32 v12, v12, v13
	v_add_nc_u32_e32 v20, v17, v21
	v_add_nc_u32_e32 v21, v18, v22
	v_add_nc_u32_e32 v22, v19, v23
	v_lshrrev_b32_e32 v13, s37, v15
	v_sub_nc_u32_e32 v9, v72, v9
	v_lshrrev_b32_e32 v15, s37, v20
	v_lshrrev_b32_e32 v20, s37, v21
	;; [unrolled: 1-line block ×3, first 2 shown]
	v_mul_lo_u32 v13, v13, s38
	v_sub_nc_u32_e32 v10, v14, v10
	v_mul_lo_u32 v14, v15, s38
	v_mul_lo_u32 v15, v20, s38
	;; [unrolled: 1-line block ×6, first 2 shown]
	v_sub_nc_u32_e32 v9, v16, v13
	v_mul_lo_u32 v7, s45, v77
	v_mul_lo_u32 v94, v12, s51
	;; [unrolled: 1-line block ×3, first 2 shown]
	v_sub_nc_u32_e32 v10, v17, v14
	v_mul_lo_u32 v96, v9, s51
	v_mul_lo_u32 v9, s45, v8
	v_sub_nc_u32_e32 v12, v18, v15
	v_sub_nc_u32_e32 v13, v19, v20
	v_ashrrev_i32_e32 v4, 31, v3
	v_ashrrev_i32_e32 v6, 31, v5
	v_mul_lo_u32 v97, v10, s51
	v_mul_lo_u32 v98, v12, s51
	v_mul_u32_u24_e32 v12, 0x90, v8
	v_ashrrev_i32_e32 v8, 31, v7
	v_ashrrev_i32_e32 v10, 31, v9
	s_movk_i32 s8, 0x2480
	v_mul_lo_u32 v99, v13, s51
	v_mad_u32_u24 v91, 0xa0, v77, s8
	s_movk_i32 s8, 0x90
	v_lshlrev_b64 v[55:56], 2, v[3:4]
	v_lshlrev_b64 v[57:58], 2, v[5:6]
	;; [unrolled: 1-line block ×4, first 2 shown]
	v_cmp_gt_u32_e64 s7, 32, v77
	v_mov_b32_e32 v28, 0
	s_cmp_lg_u64 s[42:43], 0
	v_mad_u32_u24 v100, v77, s8, 0x2480
	v_add_nc_u32_e32 v101, 0x2400, v74
	v_add3_u32 v102, v12, v11, 0x2400
	v_mov_b32_e32 v19, 0xfeffffff
	v_lshlrev_b32_e32 v103, 2, v89
	v_add_nc_u32_e32 v104, v75, v2
	v_mbcnt_lo_u32_b32 v105, -1, 0
	v_mov_b32_e32 v106, 0x10001
	v_mov_b32_e32 v29, 0
	;; [unrolled: 1-line block ×31, first 2 shown]
	s_cselect_b32 s56, -1, 0
	s_add_u32 s26, s4, 0xd0
	s_addc_u32 s27, s5, 0
.LBB52_24:                              ; =>This Inner Loop Header: Depth=1
	s_mul_hi_i32 s9, s50, s52
	s_mul_i32 s8, s50, s52
	s_lshl_b64 s[8:9], s[8:9], 2
	s_add_u32 s8, s53, s8
	s_addc_u32 s9, s54, s9
	s_and_saveexec_b32 s10, s7
	s_cbranch_execz .LBB52_26
; %bb.25:                               ;   in Loop: Header=BB52_24 Depth=1
	v_add_co_u32 v2, vcc_lo, s8, v55
	v_add_co_ci_u32_e64 v3, null, s9, v56, vcc_lo
	global_load_dwordx4 v[2:5], v[2:3], off offset:128
	s_waitcnt vmcnt(0)
	ds_write_b128 v91, v[2:5]
.LBB52_26:                              ;   in Loop: Header=BB52_24 Depth=1
	s_or_b32 exec_lo, exec_lo, s10
	v_add_co_u32 v2, vcc_lo, s8, v57
	v_add_co_ci_u32_e64 v3, null, s9, v58, vcc_lo
	v_mov_b32_e32 v9, 0
	v_add_co_u32 v2, vcc_lo, v2, v103
	v_add_co_ci_u32_e64 v3, null, 0, v3, vcc_lo
	v_mov_b32_e32 v8, 0
	v_mov_b32_e32 v7, 0
	v_mov_b32_e32 v6, 0
	global_load_dwordx4 v[2:5], v[2:3], off
	v_mov_b32_e32 v26, 0
	s_andn2_b32 vcc_lo, exec_lo, s56
	s_waitcnt vmcnt(0)
	ds_write_b128 v90, v[2:5]
	s_waitcnt lgkmcnt(0)
	s_barrier
	buffer_gl0_inv
	ds_read_b128 v[44:47], v79 offset:9216
	ds_read_b128 v[48:51], v78
	ds_read_b128 v[80:83], v78 offset:144
	ds_read_b128 v[84:87], v78 offset:288
	;; [unrolled: 1-line block ×7, first 2 shown]
	v_mov_b32_e32 v5, 0
	v_mov_b32_e32 v4, 0
	;; [unrolled: 1-line block ×4, first 2 shown]
	s_waitcnt lgkmcnt(7)
	;;#ASMSTART
	v_dot2_f32_f16 v9, v44, v48, v9
	;;#ASMEND
	;;#ASMSTART
	v_dot2_f32_f16 v9, v45, v49, v9
	;;#ASMEND
	;;#ASMSTART
	v_dot2_f32_f16 v9, v46, v50, v9
	;;#ASMEND
	;;#ASMSTART
	v_dot2_f32_f16 v9, v47, v51, v9
	;;#ASMEND
	s_waitcnt lgkmcnt(6)
	;;#ASMSTART
	v_dot2_f32_f16 v8, v44, v80, v8
	;;#ASMEND
	;;#ASMSTART
	v_dot2_f32_f16 v8, v45, v81, v8
	;;#ASMEND
	;;#ASMSTART
	v_dot2_f32_f16 v8, v46, v82, v8
	;;#ASMEND
	;;#ASMSTART
	v_dot2_f32_f16 v8, v47, v83, v8
	;;#ASMEND
	;; [unrolled: 13-line block ×8, first 2 shown]
	ds_read_b128 v[44:47], v79 offset:9232
	ds_read_b128 v[48:51], v78 offset:16
	;; [unrolled: 1-line block ×9, first 2 shown]
	s_waitcnt lgkmcnt(7)
	;;#ASMSTART
	v_dot2_f32_f16 v9, v44, v48, v9
	;;#ASMEND
	;;#ASMSTART
	v_dot2_f32_f16 v9, v45, v49, v9
	;;#ASMEND
	;;#ASMSTART
	v_dot2_f32_f16 v9, v46, v50, v9
	;;#ASMEND
	;;#ASMSTART
	v_dot2_f32_f16 v9, v47, v51, v9
	;;#ASMEND
	s_waitcnt lgkmcnt(6)
	;;#ASMSTART
	v_dot2_f32_f16 v8, v44, v80, v8
	;;#ASMEND
	;;#ASMSTART
	v_dot2_f32_f16 v8, v45, v81, v8
	;;#ASMEND
	;;#ASMSTART
	v_dot2_f32_f16 v8, v46, v82, v8
	;;#ASMEND
	;;#ASMSTART
	v_dot2_f32_f16 v8, v47, v83, v8
	;;#ASMEND
	;; [unrolled: 13-line block ×8, first 2 shown]
	ds_read_b128 v[44:47], v79 offset:9248
	ds_read_b128 v[48:51], v78 offset:32
	;; [unrolled: 1-line block ×9, first 2 shown]
	s_waitcnt lgkmcnt(7)
	;;#ASMSTART
	v_dot2_f32_f16 v9, v44, v48, v9
	;;#ASMEND
	;;#ASMSTART
	v_dot2_f32_f16 v9, v45, v49, v9
	;;#ASMEND
	;;#ASMSTART
	v_dot2_f32_f16 v9, v46, v50, v9
	;;#ASMEND
	;;#ASMSTART
	v_dot2_f32_f16 v9, v47, v51, v9
	;;#ASMEND
	s_waitcnt lgkmcnt(6)
	;;#ASMSTART
	v_dot2_f32_f16 v8, v44, v80, v8
	;;#ASMEND
	;;#ASMSTART
	v_dot2_f32_f16 v8, v45, v81, v8
	;;#ASMEND
	;;#ASMSTART
	v_dot2_f32_f16 v8, v46, v82, v8
	;;#ASMEND
	;;#ASMSTART
	v_dot2_f32_f16 v8, v47, v83, v8
	;;#ASMEND
	;; [unrolled: 13-line block ×8, first 2 shown]
	ds_read_b128 v[44:47], v79 offset:9264
	ds_read_b128 v[48:51], v78 offset:48
	;; [unrolled: 1-line block ×9, first 2 shown]
	s_waitcnt lgkmcnt(7)
	;;#ASMSTART
	v_dot2_f32_f16 v9, v44, v48, v9
	;;#ASMEND
	;;#ASMSTART
	v_dot2_f32_f16 v9, v45, v49, v9
	;;#ASMEND
	;;#ASMSTART
	v_dot2_f32_f16 v9, v46, v50, v9
	;;#ASMEND
	;;#ASMSTART
	v_dot2_f32_f16 v9, v47, v51, v9
	;;#ASMEND
	s_waitcnt lgkmcnt(6)
	;;#ASMSTART
	v_dot2_f32_f16 v8, v44, v80, v8
	;;#ASMEND
	;;#ASMSTART
	v_dot2_f32_f16 v8, v45, v81, v8
	;;#ASMEND
	;;#ASMSTART
	v_dot2_f32_f16 v8, v46, v82, v8
	;;#ASMEND
	;;#ASMSTART
	v_dot2_f32_f16 v8, v47, v83, v8
	;;#ASMEND
	;; [unrolled: 13-line block ×8, first 2 shown]
	ds_read_b128 v[44:47], v79 offset:9280
	ds_read_b128 v[48:51], v78 offset:64
	;; [unrolled: 1-line block ×9, first 2 shown]
	s_waitcnt lgkmcnt(7)
	;;#ASMSTART
	v_dot2_f32_f16 v9, v44, v48, v9
	;;#ASMEND
	;;#ASMSTART
	v_dot2_f32_f16 v9, v45, v49, v9
	;;#ASMEND
	;;#ASMSTART
	v_dot2_f32_f16 v9, v46, v50, v9
	;;#ASMEND
	;;#ASMSTART
	v_dot2_f32_f16 v9, v47, v51, v9
	;;#ASMEND
	s_waitcnt lgkmcnt(6)
	;;#ASMSTART
	v_dot2_f32_f16 v8, v44, v80, v8
	;;#ASMEND
	;;#ASMSTART
	v_dot2_f32_f16 v8, v45, v81, v8
	;;#ASMEND
	;;#ASMSTART
	v_dot2_f32_f16 v8, v46, v82, v8
	;;#ASMEND
	;;#ASMSTART
	v_dot2_f32_f16 v8, v47, v83, v8
	;;#ASMEND
	;; [unrolled: 13-line block ×8, first 2 shown]
	ds_read_b128 v[44:47], v79 offset:9296
	ds_read_b128 v[48:51], v78 offset:80
	;; [unrolled: 1-line block ×9, first 2 shown]
	s_waitcnt lgkmcnt(7)
	;;#ASMSTART
	v_dot2_f32_f16 v9, v44, v48, v9
	;;#ASMEND
	;;#ASMSTART
	v_dot2_f32_f16 v9, v45, v49, v9
	;;#ASMEND
	;;#ASMSTART
	v_dot2_f32_f16 v9, v46, v50, v9
	;;#ASMEND
	;;#ASMSTART
	v_dot2_f32_f16 v9, v47, v51, v9
	;;#ASMEND
	s_waitcnt lgkmcnt(6)
	;;#ASMSTART
	v_dot2_f32_f16 v8, v44, v80, v8
	;;#ASMEND
	;;#ASMSTART
	v_dot2_f32_f16 v8, v45, v81, v8
	;;#ASMEND
	;;#ASMSTART
	v_dot2_f32_f16 v8, v46, v82, v8
	;;#ASMEND
	;;#ASMSTART
	v_dot2_f32_f16 v8, v47, v83, v8
	;;#ASMEND
	;; [unrolled: 13-line block ×8, first 2 shown]
	ds_read_b128 v[44:47], v79 offset:9312
	ds_read_b128 v[48:51], v78 offset:96
	;; [unrolled: 1-line block ×9, first 2 shown]
	s_waitcnt lgkmcnt(7)
	;;#ASMSTART
	v_dot2_f32_f16 v9, v44, v48, v9
	;;#ASMEND
	;;#ASMSTART
	v_dot2_f32_f16 v9, v45, v49, v9
	;;#ASMEND
	;;#ASMSTART
	v_dot2_f32_f16 v9, v46, v50, v9
	;;#ASMEND
	;;#ASMSTART
	v_dot2_f32_f16 v9, v47, v51, v9
	;;#ASMEND
	s_waitcnt lgkmcnt(6)
	;;#ASMSTART
	v_dot2_f32_f16 v8, v44, v80, v8
	;;#ASMEND
	;;#ASMSTART
	v_dot2_f32_f16 v8, v45, v81, v8
	;;#ASMEND
	;;#ASMSTART
	v_dot2_f32_f16 v8, v46, v82, v8
	;;#ASMEND
	;;#ASMSTART
	v_dot2_f32_f16 v8, v47, v83, v8
	;;#ASMEND
	s_waitcnt lgkmcnt(5)
	;;#ASMSTART
	v_dot2_f32_f16 v7, v44, v84, v7
	;;#ASMEND
	;;#ASMSTART
	v_dot2_f32_f16 v7, v45, v85, v7
	;;#ASMEND
	;;#ASMSTART
	v_dot2_f32_f16 v7, v46, v86, v7
	;;#ASMEND
	;;#ASMSTART
	v_dot2_f32_f16 v7, v47, v87, v7
	;;#ASMEND
	s_waitcnt lgkmcnt(4)
	;;#ASMSTART
	v_dot2_f32_f16 v6, v44, v107, v6
	;;#ASMEND
	;;#ASMSTART
	v_dot2_f32_f16 v6, v45, v108, v6
	;;#ASMEND
	;;#ASMSTART
	v_dot2_f32_f16 v6, v46, v109, v6
	;;#ASMEND
	;;#ASMSTART
	v_dot2_f32_f16 v6, v47, v110, v6
	;;#ASMEND
	s_waitcnt lgkmcnt(3)
	;;#ASMSTART
	v_dot2_f32_f16 v5, v44, v111, v5
	;;#ASMEND
	;;#ASMSTART
	v_dot2_f32_f16 v5, v45, v112, v5
	;;#ASMEND
	;;#ASMSTART
	v_dot2_f32_f16 v5, v46, v113, v5
	;;#ASMEND
	;;#ASMSTART
	v_dot2_f32_f16 v5, v47, v114, v5
	;;#ASMEND
	s_waitcnt lgkmcnt(2)
	;;#ASMSTART
	v_dot2_f32_f16 v4, v44, v115, v4
	;;#ASMEND
	;;#ASMSTART
	v_dot2_f32_f16 v4, v45, v116, v4
	;;#ASMEND
	;;#ASMSTART
	v_dot2_f32_f16 v4, v46, v117, v4
	;;#ASMEND
	;;#ASMSTART
	v_dot2_f32_f16 v4, v47, v118, v4
	;;#ASMEND
	s_waitcnt lgkmcnt(1)
	;;#ASMSTART
	v_dot2_f32_f16 v3, v44, v119, v3
	;;#ASMEND
	;;#ASMSTART
	v_dot2_f32_f16 v3, v45, v120, v3
	;;#ASMEND
	;;#ASMSTART
	v_dot2_f32_f16 v3, v46, v121, v3
	;;#ASMEND
	;;#ASMSTART
	v_dot2_f32_f16 v3, v47, v122, v3
	;;#ASMEND
	s_waitcnt lgkmcnt(0)
	;;#ASMSTART
	v_dot2_f32_f16 v2, v44, v123, v2
	;;#ASMEND
	;;#ASMSTART
	v_dot2_f32_f16 v2, v45, v124, v2
	;;#ASMEND
	;;#ASMSTART
	v_dot2_f32_f16 v2, v46, v125, v2
	;;#ASMEND
	;;#ASMSTART
	v_dot2_f32_f16 v2, v47, v126, v2
	;;#ASMEND
	ds_read_b128 v[44:47], v79 offset:9328
	ds_read_b128 v[48:51], v78 offset:112
	;; [unrolled: 1-line block ×9, first 2 shown]
	s_waitcnt lgkmcnt(7)
	;;#ASMSTART
	v_dot2_f32_f16 v9, v44, v48, v9
	;;#ASMEND
	;;#ASMSTART
	v_dot2_f32_f16 v9, v45, v49, v9
	;;#ASMEND
	;;#ASMSTART
	v_dot2_f32_f16 v9, v46, v50, v9
	;;#ASMEND
	;;#ASMSTART
	v_dot2_f32_f16 v9, v47, v51, v9
	;;#ASMEND
	s_waitcnt lgkmcnt(6)
	;;#ASMSTART
	v_dot2_f32_f16 v8, v44, v80, v8
	;;#ASMEND
	;;#ASMSTART
	v_dot2_f32_f16 v8, v45, v81, v8
	;;#ASMEND
	;;#ASMSTART
	v_dot2_f32_f16 v8, v46, v82, v8
	;;#ASMEND
	;;#ASMSTART
	v_dot2_f32_f16 v8, v47, v83, v8
	;;#ASMEND
	;; [unrolled: 13-line block ×8, first 2 shown]
	ds_read_b128 v[49:52], v79 offset:9344
	ds_read_b128 v[80:83], v78 offset:128
	;; [unrolled: 1-line block ×9, first 2 shown]
	s_waitcnt lgkmcnt(7)
	;;#ASMSTART
	v_dot2_f32_f16 v9, v49, v80, v9
	;;#ASMEND
	;;#ASMSTART
	v_dot2_f32_f16 v9, v50, v81, v9
	;;#ASMEND
	;;#ASMSTART
	v_dot2_f32_f16 v9, v51, v82, v9
	;;#ASMEND
	;;#ASMSTART
	v_dot2_f32_f16 v9, v52, v83, v9
	;;#ASMEND
	s_waitcnt lgkmcnt(6)
	;;#ASMSTART
	v_dot2_f32_f16 v8, v49, v84, v8
	;;#ASMEND
	;;#ASMSTART
	v_dot2_f32_f16 v8, v50, v85, v8
	;;#ASMEND
	;;#ASMSTART
	v_dot2_f32_f16 v8, v51, v86, v8
	;;#ASMEND
	;;#ASMSTART
	v_dot2_f32_f16 v8, v52, v87, v8
	;;#ASMEND
	;; [unrolled: 13-line block ×6, first 2 shown]
	s_waitcnt lgkmcnt(1)
	;;#ASMSTART
	v_dot2_f32_f16 v3, v49, v123, v3
	;;#ASMEND
	v_add_nc_u32_e32 v48, s50, v0
	v_mov_b32_e32 v45, 0
	;;#ASMSTART
	v_dot2_f32_f16 v3, v50, v124, v3
	;;#ASMEND
	;;#ASMSTART
	v_dot2_f32_f16 v3, v51, v125, v3
	;;#ASMEND
	;; [unrolled: 3-line block ×3, first 2 shown]
	s_waitcnt lgkmcnt(0)
	;;#ASMSTART
	v_dot2_f32_f16 v2, v49, v127, v2
	;;#ASMEND
	;;#ASMSTART
	v_dot2_f32_f16 v2, v50, v128, v2
	;;#ASMEND
	;; [unrolled: 3-line block ×4, first 2 shown]
	s_cbranch_vccnz .LBB52_28
; %bb.27:                               ;   in Loop: Header=BB52_24 Depth=1
	v_add_nc_u32_e32 v26, v48, v92
	v_ashrrev_i32_e32 v27, 31, v26
	v_lshlrev_b64 v[26:27], 1, v[26:27]
	v_add_co_u32 v26, vcc_lo, s42, v26
	v_add_co_ci_u32_e64 v27, null, s43, v27, vcc_lo
	global_load_ushort v26, v[26:27], off
	s_waitcnt vmcnt(0)
	v_cvt_f32_f16_e32 v26, v26
	v_mul_f32_e32 v26, v76, v26
.LBB52_28:                              ;   in Loop: Header=BB52_24 Depth=1
	v_xor_b32_e32 v44, 16, v105
	v_add_f32_e32 v27, v9, v26
	v_max_f32_e32 v9, v19, v19
	v_xor_b32_e32 v46, 2, v105
	v_cmp_gt_i32_e32 vcc_lo, 32, v44
	v_cndmask_b32_e32 v26, v105, v44, vcc_lo
	v_add_f32_e32 v44, 0x40051340, v27
	v_lshlrev_b32_e32 v52, 2, v26
	v_max_f32_e32 v9, v9, v44
	v_xor_b32_e32 v44, 8, v105
	ds_bpermute_b32 v26, v52, v9
	v_cmp_gt_i32_e32 vcc_lo, 32, v44
	v_cndmask_b32_e32 v44, v105, v44, vcc_lo
	v_lshlrev_b32_e32 v51, 2, v44
	v_xor_b32_e32 v44, 4, v105
	v_cmp_gt_i32_e32 vcc_lo, 32, v44
	s_waitcnt lgkmcnt(0)
	v_max_f32_e32 v26, v26, v26
	v_cndmask_b32_e32 v44, v105, v44, vcc_lo
	v_cmp_gt_i32_e32 vcc_lo, 32, v46
	v_max_f32_e32 v9, v9, v26
	v_lshlrev_b32_e32 v44, 2, v44
	v_cndmask_b32_e32 v46, v105, v46, vcc_lo
	ds_bpermute_b32 v26, v51, v9
	s_waitcnt lgkmcnt(0)
	v_max_f32_e32 v26, v26, v26
	v_max_f32_e32 v9, v9, v26
	ds_bpermute_b32 v26, v44, v9
	s_waitcnt lgkmcnt(0)
	v_max_f32_e32 v47, v26, v26
	v_lshlrev_b32_e32 v26, 2, v46
	v_max_f32_e32 v46, v9, v47
	v_xor_b32_e32 v47, 1, v105
	ds_bpermute_b32 v9, v26, v46
	v_cmp_gt_i32_e32 vcc_lo, 32, v47
	v_cndmask_b32_e32 v47, v105, v47, vcc_lo
	s_andn2_b32 vcc_lo, exec_lo, s56
	s_waitcnt lgkmcnt(0)
	v_max_f32_e32 v49, v9, v9
	v_lshlrev_b32_e32 v9, 2, v47
	v_max_f32_e32 v53, v46, v49
	ds_bpermute_b32 v80, v9, v53
	s_cbranch_vccnz .LBB52_30
; %bb.29:                               ;   in Loop: Header=BB52_24 Depth=1
	v_add_nc_u32_e32 v45, v48, v93
	v_ashrrev_i32_e32 v46, 31, v45
	v_lshlrev_b64 v[45:46], 1, v[45:46]
	v_add_co_u32 v45, vcc_lo, s42, v45
	v_add_co_ci_u32_e64 v46, null, s43, v46, vcc_lo
	global_load_ushort v45, v[45:46], off
	s_waitcnt vmcnt(0)
	v_cvt_f32_f16_e32 v45, v45
	v_mul_f32_e32 v45, v76, v45
.LBB52_30:                              ;   in Loop: Header=BB52_24 Depth=1
	v_add_f32_e32 v45, v8, v45
	v_max_f32_e32 v46, v25, v25
	v_mov_b32_e32 v47, 0
	s_andn2_b32 vcc_lo, exec_lo, s56
	v_add_f32_e32 v8, 0x40051340, v45
	v_max_f32_e32 v8, v46, v8
	ds_bpermute_b32 v46, v52, v8
	s_waitcnt lgkmcnt(0)
	v_max_f32_e32 v46, v46, v46
	v_max_f32_e32 v8, v8, v46
	ds_bpermute_b32 v46, v51, v8
	s_waitcnt lgkmcnt(0)
	v_max_f32_e32 v46, v46, v46
	;; [unrolled: 4-line block ×4, first 2 shown]
	v_max_f32_e32 v8, v8, v46
	v_mov_b32_e32 v46, 0
	ds_bpermute_b32 v82, v9, v8
	s_cbranch_vccnz .LBB52_32
; %bb.31:                               ;   in Loop: Header=BB52_24 Depth=1
	v_add_nc_u32_e32 v49, v48, v94
	v_ashrrev_i32_e32 v50, 31, v49
	v_lshlrev_b64 v[49:50], 1, v[49:50]
	v_add_co_u32 v49, vcc_lo, s42, v49
	v_add_co_ci_u32_e64 v50, null, s43, v50, vcc_lo
	global_load_ushort v46, v[49:50], off
	s_waitcnt vmcnt(0)
	v_cvt_f32_f16_e32 v46, v46
	v_mul_f32_e32 v46, v76, v46
.LBB52_32:                              ;   in Loop: Header=BB52_24 Depth=1
	v_add_f32_e32 v46, v7, v46
	v_max_f32_e32 v49, v23, v23
	s_andn2_b32 vcc_lo, exec_lo, s56
	v_add_f32_e32 v7, 0x40051340, v46
	v_max_f32_e32 v7, v49, v7
	ds_bpermute_b32 v49, v52, v7
	s_waitcnt lgkmcnt(0)
	v_max_f32_e32 v49, v49, v49
	v_max_f32_e32 v7, v7, v49
	ds_bpermute_b32 v49, v51, v7
	s_waitcnt lgkmcnt(0)
	v_max_f32_e32 v49, v49, v49
	;; [unrolled: 4-line block ×4, first 2 shown]
	v_max_f32_e32 v7, v7, v49
	ds_bpermute_b32 v83, v9, v7
	s_cbranch_vccnz .LBB52_34
; %bb.33:                               ;   in Loop: Header=BB52_24 Depth=1
	v_add_nc_u32_e32 v49, v48, v95
	v_ashrrev_i32_e32 v50, 31, v49
	v_lshlrev_b64 v[49:50], 1, v[49:50]
	v_add_co_u32 v49, vcc_lo, s42, v49
	v_add_co_ci_u32_e64 v50, null, s43, v50, vcc_lo
	global_load_ushort v47, v[49:50], off
	s_waitcnt vmcnt(0)
	v_cvt_f32_f16_e32 v47, v47
	v_mul_f32_e32 v47, v76, v47
.LBB52_34:                              ;   in Loop: Header=BB52_24 Depth=1
	v_add_f32_e32 v47, v6, v47
	v_max_f32_e32 v49, v24, v24
	v_mov_b32_e32 v50, 0
	s_andn2_b32 vcc_lo, exec_lo, s56
	v_add_f32_e32 v6, 0x40051340, v47
	v_max_f32_e32 v6, v49, v6
	ds_bpermute_b32 v49, v52, v6
	s_waitcnt lgkmcnt(0)
	v_max_f32_e32 v49, v49, v49
	v_max_f32_e32 v6, v6, v49
	ds_bpermute_b32 v49, v51, v6
	s_waitcnt lgkmcnt(0)
	v_max_f32_e32 v49, v49, v49
	;; [unrolled: 4-line block ×4, first 2 shown]
	v_max_f32_e32 v6, v6, v49
	v_mov_b32_e32 v49, 0
	ds_bpermute_b32 v84, v9, v6
	s_cbranch_vccnz .LBB52_36
; %bb.35:                               ;   in Loop: Header=BB52_24 Depth=1
	v_add_nc_u32_e32 v85, v48, v96
	v_ashrrev_i32_e32 v86, 31, v85
	v_lshlrev_b64 v[85:86], 1, v[85:86]
	v_add_co_u32 v85, vcc_lo, s42, v85
	v_add_co_ci_u32_e64 v86, null, s43, v86, vcc_lo
	global_load_ushort v49, v[85:86], off
	s_waitcnt vmcnt(0)
	v_cvt_f32_f16_e32 v49, v49
	v_mul_f32_e32 v49, v76, v49
.LBB52_36:                              ;   in Loop: Header=BB52_24 Depth=1
	v_add_f32_e32 v49, v5, v49
	v_max_f32_e32 v81, v20, v20
	s_andn2_b32 vcc_lo, exec_lo, s56
	v_add_f32_e32 v5, 0x40051340, v49
	v_max_f32_e32 v5, v81, v5
	ds_bpermute_b32 v81, v52, v5
	s_waitcnt lgkmcnt(0)
	v_max_f32_e32 v81, v81, v81
	v_max_f32_e32 v5, v5, v81
	ds_bpermute_b32 v81, v51, v5
	s_waitcnt lgkmcnt(0)
	v_max_f32_e32 v81, v81, v81
	;; [unrolled: 4-line block ×4, first 2 shown]
	v_max_f32_e32 v5, v5, v81
	ds_bpermute_b32 v85, v9, v5
	s_cbranch_vccnz .LBB52_38
; %bb.37:                               ;   in Loop: Header=BB52_24 Depth=1
	v_add_nc_u32_e32 v86, v48, v97
	v_ashrrev_i32_e32 v87, 31, v86
	v_lshlrev_b64 v[86:87], 1, v[86:87]
	v_add_co_u32 v86, vcc_lo, s42, v86
	v_add_co_ci_u32_e64 v87, null, s43, v87, vcc_lo
	global_load_ushort v50, v[86:87], off
	s_waitcnt vmcnt(0)
	v_cvt_f32_f16_e32 v50, v50
	v_mul_f32_e32 v50, v76, v50
.LBB52_38:                              ;   in Loop: Header=BB52_24 Depth=1
	v_add_f32_e32 v50, v4, v50
	v_max_f32_e32 v81, v21, v21
	v_mov_b32_e32 v87, 0
	s_andn2_b32 vcc_lo, exec_lo, s56
	v_add_f32_e32 v4, 0x40051340, v50
	v_max_f32_e32 v4, v81, v4
	ds_bpermute_b32 v81, v52, v4
	s_waitcnt lgkmcnt(0)
	v_max_f32_e32 v81, v81, v81
	v_max_f32_e32 v4, v4, v81
	ds_bpermute_b32 v81, v51, v4
	s_waitcnt lgkmcnt(0)
	v_max_f32_e32 v81, v81, v81
	;; [unrolled: 4-line block ×4, first 2 shown]
	v_max_f32_e32 v4, v4, v81
	v_mov_b32_e32 v81, 0
	ds_bpermute_b32 v86, v9, v4
	s_cbranch_vccnz .LBB52_40
; %bb.39:                               ;   in Loop: Header=BB52_24 Depth=1
	v_add_nc_u32_e32 v107, v48, v98
	v_ashrrev_i32_e32 v108, 31, v107
	v_lshlrev_b64 v[107:108], 1, v[107:108]
	v_add_co_u32 v107, vcc_lo, s42, v107
	v_add_co_ci_u32_e64 v108, null, s43, v108, vcc_lo
	global_load_ushort v81, v[107:108], off
	s_waitcnt vmcnt(0)
	v_cvt_f32_f16_e32 v81, v81
	v_mul_f32_e32 v81, v76, v81
.LBB52_40:                              ;   in Loop: Header=BB52_24 Depth=1
	v_add_f32_e32 v81, v3, v81
	v_max_f32_e32 v107, v22, v22
	s_andn2_b32 vcc_lo, exec_lo, s56
	v_add_f32_e32 v3, 0x40051340, v81
	v_max_f32_e32 v3, v107, v3
	ds_bpermute_b32 v107, v52, v3
	s_waitcnt lgkmcnt(0)
	v_max_f32_e32 v107, v107, v107
	v_max_f32_e32 v3, v3, v107
	ds_bpermute_b32 v107, v51, v3
	s_waitcnt lgkmcnt(0)
	v_max_f32_e32 v107, v107, v107
	;; [unrolled: 4-line block ×4, first 2 shown]
	v_max_f32_e32 v3, v3, v107
	ds_bpermute_b32 v107, v9, v3
	s_cbranch_vccnz .LBB52_42
; %bb.41:                               ;   in Loop: Header=BB52_24 Depth=1
	v_add_nc_u32_e32 v108, v48, v99
	v_ashrrev_i32_e32 v109, 31, v108
	v_lshlrev_b64 v[108:109], 1, v[108:109]
	v_add_co_u32 v108, vcc_lo, s42, v108
	v_add_co_ci_u32_e64 v109, null, s43, v109, vcc_lo
	global_load_ushort v48, v[108:109], off
	s_waitcnt vmcnt(0)
	v_cvt_f32_f16_e32 v48, v48
	v_mul_f32_e32 v87, v76, v48
.LBB52_42:                              ;   in Loop: Header=BB52_24 Depth=1
	v_add_f32_e32 v87, v2, v87
	v_max_f32_e32 v2, v18, v18
	v_max_f32_e32 v4, v4, v4
	;; [unrolled: 1-line block ×4, first 2 shown]
	v_add_f32_e32 v48, 0x40051340, v87
	v_max_f32_e32 v3, v3, v3
	v_max_f32_e32 v5, v5, v5
	;; [unrolled: 1-line block ×7, first 2 shown]
	s_mul_hi_i32 s47, s50, s45
	s_mul_i32 s46, s50, s45
	ds_bpermute_b32 v48, v52, v2
	s_waitcnt lgkmcnt(1)
	v_max_f32_e32 v52, v107, v107
	s_lshl_b64 s[46:47], s[46:47], 2
	s_waitcnt lgkmcnt(0)
	s_add_u32 s46, s48, s46
	s_addc_u32 s47, s49, s47
	v_max_f32_e32 v8, v3, v52
	v_max_f32_e32 v3, v108, v82
	s_barrier
	buffer_gl0_inv
	v_sub_f32_e32 v45, v45, v3
	v_sub_f32_e32 v25, v25, v3
	v_cmp_ngt_f32_e64 s12, 0xc2ce8ed0, v25
	v_cmp_nlt_f32_e64 s8, 0x42b17218, v25
	v_max_f32_e32 v48, v48, v48
	v_max_f32_e32 v107, v2, v48
	;; [unrolled: 1-line block ×6, first 2 shown]
	ds_bpermute_b32 v51, v51, v107
	v_max_f32_e32 v7, v4, v2
	v_max_f32_e32 v2, v53, v80
	;; [unrolled: 1-line block ×5, first 2 shown]
	v_mul_f32_e32 v53, 0x3fb8aa3b, v45
	v_sub_f32_e32 v52, v27, v2
	v_sub_f32_e32 v48, v19, v2
	;; [unrolled: 1-line block ×8, first 2 shown]
	v_mul_f32_e32 v50, 0x3fb8aa3b, v52
	v_sub_f32_e32 v46, v46, v4
	v_fma_f32 v86, 0x3fb8aa3b, v45, -v53
	v_sub_f32_e32 v49, v49, v6
	v_sub_f32_e32 v19, v22, v8
	s_waitcnt lgkmcnt(0)
	v_max_f32_e32 v51, v51, v51
	v_fma_f32 v84, 0x3fb8aa3b, v52, -v50
	v_rndne_f32_e32 v85, v50
	v_mul_f32_e32 v80, 0x3fb8aa3b, v46
	v_sub_f32_e32 v22, v81, v8
	v_max_f32_e32 v51, v107, v51
	v_rndne_f32_e32 v107, v53
	v_fmac_f32_e32 v84, 0x32a5705f, v52
	v_sub_f32_e32 v50, v50, v85
	v_mul_f32_e32 v81, 0x3fb8aa3b, v47
	ds_bpermute_b32 v44, v44, v51
	v_fma_f32 v108, 0x3fb8aa3b, v46, -v80
	v_rndne_f32_e32 v109, v80
	v_fmac_f32_e32 v86, 0x32a5705f, v45
	v_sub_f32_e32 v53, v53, v107
	v_add_f32_e32 v50, v50, v84
	v_mul_f32_e32 v82, 0x3fb8aa3b, v49
	v_fma_f32 v110, 0x3fb8aa3b, v47, -v81
	v_rndne_f32_e32 v111, v81
	v_fmac_f32_e32 v108, 0x32a5705f, v46
	v_sub_f32_e32 v80, v80, v109
	v_add_f32_e32 v53, v53, v86
	v_exp_f32_e32 v50, v50
	v_fma_f32 v112, 0x3fb8aa3b, v49, -v82
	v_rndne_f32_e32 v113, v82
	v_cvt_i32_f32_e32 v85, v85
	v_fmac_f32_e32 v110, 0x32a5705f, v47
	v_add_f32_e32 v80, v80, v108
	v_exp_f32_e32 v53, v53
	v_mul_f32_e32 v83, 0x3fb8aa3b, v22
	s_waitcnt lgkmcnt(0)
	v_max_f32_e32 v44, v44, v44
	v_cvt_i32_f32_e32 v107, v107
	v_fmac_f32_e32 v112, 0x32a5705f, v49
	v_sub_f32_e32 v82, v82, v113
	v_exp_f32_e32 v80, v80
	v_max_f32_e32 v44, v51, v44
	v_mul_f32_e32 v51, 0x3fb8aa3b, v21
	v_ldexp_f32 v50, v50, v85
	v_cmp_ngt_f32_e64 s21, 0xc2ce8ed0, v52
	v_fma_f32 v116, 0x3fb8aa3b, v22, -v83
	ds_bpermute_b32 v26, v26, v44
	v_fma_f32 v114, 0x3fb8aa3b, v21, -v51
	v_rndne_f32_e32 v115, v51
	v_rndne_f32_e32 v117, v83
	v_cvt_i32_f32_e32 v109, v109
	v_add_f32_e32 v82, v82, v112
	v_fmac_f32_e32 v114, 0x32a5705f, v21
	v_sub_f32_e32 v51, v51, v115
	v_cndmask_b32_e64 v50, 0, v50, s21
	v_cmp_ngt_f32_e64 s21, 0xc2ce8ed0, v45
	v_fmac_f32_e32 v116, 0x32a5705f, v22
	v_sub_f32_e32 v83, v83, v117
	v_add_f32_e32 v51, v51, v114
	v_exp_f32_e32 v82, v82
	v_cvt_i32_f32_e32 v84, v117
	v_cmp_ngt_f32_e64 s11, 0xc2ce8ed0, v48
	v_add_f32_e32 v83, v83, v116
	v_exp_f32_e32 v51, v51
	v_cmp_ngt_f32_e64 s14, 0xc2ce8ed0, v27
	v_cmp_nlt_f32_e64 s9, 0x42b17218, v27
	s_waitcnt lgkmcnt(0)
	v_max_f32_e32 v26, v26, v26
	v_exp_f32_e32 v83, v83
	v_cmp_ngt_f32_e64 s16, 0xc2ce8ed0, v23
	v_cmp_nlt_f32_e64 s10, 0x42b17218, v23
	v_cmp_ngt_f32_e64 s18, 0xc2ce8ed0, v24
	v_max_f32_e32 v26, v44, v26
	v_sub_f32_e32 v44, v81, v111
	v_cvt_i32_f32_e32 v81, v111
	v_cvt_i32_f32_e32 v111, v113
	v_cvt_i32_f32_e32 v113, v115
	ds_bpermute_b32 v9, v9, v26
	v_add_f32_e32 v44, v44, v110
	v_cmp_nlt_f32_e64 s13, 0x42b17218, v24
	v_cmp_ngt_f32_e64 s19, 0xc2ce8ed0, v20
	v_ldexp_f32 v51, v51, v113
	v_cmp_nlt_f32_e64 s15, 0x42b17218, v20
	v_exp_f32_e32 v44, v44
	v_cmp_ngt_f32_e64 s20, 0xc2ce8ed0, v19
	v_cmp_nlt_f32_e64 s17, 0x42b17218, v19
	v_cmp_nlt_f32_e32 vcc_lo, 0x42b17218, v48
	v_ldexp_f32 v44, v44, v81
	s_waitcnt lgkmcnt(0)
	v_max_f32_e32 v9, v9, v9
	v_max_f32_e32 v9, v26, v9
	v_ldexp_f32 v26, v53, v107
	v_ldexp_f32 v53, v80, v109
	;; [unrolled: 1-line block ×4, first 2 shown]
	v_sub_f32_e32 v81, v87, v9
	v_cndmask_b32_e64 v26, 0, v26, s21
	v_cmp_ngt_f32_e64 s21, 0xc2ce8ed0, v46
	v_sub_f32_e32 v18, v18, v9
	v_mul_f32_e32 v83, 0x3fb8aa3b, v81
	v_cndmask_b32_e64 v53, 0, v53, s21
	v_cmp_ngt_f32_e64 s21, 0xc2ce8ed0, v47
	v_cmp_ngt_f32_e64 s22, 0xc2ce8ed0, v18
	v_fma_f32 v84, 0x3fb8aa3b, v81, -v83
	v_rndne_f32_e32 v107, v83
	v_cndmask_b32_e64 v44, 0, v44, s21
	v_cmp_ngt_f32_e64 s21, 0xc2ce8ed0, v49
	v_fmac_f32_e32 v84, 0x32a5705f, v81
	v_sub_f32_e32 v83, v83, v107
	v_cndmask_b32_e64 v80, 0, v80, s21
	v_cmp_ngt_f32_e64 s21, 0xc2ce8ed0, v21
	v_cndmask_b32_e64 v51, 0, v51, s21
	v_cmp_ngt_f32_e64 s21, 0xc2ce8ed0, v22
	v_cndmask_b32_e64 v108, 0, v82, s21
	v_cmp_nlt_f32_e64 s21, 0x42b17218, v52
	v_add_f32_e32 v82, v83, v84
	v_cndmask_b32_e64 v87, 0x7f800000, v50, s21
	v_cmp_nlt_f32_e64 s21, 0x42b17218, v45
	v_cndmask_b32_e64 v86, 0x7f800000, v26, s21
	v_cmp_nlt_f32_e64 s21, 0x42b17218, v46
	v_exp_f32_e32 v26, v82
	v_cndmask_b32_e64 v85, 0x7f800000, v53, s21
	v_cmp_nlt_f32_e64 s21, 0x42b17218, v47
	v_cndmask_b32_e64 v84, 0x7f800000, v44, s21
	v_cmp_nlt_f32_e64 s21, 0x42b17218, v49
	v_cvt_i32_f32_e32 v44, v107
	v_cvt_f16_f32_e32 v47, v84
	v_cndmask_b32_e64 v83, 0x7f800000, v80, s21
	v_cmp_nlt_f32_e64 s21, 0x42b17218, v21
	v_ldexp_f32 v21, v26, v44
	v_cvt_f16_f32_e32 v26, v86
	v_cvt_f16_f32_e32 v44, v85
	;; [unrolled: 1-line block ×3, first 2 shown]
	v_cndmask_b32_e64 v82, 0x7f800000, v51, s21
	v_cmp_nlt_f32_e64 s21, 0x42b17218, v22
	v_cvt_f16_f32_e32 v22, v87
	v_cndmask_b32_e64 v80, 0x7f800000, v108, s21
	v_cmp_ngt_f32_e64 s21, 0xc2ce8ed0, v81
	v_cvt_f16_f32_e32 v49, v80
	v_cndmask_b32_e64 v21, 0, v21, s21
	v_cmp_nlt_f32_e64 s21, 0x42b17218, v81
	v_cndmask_b32_e64 v81, 0x7f800000, v21, s21
	v_cvt_f16_f32_e32 v21, v82
	v_cmp_nlt_f32_e64 s21, 0x42b17218, v18
	v_cvt_f16_f32_e32 v50, v81
	v_pack_b32_f16 v46, v45, v21
	v_pack_b32_f16 v45, v44, v47
	;; [unrolled: 1-line block ×4, first 2 shown]
	ds_write_b128 v104, v[44:47]
	s_and_saveexec_b32 s57, s7
	s_cbranch_execz .LBB52_44
; %bb.43:                               ;   in Loop: Header=BB52_24 Depth=1
	v_add_co_u32 v21, s23, s46, v59
	v_add_co_ci_u32_e64 v22, null, s47, v60, s23
	global_load_dwordx4 v[44:47], v[21:22], off offset:128
	s_waitcnt vmcnt(0)
	ds_write_b128 v100, v[44:47]
.LBB52_44:                              ;   in Loop: Header=BB52_24 Depth=1
	s_or_b32 exec_lo, exec_lo, s57
	v_add_co_u32 v21, s23, s46, v61
	v_add_co_ci_u32_e64 v22, null, s47, v62, s23
	v_mul_f32_e32 v51, 0x3fb8aa3b, v20
	v_add_co_u32 v21, s23, v21, v103
	v_add_co_ci_u32_e64 v22, null, 0, v22, s23
	v_mul_f32_e32 v52, 0x3fb8aa3b, v19
	v_fma_f32 v117, 0x3fb8aa3b, v20, -v51
	v_rndne_f32_e32 v118, v51
	global_load_dwordx4 v[44:47], v[21:22], off
	v_mul_f32_e32 v21, 0x3fb8aa3b, v48
	v_fma_f32 v119, 0x3fb8aa3b, v19, -v52
	v_rndne_f32_e32 v120, v52
	v_fmac_f32_e32 v117, 0x32a5705f, v20
	v_sub_f32_e32 v20, v51, v118
	v_mul_f32_e32 v22, 0x3fb8aa3b, v25
	v_fmac_f32_e32 v119, 0x32a5705f, v19
	v_sub_f32_e32 v19, v52, v120
	v_mul_f32_e32 v26, 0x3fb8aa3b, v27
	v_add_f32_e32 v20, v20, v117
	v_mul_f32_e32 v49, 0x3fb8aa3b, v23
	v_mul_f32_e32 v50, 0x3fb8aa3b, v24
	v_add_f32_e32 v19, v19, v119
	v_mul_f32_e32 v53, 0x3fb8aa3b, v18
	v_exp_f32_e32 v20, v20
	v_fma_f32 v107, 0x3fb8aa3b, v48, -v21
	v_rndne_f32_e32 v108, v21
	v_exp_f32_e32 v19, v19
	v_fma_f32 v109, 0x3fb8aa3b, v25, -v22
	v_rndne_f32_e32 v110, v22
	v_fma_f32 v111, 0x3fb8aa3b, v27, -v26
	v_rndne_f32_e32 v112, v26
	;; [unrolled: 2-line block ×5, first 2 shown]
	v_cvt_i32_f32_e32 v51, v118
	v_cvt_i32_f32_e32 v52, v120
	v_fmac_f32_e32 v107, 0x32a5705f, v48
	v_sub_f32_e32 v21, v21, v108
	v_fmac_f32_e32 v109, 0x32a5705f, v25
	v_sub_f32_e32 v22, v22, v110
	;; [unrolled: 2-line block ×6, first 2 shown]
	v_ldexp_f32 v20, v20, v51
	v_ldexp_f32 v19, v19, v52
	v_add_f32_e32 v21, v21, v107
	v_add_f32_e32 v22, v22, v109
	;; [unrolled: 1-line block ×6, first 2 shown]
	v_cndmask_b32_e64 v20, 0, v20, s19
	v_cndmask_b32_e64 v19, 0, v19, s20
	v_exp_f32_e32 v21, v21
	v_exp_f32_e32 v22, v22
	;; [unrolled: 1-line block ×6, first 2 shown]
	v_cndmask_b32_e64 v20, 0x7f800000, v20, s15
	v_cndmask_b32_e64 v19, 0x7f800000, v19, s17
	v_cvt_i32_f32_e32 v48, v108
	v_cvt_i32_f32_e32 v25, v110
	;; [unrolled: 1-line block ×6, first 2 shown]
	v_fmac_f32_e32 v82, v15, v20
	v_fmac_f32_e32 v80, v16, v19
	v_cvt_f16_f32_e32 v15, v20
	v_cvt_f16_f32_e32 v16, v19
	v_ldexp_f32 v21, v21, v48
	v_ldexp_f32 v22, v22, v25
	;; [unrolled: 1-line block ×6, first 2 shown]
	v_mul_u32_u24_sdwa v15, v15, v106 dst_sel:DWORD dst_unused:UNUSED_PAD src0_sel:WORD_0 src1_sel:DWORD
	v_mul_u32_u24_sdwa v16, v16, v106 dst_sel:DWORD dst_unused:UNUSED_PAD src0_sel:WORD_0 src1_sel:DWORD
	v_cndmask_b32_e64 v21, 0, v21, s11
	v_cndmask_b32_e64 v22, 0, v22, s12
	;; [unrolled: 1-line block ×6, first 2 shown]
	v_pk_mul_f16 v118, v32, v15
	v_pk_mul_f16 v116, v33, v15
	;; [unrolled: 1-line block ×4, first 2 shown]
	v_cndmask_b32_e32 v21, 0x7f800000, v21, vcc_lo
	v_cndmask_b32_e64 v22, 0x7f800000, v22, s8
	v_cndmask_b32_e64 v25, 0x7f800000, v25, s9
	;; [unrolled: 1-line block ×5, first 2 shown]
	v_fmac_f32_e32 v87, v10, v21
	v_fmac_f32_e32 v86, v11, v22
	;; [unrolled: 1-line block ×6, first 2 shown]
	v_cvt_f16_f32_e32 v10, v21
	v_cvt_f16_f32_e32 v11, v22
	;; [unrolled: 1-line block ×6, first 2 shown]
	v_mul_u32_u24_sdwa v10, v10, v106 dst_sel:DWORD dst_unused:UNUSED_PAD src0_sel:WORD_0 src1_sel:DWORD
	v_mul_u32_u24_sdwa v11, v11, v106 dst_sel:DWORD dst_unused:UNUSED_PAD src0_sel:WORD_0 src1_sel:DWORD
	;; [unrolled: 1-line block ×6, first 2 shown]
	v_pk_mul_f16 v110, v42, v10
	v_pk_mul_f16 v108, v43, v10
	;; [unrolled: 1-line block ×12, first 2 shown]
	s_waitcnt vmcnt(0)
	ds_write_b128 v102, v[44:47]
	s_waitcnt lgkmcnt(0)
	s_barrier
	buffer_gl0_inv
	ds_read_b128 v[30:33], v75
	ds_read_b128 v[26:29], v75 offset:16
	ds_read2_b64 v[10:13], v101 offset1:18
	ds_read_b128 v[22:25], v75 offset:32
	ds_read_b128 v[18:21], v75 offset:48
	ds_read2_b64 v[14:17], v101 offset0:36 offset1:54
	ds_read_b128 v[38:41], v75 offset:64
	ds_read_b128 v[42:45], v75 offset:80
	;; [unrolled: 1-line block ×6, first 2 shown]
	ds_read2_b64 v[135:138], v101 offset0:72 offset1:90
	ds_read2_b64 v[50:53], v101 offset0:108 offset1:126
	;; [unrolled: 1-line block ×4, first 2 shown]
	ds_read_b128 v[143:146], v75 offset:160
	ds_read_b128 v[147:150], v75 offset:176
	s_waitcnt lgkmcnt(16)
	v_mul_u32_u24_sdwa v155, v26, v106 dst_sel:DWORD dst_unused:UNUSED_PAD src0_sel:WORD_0 src1_sel:DWORD
	v_mul_u32_u24_sdwa v26, v26, v106 dst_sel:DWORD dst_unused:UNUSED_PAD src0_sel:WORD_1 src1_sel:DWORD
	v_mul_u32_u24_sdwa v156, v27, v106 dst_sel:DWORD dst_unused:UNUSED_PAD src0_sel:WORD_0 src1_sel:DWORD
	v_mul_u32_u24_sdwa v27, v27, v106 dst_sel:DWORD dst_unused:UNUSED_PAD src0_sel:WORD_1 src1_sel:DWORD
	;; [unrolled: 2-line block ×4, first 2 shown]
	s_waitcnt lgkmcnt(14)
	v_mul_u32_u24_sdwa v159, v22, v106 dst_sel:DWORD dst_unused:UNUSED_PAD src0_sel:WORD_0 src1_sel:DWORD
	v_mul_u32_u24_sdwa v22, v22, v106 dst_sel:DWORD dst_unused:UNUSED_PAD src0_sel:WORD_1 src1_sel:DWORD
	v_mul_u32_u24_sdwa v160, v23, v106 dst_sel:DWORD dst_unused:UNUSED_PAD src0_sel:WORD_0 src1_sel:DWORD
	v_mul_u32_u24_sdwa v23, v23, v106 dst_sel:DWORD dst_unused:UNUSED_PAD src0_sel:WORD_1 src1_sel:DWORD
	;; [unrolled: 2-line block ×3, first 2 shown]
	v_mul_u32_u24_sdwa v162, v25, v106 dst_sel:DWORD dst_unused:UNUSED_PAD src0_sel:WORD_0 src1_sel:DWORD
	v_mul_u32_u24_sdwa v151, v30, v106 dst_sel:DWORD dst_unused:UNUSED_PAD src0_sel:WORD_0 src1_sel:DWORD
	v_mul_u32_u24_sdwa v30, v30, v106 dst_sel:DWORD dst_unused:UNUSED_PAD src0_sel:WORD_1 src1_sel:DWORD
	v_mul_u32_u24_sdwa v152, v31, v106 dst_sel:DWORD dst_unused:UNUSED_PAD src0_sel:WORD_0 src1_sel:DWORD
	v_mul_u32_u24_sdwa v31, v31, v106 dst_sel:DWORD dst_unused:UNUSED_PAD src0_sel:WORD_1 src1_sel:DWORD
	;; [unrolled: 2-line block ×4, first 2 shown]
	v_pk_fma_f16 v110, v10, v151, v110
	v_pk_fma_f16 v113, v10, v30, v113
	;; [unrolled: 1-line block ×16, first 2 shown]
	v_mul_u32_u24_sdwa v25, v25, v106 dst_sel:DWORD dst_unused:UNUSED_PAD src0_sel:WORD_1 src1_sel:DWORD
	v_pk_fma_f16 v33, v12, v155, v110
	v_pk_fma_f16 v110, v12, v26, v113
	;; [unrolled: 1-line block ×16, first 2 shown]
	s_waitcnt lgkmcnt(13)
	v_mul_u32_u24_sdwa v163, v18, v106 dst_sel:DWORD dst_unused:UNUSED_PAD src0_sel:WORD_0 src1_sel:DWORD
	v_mul_u32_u24_sdwa v18, v18, v106 dst_sel:DWORD dst_unused:UNUSED_PAD src0_sel:WORD_1 src1_sel:DWORD
	v_mul_u32_u24_sdwa v164, v19, v106 dst_sel:DWORD dst_unused:UNUSED_PAD src0_sel:WORD_0 src1_sel:DWORD
	v_mul_u32_u24_sdwa v19, v19, v106 dst_sel:DWORD dst_unused:UNUSED_PAD src0_sel:WORD_1 src1_sel:DWORD
	;; [unrolled: 2-line block ×4, first 2 shown]
	s_waitcnt lgkmcnt(12)
	v_pk_fma_f16 v12, v14, v159, v33
	v_pk_fma_f16 v13, v15, v159, v108
	;; [unrolled: 1-line block ×16, first 2 shown]
	s_waitcnt lgkmcnt(11)
	v_mul_u32_u24_sdwa v167, v38, v106 dst_sel:DWORD dst_unused:UNUSED_PAD src0_sel:WORD_0 src1_sel:DWORD
	v_mul_u32_u24_sdwa v38, v38, v106 dst_sel:DWORD dst_unused:UNUSED_PAD src0_sel:WORD_1 src1_sel:DWORD
	v_mul_u32_u24_sdwa v168, v39, v106 dst_sel:DWORD dst_unused:UNUSED_PAD src0_sel:WORD_0 src1_sel:DWORD
	v_mul_u32_u24_sdwa v39, v39, v106 dst_sel:DWORD dst_unused:UNUSED_PAD src0_sel:WORD_1 src1_sel:DWORD
	;; [unrolled: 2-line block ×4, first 2 shown]
	v_pk_fma_f16 v12, v16, v163, v12
	v_pk_fma_f16 v15, v16, v18, v29
	;; [unrolled: 1-line block ×16, first 2 shown]
	s_waitcnt lgkmcnt(10)
	v_mul_u32_u24_sdwa v171, v42, v106 dst_sel:DWORD dst_unused:UNUSED_PAD src0_sel:WORD_0 src1_sel:DWORD
	v_mul_u32_u24_sdwa v42, v42, v106 dst_sel:DWORD dst_unused:UNUSED_PAD src0_sel:WORD_1 src1_sel:DWORD
	v_mul_u32_u24_sdwa v172, v43, v106 dst_sel:DWORD dst_unused:UNUSED_PAD src0_sel:WORD_0 src1_sel:DWORD
	v_mul_u32_u24_sdwa v43, v43, v106 dst_sel:DWORD dst_unused:UNUSED_PAD src0_sel:WORD_1 src1_sel:DWORD
	;; [unrolled: 2-line block ×4, first 2 shown]
	s_waitcnt lgkmcnt(5)
	v_pk_fma_f16 v12, v135, v167, v12
	v_pk_fma_f16 v15, v135, v38, v15
	;; [unrolled: 1-line block ×16, first 2 shown]
	v_mul_u32_u24_sdwa v175, v46, v106 dst_sel:DWORD dst_unused:UNUSED_PAD src0_sel:WORD_0 src1_sel:DWORD
	v_mul_u32_u24_sdwa v46, v46, v106 dst_sel:DWORD dst_unused:UNUSED_PAD src0_sel:WORD_1 src1_sel:DWORD
	v_mul_u32_u24_sdwa v176, v47, v106 dst_sel:DWORD dst_unused:UNUSED_PAD src0_sel:WORD_0 src1_sel:DWORD
	v_mul_u32_u24_sdwa v47, v47, v106 dst_sel:DWORD dst_unused:UNUSED_PAD src0_sel:WORD_1 src1_sel:DWORD
	;; [unrolled: 2-line block ×4, first 2 shown]
	v_pk_fma_f16 v12, v137, v171, v12
	v_pk_fma_f16 v15, v137, v42, v15
	;; [unrolled: 1-line block ×16, first 2 shown]
	v_mul_u32_u24_sdwa v179, v123, v106 dst_sel:DWORD dst_unused:UNUSED_PAD src0_sel:WORD_0 src1_sel:DWORD
	v_mul_u32_u24_sdwa v123, v123, v106 dst_sel:DWORD dst_unused:UNUSED_PAD src0_sel:WORD_1 src1_sel:DWORD
	v_mul_u32_u24_sdwa v180, v124, v106 dst_sel:DWORD dst_unused:UNUSED_PAD src0_sel:WORD_0 src1_sel:DWORD
	v_mul_u32_u24_sdwa v124, v124, v106 dst_sel:DWORD dst_unused:UNUSED_PAD src0_sel:WORD_1 src1_sel:DWORD
	;; [unrolled: 2-line block ×4, first 2 shown]
	s_waitcnt lgkmcnt(4)
	v_pk_fma_f16 v12, v50, v175, v12
	v_pk_fma_f16 v15, v50, v46, v15
	v_pk_fma_f16 v17, v50, v176, v17
	v_pk_fma_f16 v21, v50, v47, v21
	v_pk_fma_f16 v23, v50, v177, v23
	v_pk_fma_f16 v24, v50, v48, v24
	v_pk_fma_f16 v25, v50, v178, v25
	v_pk_fma_f16 v10, v50, v49, v10
	v_pk_fma_f16 v13, v51, v175, v13
	v_pk_fma_f16 v14, v51, v46, v14
	v_pk_fma_f16 v16, v51, v176, v16
	v_pk_fma_f16 v18, v51, v47, v18
	v_pk_fma_f16 v19, v51, v177, v19
	v_pk_fma_f16 v20, v51, v48, v20
	v_pk_fma_f16 v22, v51, v178, v22
	v_pk_fma_f16 v11, v51, v49, v11
	v_mul_u32_u24_sdwa v183, v127, v106 dst_sel:DWORD dst_unused:UNUSED_PAD src0_sel:WORD_0 src1_sel:DWORD
	v_mul_u32_u24_sdwa v127, v127, v106 dst_sel:DWORD dst_unused:UNUSED_PAD src0_sel:WORD_1 src1_sel:DWORD
	v_mul_u32_u24_sdwa v184, v128, v106 dst_sel:DWORD dst_unused:UNUSED_PAD src0_sel:WORD_0 src1_sel:DWORD
	v_mul_u32_u24_sdwa v128, v128, v106 dst_sel:DWORD dst_unused:UNUSED_PAD src0_sel:WORD_1 src1_sel:DWORD
	;; [unrolled: 2-line block ×4, first 2 shown]
	v_pk_fma_f16 v12, v52, v179, v12
	v_pk_fma_f16 v15, v52, v123, v15
	;; [unrolled: 1-line block ×16, first 2 shown]
	v_mul_u32_u24_sdwa v187, v131, v106 dst_sel:DWORD dst_unused:UNUSED_PAD src0_sel:WORD_0 src1_sel:DWORD
	v_mul_u32_u24_sdwa v131, v131, v106 dst_sel:DWORD dst_unused:UNUSED_PAD src0_sel:WORD_1 src1_sel:DWORD
	v_mul_u32_u24_sdwa v188, v132, v106 dst_sel:DWORD dst_unused:UNUSED_PAD src0_sel:WORD_0 src1_sel:DWORD
	v_mul_u32_u24_sdwa v132, v132, v106 dst_sel:DWORD dst_unused:UNUSED_PAD src0_sel:WORD_1 src1_sel:DWORD
	v_mul_u32_u24_sdwa v189, v133, v106 dst_sel:DWORD dst_unused:UNUSED_PAD src0_sel:WORD_0 src1_sel:DWORD
	v_mul_u32_u24_sdwa v133, v133, v106 dst_sel:DWORD dst_unused:UNUSED_PAD src0_sel:WORD_1 src1_sel:DWORD
	v_mul_u32_u24_sdwa v190, v134, v106 dst_sel:DWORD dst_unused:UNUSED_PAD src0_sel:WORD_0 src1_sel:DWORD
	v_mul_u32_u24_sdwa v134, v134, v106 dst_sel:DWORD dst_unused:UNUSED_PAD src0_sel:WORD_1 src1_sel:DWORD
	s_waitcnt lgkmcnt(3)
	v_pk_fma_f16 v12, v139, v183, v12
	v_pk_fma_f16 v15, v139, v127, v15
	;; [unrolled: 1-line block ×16, first 2 shown]
	s_waitcnt lgkmcnt(1)
	v_mul_u32_u24_sdwa v191, v143, v106 dst_sel:DWORD dst_unused:UNUSED_PAD src0_sel:WORD_0 src1_sel:DWORD
	v_mul_u32_u24_sdwa v143, v143, v106 dst_sel:DWORD dst_unused:UNUSED_PAD src0_sel:WORD_1 src1_sel:DWORD
	v_mul_u32_u24_sdwa v192, v144, v106 dst_sel:DWORD dst_unused:UNUSED_PAD src0_sel:WORD_0 src1_sel:DWORD
	v_mul_u32_u24_sdwa v144, v144, v106 dst_sel:DWORD dst_unused:UNUSED_PAD src0_sel:WORD_1 src1_sel:DWORD
	;; [unrolled: 2-line block ×4, first 2 shown]
	v_pk_fma_f16 v12, v141, v187, v12
	v_pk_fma_f16 v15, v141, v131, v15
	;; [unrolled: 1-line block ×32, first 2 shown]
	s_waitcnt lgkmcnt(0)
	v_mul_u32_u24_sdwa v32, v147, v106 dst_sel:DWORD dst_unused:UNUSED_PAD src0_sel:WORD_0 src1_sel:DWORD
	v_mul_u32_u24_sdwa v33, v147, v106 dst_sel:DWORD dst_unused:UNUSED_PAD src0_sel:WORD_1 src1_sel:DWORD
	v_mul_u32_u24_sdwa v34, v148, v106 dst_sel:DWORD dst_unused:UNUSED_PAD src0_sel:WORD_0 src1_sel:DWORD
	v_mul_u32_u24_sdwa v35, v148, v106 dst_sel:DWORD dst_unused:UNUSED_PAD src0_sel:WORD_1 src1_sel:DWORD
	;; [unrolled: 2-line block ×3, first 2 shown]
	ds_read_b128 v[10:13], v75 offset:192
	v_pk_fma_f16 v26, v36, v32, v26
	v_pk_fma_f16 v42, v36, v33, v15
	;; [unrolled: 1-line block ×4, first 2 shown]
	ds_read2_b64 v[14:17], v101 offset0:216 offset1:234
	v_pk_fma_f16 v28, v37, v32, v28
	v_pk_fma_f16 v29, v37, v33, v29
	;; [unrolled: 1-line block ×6, first 2 shown]
	ds_read_b128 v[18:21], v75 offset:208
	v_mul_u32_u24_sdwa v40, v150, v106 dst_sel:DWORD dst_unused:UNUSED_PAD src0_sel:WORD_0 src1_sel:DWORD
	v_mul_u32_u24_sdwa v41, v150, v106 dst_sel:DWORD dst_unused:UNUSED_PAD src0_sel:WORD_1 src1_sel:DWORD
	v_pk_fma_f16 v23, v36, v38, v23
	v_pk_fma_f16 v24, v36, v39, v24
	;; [unrolled: 1-line block ×6, first 2 shown]
	s_waitcnt lgkmcnt(2)
	v_mul_u32_u24_sdwa v35, v10, v106 dst_sel:DWORD dst_unused:UNUSED_PAD src0_sel:WORD_0 src1_sel:DWORD
	v_mul_u32_u24_sdwa v10, v10, v106 dst_sel:DWORD dst_unused:UNUSED_PAD src0_sel:WORD_1 src1_sel:DWORD
	v_mul_u32_u24_sdwa v36, v11, v106 dst_sel:DWORD dst_unused:UNUSED_PAD src0_sel:WORD_0 src1_sel:DWORD
	v_mul_u32_u24_sdwa v11, v11, v106 dst_sel:DWORD dst_unused:UNUSED_PAD src0_sel:WORD_1 src1_sel:DWORD
	v_mul_u32_u24_sdwa v37, v12, v106 dst_sel:DWORD dst_unused:UNUSED_PAD src0_sel:WORD_0 src1_sel:DWORD
	v_mul_u32_u24_sdwa v12, v12, v106 dst_sel:DWORD dst_unused:UNUSED_PAD src0_sel:WORD_1 src1_sel:DWORD
	v_mul_u32_u24_sdwa v38, v13, v106 dst_sel:DWORD dst_unused:UNUSED_PAD src0_sel:WORD_0 src1_sel:DWORD
	v_mul_u32_u24_sdwa v13, v13, v106 dst_sel:DWORD dst_unused:UNUSED_PAD src0_sel:WORD_1 src1_sel:DWORD
	s_waitcnt lgkmcnt(1)
	v_pk_fma_f16 v26, v14, v35, v26
	v_pk_fma_f16 v39, v14, v10, v42
	;; [unrolled: 1-line block ×16, first 2 shown]
	s_waitcnt lgkmcnt(0)
	v_mul_u32_u24_sdwa v31, v18, v106 dst_sel:DWORD dst_unused:UNUSED_PAD src0_sel:WORD_0 src1_sel:DWORD
	v_mul_u32_u24_sdwa v34, v18, v106 dst_sel:DWORD dst_unused:UNUSED_PAD src0_sel:WORD_1 src1_sel:DWORD
	v_mul_u32_u24_sdwa v35, v19, v106 dst_sel:DWORD dst_unused:UNUSED_PAD src0_sel:WORD_0 src1_sel:DWORD
	v_mul_u32_u24_sdwa v36, v19, v106 dst_sel:DWORD dst_unused:UNUSED_PAD src0_sel:WORD_1 src1_sel:DWORD
	;; [unrolled: 2-line block ×4, first 2 shown]
	ds_read_b128 v[10:13], v75 offset:224
	v_add_nc_u32_e32 v18, 0x400, v101
	v_pk_fma_f16 v26, v16, v31, v26
	v_pk_fma_f16 v39, v16, v34, v39
	v_pk_fma_f16 v40, v16, v35, v40
	v_pk_fma_f16 v41, v16, v36, v41
	v_pk_fma_f16 v23, v16, v37, v23
	v_pk_fma_f16 v24, v16, v38, v24
	ds_read2_b64 v[18:21], v18 offset0:124 offset1:142
	v_pk_fma_f16 v25, v16, v42, v25
	v_pk_fma_f16 v44, v16, v43, v14
	;; [unrolled: 1-line block ×10, first 2 shown]
	ds_read_b128 v[14:17], v75 offset:240
	s_waitcnt lgkmcnt(2)
	v_mul_u32_u24_sdwa v34, v10, v106 dst_sel:DWORD dst_unused:UNUSED_PAD src0_sel:WORD_0 src1_sel:DWORD
	v_mul_u32_u24_sdwa v10, v10, v106 dst_sel:DWORD dst_unused:UNUSED_PAD src0_sel:WORD_1 src1_sel:DWORD
	v_mul_u32_u24_sdwa v35, v11, v106 dst_sel:DWORD dst_unused:UNUSED_PAD src0_sel:WORD_0 src1_sel:DWORD
	v_mul_u32_u24_sdwa v11, v11, v106 dst_sel:DWORD dst_unused:UNUSED_PAD src0_sel:WORD_1 src1_sel:DWORD
	;; [unrolled: 2-line block ×4, first 2 shown]
	s_waitcnt lgkmcnt(1)
	v_pk_fma_f16 v26, v18, v34, v26
	v_pk_fma_f16 v38, v18, v10, v39
	;; [unrolled: 1-line block ×16, first 2 shown]
	s_waitcnt lgkmcnt(0)
	v_mul_u32_u24_sdwa v33, v14, v106 dst_sel:DWORD dst_unused:UNUSED_PAD src0_sel:WORD_0 src1_sel:DWORD
	v_mul_u32_u24_sdwa v34, v14, v106 dst_sel:DWORD dst_unused:UNUSED_PAD src0_sel:WORD_1 src1_sel:DWORD
	v_mul_u32_u24_sdwa v35, v15, v106 dst_sel:DWORD dst_unused:UNUSED_PAD src0_sel:WORD_0 src1_sel:DWORD
	v_mul_u32_u24_sdwa v36, v15, v106 dst_sel:DWORD dst_unused:UNUSED_PAD src0_sel:WORD_1 src1_sel:DWORD
	;; [unrolled: 2-line block ×4, first 2 shown]
	ds_read_b128 v[10:13], v75 offset:256
	v_add_nc_u32_e32 v44, 0x800, v101
	v_pk_fma_f16 v26, v20, v33, v26
	v_pk_fma_f16 v38, v20, v34, v38
	v_pk_fma_f16 v39, v20, v35, v39
	v_pk_fma_f16 v40, v20, v36, v40
	v_pk_fma_f16 v23, v20, v37, v23
	v_pk_fma_f16 v24, v20, v41, v24
	ds_read2_b64 v[14:17], v44 offset0:32 offset1:50
	v_pk_fma_f16 v25, v20, v42, v25
	v_pk_fma_f16 v45, v20, v43, v18
	v_pk_fma_f16 v27, v21, v33, v27
	v_pk_fma_f16 v28, v21, v34, v28
	v_pk_fma_f16 v29, v21, v35, v29
	v_pk_fma_f16 v30, v21, v36, v30
	v_pk_fma_f16 v31, v21, v37, v31
	v_pk_fma_f16 v32, v21, v41, v32
	v_pk_fma_f16 v22, v21, v42, v22
	v_pk_fma_f16 v33, v21, v43, v19
	ds_read_b128 v[18:21], v75 offset:272
	s_waitcnt lgkmcnt(2)
	v_mul_u32_u24_sdwa v34, v10, v106 dst_sel:DWORD dst_unused:UNUSED_PAD src0_sel:WORD_0 src1_sel:DWORD
	v_mul_u32_u24_sdwa v10, v10, v106 dst_sel:DWORD dst_unused:UNUSED_PAD src0_sel:WORD_1 src1_sel:DWORD
	v_mul_u32_u24_sdwa v35, v11, v106 dst_sel:DWORD dst_unused:UNUSED_PAD src0_sel:WORD_0 src1_sel:DWORD
	v_mul_u32_u24_sdwa v11, v11, v106 dst_sel:DWORD dst_unused:UNUSED_PAD src0_sel:WORD_1 src1_sel:DWORD
	v_mul_u32_u24_sdwa v36, v12, v106 dst_sel:DWORD dst_unused:UNUSED_PAD src0_sel:WORD_0 src1_sel:DWORD
	v_mul_u32_u24_sdwa v12, v12, v106 dst_sel:DWORD dst_unused:UNUSED_PAD src0_sel:WORD_1 src1_sel:DWORD
	v_mul_u32_u24_sdwa v37, v13, v106 dst_sel:DWORD dst_unused:UNUSED_PAD src0_sel:WORD_0 src1_sel:DWORD
	v_mul_u32_u24_sdwa v13, v13, v106 dst_sel:DWORD dst_unused:UNUSED_PAD src0_sel:WORD_1 src1_sel:DWORD
	s_waitcnt lgkmcnt(1)
	v_pk_fma_f16 v26, v14, v34, v26
	v_pk_fma_f16 v38, v14, v10, v38
	v_pk_fma_f16 v39, v14, v35, v39
	v_pk_fma_f16 v40, v14, v11, v40
	v_pk_fma_f16 v23, v14, v36, v23
	v_pk_fma_f16 v24, v14, v12, v24
	v_pk_fma_f16 v25, v14, v37, v25
	v_pk_fma_f16 v14, v14, v13, v45
	v_pk_fma_f16 v27, v15, v34, v27
	v_pk_fma_f16 v28, v15, v10, v28
	v_pk_fma_f16 v29, v15, v35, v29
	v_pk_fma_f16 v30, v15, v11, v30
	v_pk_fma_f16 v31, v15, v36, v31
	v_pk_fma_f16 v32, v15, v12, v32
	v_pk_fma_f16 v22, v15, v37, v22
	v_pk_fma_f16 v15, v15, v13, v33
	s_waitcnt lgkmcnt(0)
	v_mul_u32_u24_sdwa v33, v18, v106 dst_sel:DWORD dst_unused:UNUSED_PAD src0_sel:WORD_0 src1_sel:DWORD
	v_mul_u32_u24_sdwa v34, v18, v106 dst_sel:DWORD dst_unused:UNUSED_PAD src0_sel:WORD_1 src1_sel:DWORD
	v_mul_u32_u24_sdwa v35, v19, v106 dst_sel:DWORD dst_unused:UNUSED_PAD src0_sel:WORD_0 src1_sel:DWORD
	v_mul_u32_u24_sdwa v36, v19, v106 dst_sel:DWORD dst_unused:UNUSED_PAD src0_sel:WORD_1 src1_sel:DWORD
	v_mul_u32_u24_sdwa v37, v20, v106 dst_sel:DWORD dst_unused:UNUSED_PAD src0_sel:WORD_0 src1_sel:DWORD
	v_mul_u32_u24_sdwa v41, v20, v106 dst_sel:DWORD dst_unused:UNUSED_PAD src0_sel:WORD_1 src1_sel:DWORD
	v_mul_u32_u24_sdwa v42, v21, v106 dst_sel:DWORD dst_unused:UNUSED_PAD src0_sel:WORD_0 src1_sel:DWORD
	ds_read_b128 v[10:13], v75 offset:288
	v_mul_u32_u24_sdwa v43, v21, v106 dst_sel:DWORD dst_unused:UNUSED_PAD src0_sel:WORD_1 src1_sel:DWORD
	v_pk_fma_f16 v26, v16, v33, v26
	v_pk_fma_f16 v38, v16, v34, v38
	v_pk_fma_f16 v39, v16, v35, v39
	v_pk_fma_f16 v40, v16, v36, v40
	v_pk_fma_f16 v23, v16, v37, v23
	v_pk_fma_f16 v24, v16, v41, v24
	ds_read2_b64 v[18:21], v44 offset0:68 offset1:86
	v_pk_fma_f16 v25, v16, v42, v25
	v_pk_fma_f16 v45, v16, v43, v14
	v_pk_fma_f16 v27, v17, v33, v27
	v_pk_fma_f16 v28, v17, v34, v28
	v_pk_fma_f16 v29, v17, v35, v29
	v_pk_fma_f16 v30, v17, v36, v30
	v_pk_fma_f16 v31, v17, v37, v31
	v_pk_fma_f16 v32, v17, v41, v32
	v_pk_fma_f16 v22, v17, v42, v22
	v_pk_fma_f16 v33, v17, v43, v15
	ds_read_b128 v[14:17], v75 offset:304
	s_waitcnt lgkmcnt(2)
	v_mul_u32_u24_sdwa v34, v10, v106 dst_sel:DWORD dst_unused:UNUSED_PAD src0_sel:WORD_0 src1_sel:DWORD
	v_mul_u32_u24_sdwa v10, v10, v106 dst_sel:DWORD dst_unused:UNUSED_PAD src0_sel:WORD_1 src1_sel:DWORD
	v_mul_u32_u24_sdwa v35, v11, v106 dst_sel:DWORD dst_unused:UNUSED_PAD src0_sel:WORD_0 src1_sel:DWORD
	v_mul_u32_u24_sdwa v11, v11, v106 dst_sel:DWORD dst_unused:UNUSED_PAD src0_sel:WORD_1 src1_sel:DWORD
	v_mul_u32_u24_sdwa v36, v12, v106 dst_sel:DWORD dst_unused:UNUSED_PAD src0_sel:WORD_0 src1_sel:DWORD
	v_mul_u32_u24_sdwa v12, v12, v106 dst_sel:DWORD dst_unused:UNUSED_PAD src0_sel:WORD_1 src1_sel:DWORD
	v_mul_u32_u24_sdwa v37, v13, v106 dst_sel:DWORD dst_unused:UNUSED_PAD src0_sel:WORD_0 src1_sel:DWORD
	v_mul_u32_u24_sdwa v13, v13, v106 dst_sel:DWORD dst_unused:UNUSED_PAD src0_sel:WORD_1 src1_sel:DWORD
	s_waitcnt lgkmcnt(1)
	v_pk_fma_f16 v26, v18, v34, v26
	v_pk_fma_f16 v38, v18, v10, v38
	v_pk_fma_f16 v39, v18, v35, v39
	v_pk_fma_f16 v40, v18, v11, v40
	v_pk_fma_f16 v23, v18, v36, v23
	v_pk_fma_f16 v24, v18, v12, v24
	v_pk_fma_f16 v25, v18, v37, v25
	v_pk_fma_f16 v18, v18, v13, v45
	v_pk_fma_f16 v27, v19, v34, v27
	v_pk_fma_f16 v28, v19, v10, v28
	v_pk_fma_f16 v29, v19, v35, v29
	v_pk_fma_f16 v30, v19, v11, v30
	v_pk_fma_f16 v31, v19, v36, v31
	v_pk_fma_f16 v32, v19, v12, v32
	v_pk_fma_f16 v22, v19, v37, v22
	v_pk_fma_f16 v19, v19, v13, v33
	s_waitcnt lgkmcnt(0)
	v_mul_u32_u24_sdwa v33, v14, v106 dst_sel:DWORD dst_unused:UNUSED_PAD src0_sel:WORD_0 src1_sel:DWORD
	v_mul_u32_u24_sdwa v34, v14, v106 dst_sel:DWORD dst_unused:UNUSED_PAD src0_sel:WORD_1 src1_sel:DWORD
	v_mul_u32_u24_sdwa v35, v15, v106 dst_sel:DWORD dst_unused:UNUSED_PAD src0_sel:WORD_0 src1_sel:DWORD
	v_mul_u32_u24_sdwa v36, v15, v106 dst_sel:DWORD dst_unused:UNUSED_PAD src0_sel:WORD_1 src1_sel:DWORD
	v_mul_u32_u24_sdwa v37, v16, v106 dst_sel:DWORD dst_unused:UNUSED_PAD src0_sel:WORD_0 src1_sel:DWORD
	v_mul_u32_u24_sdwa v41, v16, v106 dst_sel:DWORD dst_unused:UNUSED_PAD src0_sel:WORD_1 src1_sel:DWORD
	v_mul_u32_u24_sdwa v42, v17, v106 dst_sel:DWORD dst_unused:UNUSED_PAD src0_sel:WORD_0 src1_sel:DWORD
	ds_read_b128 v[10:13], v75 offset:320
	v_mul_u32_u24_sdwa v43, v17, v106 dst_sel:DWORD dst_unused:UNUSED_PAD src0_sel:WORD_1 src1_sel:DWORD
	;; [unrolled: 54-line block ×5, first 2 shown]
	v_pk_fma_f16 v26, v16, v33, v26
	v_pk_fma_f16 v38, v16, v34, v38
	;; [unrolled: 1-line block ×6, first 2 shown]
	ds_read2_b64 v[18:21], v44 offset0:212 offset1:230
	v_pk_fma_f16 v25, v16, v42, v25
	v_pk_fma_f16 v44, v16, v43, v14
	;; [unrolled: 1-line block ×10, first 2 shown]
	ds_read_b128 v[14:17], v75 offset:432
	s_waitcnt lgkmcnt(2)
	v_mul_u32_u24_sdwa v34, v10, v106 dst_sel:DWORD dst_unused:UNUSED_PAD src0_sel:WORD_0 src1_sel:DWORD
	v_mul_u32_u24_sdwa v10, v10, v106 dst_sel:DWORD dst_unused:UNUSED_PAD src0_sel:WORD_1 src1_sel:DWORD
	v_mul_u32_u24_sdwa v35, v11, v106 dst_sel:DWORD dst_unused:UNUSED_PAD src0_sel:WORD_0 src1_sel:DWORD
	v_mul_u32_u24_sdwa v11, v11, v106 dst_sel:DWORD dst_unused:UNUSED_PAD src0_sel:WORD_1 src1_sel:DWORD
	v_mul_u32_u24_sdwa v36, v12, v106 dst_sel:DWORD dst_unused:UNUSED_PAD src0_sel:WORD_0 src1_sel:DWORD
	v_mul_u32_u24_sdwa v12, v12, v106 dst_sel:DWORD dst_unused:UNUSED_PAD src0_sel:WORD_1 src1_sel:DWORD
	v_mul_u32_u24_sdwa v37, v13, v106 dst_sel:DWORD dst_unused:UNUSED_PAD src0_sel:WORD_0 src1_sel:DWORD
	v_mul_u32_u24_sdwa v13, v13, v106 dst_sel:DWORD dst_unused:UNUSED_PAD src0_sel:WORD_1 src1_sel:DWORD
	s_waitcnt lgkmcnt(1)
	v_pk_fma_f16 v26, v18, v34, v26
	v_pk_fma_f16 v38, v18, v10, v38
	;; [unrolled: 1-line block ×16, first 2 shown]
	s_waitcnt lgkmcnt(0)
	v_mul_u32_u24_sdwa v33, v14, v106 dst_sel:DWORD dst_unused:UNUSED_PAD src0_sel:WORD_0 src1_sel:DWORD
	v_mul_u32_u24_sdwa v34, v14, v106 dst_sel:DWORD dst_unused:UNUSED_PAD src0_sel:WORD_1 src1_sel:DWORD
	v_mul_u32_u24_sdwa v35, v15, v106 dst_sel:DWORD dst_unused:UNUSED_PAD src0_sel:WORD_0 src1_sel:DWORD
	v_mul_u32_u24_sdwa v36, v15, v106 dst_sel:DWORD dst_unused:UNUSED_PAD src0_sel:WORD_1 src1_sel:DWORD
	v_mul_u32_u24_sdwa v37, v16, v106 dst_sel:DWORD dst_unused:UNUSED_PAD src0_sel:WORD_0 src1_sel:DWORD
	v_mul_u32_u24_sdwa v41, v16, v106 dst_sel:DWORD dst_unused:UNUSED_PAD src0_sel:WORD_1 src1_sel:DWORD
	v_mul_u32_u24_sdwa v42, v17, v106 dst_sel:DWORD dst_unused:UNUSED_PAD src0_sel:WORD_0 src1_sel:DWORD
	v_mul_u32_u24_sdwa v43, v17, v106 dst_sel:DWORD dst_unused:UNUSED_PAD src0_sel:WORD_1 src1_sel:DWORD
	ds_read_b128 v[10:13], v75 offset:448
	v_add_nc_u32_e32 v14, 0xc00, v101
	v_pk_fma_f16 v26, v20, v33, v26
	v_pk_fma_f16 v38, v20, v34, v38
	;; [unrolled: 1-line block ×6, first 2 shown]
	ds_read2_b64 v[14:17], v14 offset0:120 offset1:138
	v_pk_fma_f16 v25, v20, v42, v25
	v_pk_fma_f16 v44, v20, v43, v18
	;; [unrolled: 1-line block ×10, first 2 shown]
	ds_read_b128 v[18:21], v75 offset:464
	s_waitcnt lgkmcnt(2)
	v_mul_u32_u24_sdwa v34, v10, v106 dst_sel:DWORD dst_unused:UNUSED_PAD src0_sel:WORD_0 src1_sel:DWORD
	v_mul_u32_u24_sdwa v10, v10, v106 dst_sel:DWORD dst_unused:UNUSED_PAD src0_sel:WORD_1 src1_sel:DWORD
	v_mul_u32_u24_sdwa v35, v11, v106 dst_sel:DWORD dst_unused:UNUSED_PAD src0_sel:WORD_0 src1_sel:DWORD
	v_mul_u32_u24_sdwa v11, v11, v106 dst_sel:DWORD dst_unused:UNUSED_PAD src0_sel:WORD_1 src1_sel:DWORD
	;; [unrolled: 2-line block ×4, first 2 shown]
	s_waitcnt lgkmcnt(1)
	v_pk_fma_f16 v26, v14, v34, v26
	v_pk_fma_f16 v38, v14, v10, v38
	;; [unrolled: 1-line block ×16, first 2 shown]
	s_waitcnt lgkmcnt(0)
	v_mul_u32_u24_sdwa v33, v18, v106 dst_sel:DWORD dst_unused:UNUSED_PAD src0_sel:WORD_0 src1_sel:DWORD
	v_mul_u32_u24_sdwa v34, v18, v106 dst_sel:DWORD dst_unused:UNUSED_PAD src0_sel:WORD_1 src1_sel:DWORD
	v_mul_u32_u24_sdwa v35, v19, v106 dst_sel:DWORD dst_unused:UNUSED_PAD src0_sel:WORD_0 src1_sel:DWORD
	v_mul_u32_u24_sdwa v36, v19, v106 dst_sel:DWORD dst_unused:UNUSED_PAD src0_sel:WORD_1 src1_sel:DWORD
	;; [unrolled: 2-line block ×4, first 2 shown]
	ds_read_b128 v[10:13], v75 offset:480
	v_add_nc_u32_e32 v18, 0x1000, v101
	v_pk_fma_f16 v26, v16, v33, v26
	v_pk_fma_f16 v38, v16, v34, v38
	v_pk_fma_f16 v39, v16, v35, v39
	v_pk_fma_f16 v40, v16, v36, v40
	v_pk_fma_f16 v23, v16, v37, v23
	v_pk_fma_f16 v24, v16, v41, v24
	ds_read2_b64 v[18:21], v18 offset0:28 offset1:46
	v_pk_fma_f16 v25, v16, v42, v25
	v_pk_fma_f16 v44, v16, v43, v14
	;; [unrolled: 1-line block ×10, first 2 shown]
	ds_read_b128 v[14:17], v75 offset:496
	s_waitcnt lgkmcnt(0)
	s_barrier
	buffer_gl0_inv
	s_load_dword s8, s[26:27], 0x4
	v_mul_u32_u24_sdwa v34, v10, v106 dst_sel:DWORD dst_unused:UNUSED_PAD src0_sel:WORD_0 src1_sel:DWORD
	v_mul_u32_u24_sdwa v10, v10, v106 dst_sel:DWORD dst_unused:UNUSED_PAD src0_sel:WORD_1 src1_sel:DWORD
	v_mul_u32_u24_sdwa v35, v11, v106 dst_sel:DWORD dst_unused:UNUSED_PAD src0_sel:WORD_0 src1_sel:DWORD
	v_mul_u32_u24_sdwa v11, v11, v106 dst_sel:DWORD dst_unused:UNUSED_PAD src0_sel:WORD_1 src1_sel:DWORD
	;; [unrolled: 2-line block ×4, first 2 shown]
	v_pk_fma_f16 v26, v18, v34, v26
	v_pk_fma_f16 v38, v18, v10, v38
	;; [unrolled: 1-line block ×16, first 2 shown]
	v_mul_u32_u24_sdwa v19, v14, v106 dst_sel:DWORD dst_unused:UNUSED_PAD src0_sel:WORD_0 src1_sel:DWORD
	v_mul_u32_u24_sdwa v14, v14, v106 dst_sel:DWORD dst_unused:UNUSED_PAD src0_sel:WORD_1 src1_sel:DWORD
	v_mul_u32_u24_sdwa v33, v15, v106 dst_sel:DWORD dst_unused:UNUSED_PAD src0_sel:WORD_0 src1_sel:DWORD
	v_mul_u32_u24_sdwa v15, v15, v106 dst_sel:DWORD dst_unused:UNUSED_PAD src0_sel:WORD_1 src1_sel:DWORD
	;; [unrolled: 2-line block ×4, first 2 shown]
	s_waitcnt lgkmcnt(0)
	s_lshl_b32 s8, s8, 5
	v_pk_fma_f16 v42, v20, v19, v26
	v_pk_fma_f16 v40, v20, v14, v38
	;; [unrolled: 1-line block ×16, first 2 shown]
	s_add_i32 s50, s8, s50
	s_cmp_lt_i32 s50, s55
	s_cbranch_scc0 .LBB52_47
; %bb.45:                               ;   in Loop: Header=BB52_24 Depth=1
	v_mov_b32_e32 v19, v2
	v_mov_b32_e32 v25, v3
	;; [unrolled: 1-line block ×16, first 2 shown]
	s_branch .LBB52_24
.LBB52_46:
	v_mov_b32_e32 v2, 0xfeffffff
	v_mov_b32_e32 v42, 0
	;; [unrolled: 1-line block ×32, first 2 shown]
.LBB52_47:
	s_cmp_gt_i32 s44, s50
	s_cbranch_scc1 .LBB52_50
; %bb.48:
	v_mbcnt_lo_u32_b32 v10, -1, 0
	v_mov_b32_e32 v18, 32
	v_xor_b32_e32 v23, 16, v10
	v_xor_b32_e32 v22, 8, v10
	;; [unrolled: 1-line block ×5, first 2 shown]
	s_cbranch_execz .LBB52_51
; %bb.49:
	v_mov_b32_e32 v73, v10
	s_branch .LBB52_95
.LBB52_50:
                                        ; implicit-def: $vgpr10
                                        ; implicit-def: $vgpr18
                                        ; implicit-def: $vgpr23
                                        ; implicit-def: $vgpr22
                                        ; implicit-def: $vgpr21
                                        ; implicit-def: $vgpr20
                                        ; implicit-def: $vgpr19
.LBB52_51:
	s_mul_hi_i32 s9, s50, s52
	s_mul_i32 s8, s50, s52
	s_sub_i32 s12, s44, s50
	s_lshl_b64 s[10:11], s[8:9], 2
	v_cmp_gt_u32_e64 s9, 32, v77
	v_cmp_gt_i32_e64 s8, s12, v77
	s_add_u32 s7, s53, s10
	s_addc_u32 s10, s54, s11
	s_and_saveexec_b32 s11, s9
	s_cbranch_execz .LBB52_53
; %bb.52:
	v_mul_lo_u32 v10, s52, v77
	s_mov_b64 s[14:15], src_private_base
	v_mov_b32_e32 v12, 0
	v_mul_u32_u24_e32 v14, 0xa0, v77
	buffer_store_dword v12, off, s[0:3], 0
	buffer_store_dword v12, off, s[0:3], 0 offset:4
	buffer_store_dword v12, off, s[0:3], 0 offset:8
	;; [unrolled: 1-line block ×3, first 2 shown]
	v_ashrrev_i32_e32 v11, 31, v10
	v_lshlrev_b64 v[10:11], 2, v[10:11]
	v_add_co_u32 v10, vcc_lo, s7, v10
	v_add_co_ci_u32_e64 v11, null, s10, v11, vcc_lo
	v_add_co_u32 v10, vcc_lo, 0x80, v10
	v_add_co_ci_u32_e64 v11, null, 0, v11, vcc_lo
	v_cndmask_b32_e64 v10, 0, v10, s8
	v_cndmask_b32_e64 v11, s15, v11, s8
	flat_load_dwordx4 v[10:13], v[10:11]
	s_waitcnt vmcnt(0) lgkmcnt(0)
	ds_write_b128 v14, v[10:13] offset:9344
.LBB52_53:
	s_or_b32 exec_lo, exec_lo, s11
	v_lshl_add_u32 v24, v1, 2, v88
	v_lshlrev_b32_e32 v25, 2, v89
	s_mov_b64 s[14:15], src_private_base
	v_mov_b32_e32 v18, 0
	v_mov_b32_e32 v49, 0
	v_mul_lo_u32 v10, s52, v24
	buffer_store_dword v18, off, s[0:3], 0
	buffer_store_dword v18, off, s[0:3], 0 offset:4
	buffer_store_dword v18, off, s[0:3], 0 offset:8
	;; [unrolled: 1-line block ×3, first 2 shown]
	v_mov_b32_e32 v48, 0
	v_mov_b32_e32 v47, 0
	;; [unrolled: 1-line block ×4, first 2 shown]
	v_ashrrev_i32_e32 v11, 31, v10
	v_mov_b32_e32 v44, 0
	v_mov_b32_e32 v27, 0
	;; [unrolled: 1-line block ×3, first 2 shown]
	s_cmp_lg_u64 s[42:43], 0
	v_lshlrev_b64 v[10:11], 2, v[10:11]
	s_cselect_b32 s13, -1, 0
	v_add_co_u32 v1, vcc_lo, s7, v10
	v_add_co_ci_u32_e64 v10, null, s10, v11, vcc_lo
	v_cmp_gt_i32_e64 s7, s12, v24
	v_add_co_u32 v1, vcc_lo, v1, v25
	v_add_co_ci_u32_e64 v10, null, 0, v10, vcc_lo
	v_cmp_gt_i32_e64 s10, s12, v0
	v_cndmask_b32_e64 v11, s15, v10, s7
	v_cndmask_b32_e64 v10, 0, v1, s7
	v_mad_u32_u24 v1, 0xa0, v24, v25
	flat_load_dwordx4 v[10:13], v[10:11]
	s_waitcnt vmcnt(0) lgkmcnt(0)
	ds_write_b128 v1, v[10:13] offset:9216
	s_waitcnt lgkmcnt(0)
	s_waitcnt_vscnt null, 0x0
	s_barrier
	buffer_gl0_inv
	ds_read_b128 v[10:13], v79 offset:9216
	ds_read_b128 v[14:17], v78
	ds_read_b128 v[19:22], v78 offset:144
	ds_read_b128 v[50:53], v78 offset:288
	ds_read_b128 v[55:58], v78 offset:432
	ds_read_b128 v[59:62], v78 offset:576
	ds_read_b128 v[88:91], v78 offset:720
	ds_read_b128 v[92:95], v78 offset:864
	ds_read_b128 v[96:99], v78 offset:1008
	v_add_nc_u32_e32 v1, s50, v0
	s_waitcnt lgkmcnt(7)
	;;#ASMSTART
	v_dot2_f32_f16 v49, v10, v14, v49
	;;#ASMEND
	;;#ASMSTART
	v_dot2_f32_f16 v49, v11, v15, v49
	;;#ASMEND
	;;#ASMSTART
	v_dot2_f32_f16 v49, v12, v16, v49
	;;#ASMEND
	;;#ASMSTART
	v_dot2_f32_f16 v49, v13, v17, v49
	;;#ASMEND
	s_waitcnt lgkmcnt(6)
	;;#ASMSTART
	v_dot2_f32_f16 v48, v10, v19, v48
	;;#ASMEND
	;;#ASMSTART
	v_dot2_f32_f16 v48, v11, v20, v48
	;;#ASMEND
	;;#ASMSTART
	v_dot2_f32_f16 v48, v12, v21, v48
	;;#ASMEND
	;;#ASMSTART
	v_dot2_f32_f16 v48, v13, v22, v48
	;;#ASMEND
	s_waitcnt lgkmcnt(5)
	;;#ASMSTART
	v_dot2_f32_f16 v47, v10, v50, v47
	;;#ASMEND
	;;#ASMSTART
	v_dot2_f32_f16 v47, v11, v51, v47
	;;#ASMEND
	;;#ASMSTART
	v_dot2_f32_f16 v47, v12, v52, v47
	;;#ASMEND
	;;#ASMSTART
	v_dot2_f32_f16 v47, v13, v53, v47
	;;#ASMEND
	s_waitcnt lgkmcnt(4)
	;;#ASMSTART
	v_dot2_f32_f16 v46, v10, v55, v46
	;;#ASMEND
	;;#ASMSTART
	v_dot2_f32_f16 v46, v11, v56, v46
	;;#ASMEND
	;;#ASMSTART
	v_dot2_f32_f16 v46, v12, v57, v46
	;;#ASMEND
	;;#ASMSTART
	v_dot2_f32_f16 v46, v13, v58, v46
	;;#ASMEND
	s_waitcnt lgkmcnt(3)
	;;#ASMSTART
	v_dot2_f32_f16 v45, v10, v59, v45
	;;#ASMEND
	;;#ASMSTART
	v_dot2_f32_f16 v45, v11, v60, v45
	;;#ASMEND
	;;#ASMSTART
	v_dot2_f32_f16 v45, v12, v61, v45
	;;#ASMEND
	;;#ASMSTART
	v_dot2_f32_f16 v45, v13, v62, v45
	;;#ASMEND
	s_waitcnt lgkmcnt(2)
	;;#ASMSTART
	v_dot2_f32_f16 v44, v10, v88, v44
	;;#ASMEND
	;;#ASMSTART
	v_dot2_f32_f16 v44, v11, v89, v44
	;;#ASMEND
	;;#ASMSTART
	v_dot2_f32_f16 v44, v12, v90, v44
	;;#ASMEND
	;;#ASMSTART
	v_dot2_f32_f16 v44, v13, v91, v44
	;;#ASMEND
	s_waitcnt lgkmcnt(1)
	;;#ASMSTART
	v_dot2_f32_f16 v27, v10, v92, v27
	;;#ASMEND
	;;#ASMSTART
	v_dot2_f32_f16 v27, v11, v93, v27
	;;#ASMEND
	;;#ASMSTART
	v_dot2_f32_f16 v27, v12, v94, v27
	;;#ASMEND
	;;#ASMSTART
	v_dot2_f32_f16 v27, v13, v95, v27
	;;#ASMEND
	s_waitcnt lgkmcnt(0)
	;;#ASMSTART
	v_dot2_f32_f16 v26, v10, v96, v26
	;;#ASMEND
	;;#ASMSTART
	v_dot2_f32_f16 v26, v11, v97, v26
	;;#ASMEND
	;;#ASMSTART
	v_dot2_f32_f16 v26, v12, v98, v26
	;;#ASMEND
	;;#ASMSTART
	v_dot2_f32_f16 v26, v13, v99, v26
	;;#ASMEND
	ds_read_b128 v[10:13], v79 offset:9232
	ds_read_b128 v[14:17], v78 offset:16
	;; [unrolled: 1-line block ×9, first 2 shown]
	s_waitcnt lgkmcnt(7)
	;;#ASMSTART
	v_dot2_f32_f16 v49, v10, v14, v49
	;;#ASMEND
	;;#ASMSTART
	v_dot2_f32_f16 v49, v11, v15, v49
	;;#ASMEND
	;;#ASMSTART
	v_dot2_f32_f16 v49, v12, v16, v49
	;;#ASMEND
	;;#ASMSTART
	v_dot2_f32_f16 v49, v13, v17, v49
	;;#ASMEND
	s_waitcnt lgkmcnt(6)
	;;#ASMSTART
	v_dot2_f32_f16 v48, v10, v19, v48
	;;#ASMEND
	;;#ASMSTART
	v_dot2_f32_f16 v48, v11, v20, v48
	;;#ASMEND
	;;#ASMSTART
	v_dot2_f32_f16 v48, v12, v21, v48
	;;#ASMEND
	;;#ASMSTART
	v_dot2_f32_f16 v48, v13, v22, v48
	;;#ASMEND
	;; [unrolled: 13-line block ×8, first 2 shown]
	ds_read_b128 v[10:13], v79 offset:9248
	ds_read_b128 v[14:17], v78 offset:32
	;; [unrolled: 1-line block ×9, first 2 shown]
	s_waitcnt lgkmcnt(7)
	;;#ASMSTART
	v_dot2_f32_f16 v49, v10, v14, v49
	;;#ASMEND
	;;#ASMSTART
	v_dot2_f32_f16 v49, v11, v15, v49
	;;#ASMEND
	;;#ASMSTART
	v_dot2_f32_f16 v49, v12, v16, v49
	;;#ASMEND
	;;#ASMSTART
	v_dot2_f32_f16 v49, v13, v17, v49
	;;#ASMEND
	s_waitcnt lgkmcnt(6)
	;;#ASMSTART
	v_dot2_f32_f16 v48, v10, v19, v48
	;;#ASMEND
	;;#ASMSTART
	v_dot2_f32_f16 v48, v11, v20, v48
	;;#ASMEND
	;;#ASMSTART
	v_dot2_f32_f16 v48, v12, v21, v48
	;;#ASMEND
	;;#ASMSTART
	v_dot2_f32_f16 v48, v13, v22, v48
	;;#ASMEND
	;; [unrolled: 13-line block ×8, first 2 shown]
	ds_read_b128 v[10:13], v79 offset:9264
	ds_read_b128 v[14:17], v78 offset:48
	;; [unrolled: 1-line block ×9, first 2 shown]
	s_waitcnt lgkmcnt(7)
	;;#ASMSTART
	v_dot2_f32_f16 v49, v10, v14, v49
	;;#ASMEND
	;;#ASMSTART
	v_dot2_f32_f16 v49, v11, v15, v49
	;;#ASMEND
	;;#ASMSTART
	v_dot2_f32_f16 v49, v12, v16, v49
	;;#ASMEND
	;;#ASMSTART
	v_dot2_f32_f16 v49, v13, v17, v49
	;;#ASMEND
	s_waitcnt lgkmcnt(6)
	;;#ASMSTART
	v_dot2_f32_f16 v48, v10, v19, v48
	;;#ASMEND
	;;#ASMSTART
	v_dot2_f32_f16 v48, v11, v20, v48
	;;#ASMEND
	;;#ASMSTART
	v_dot2_f32_f16 v48, v12, v21, v48
	;;#ASMEND
	;;#ASMSTART
	v_dot2_f32_f16 v48, v13, v22, v48
	;;#ASMEND
	;; [unrolled: 13-line block ×8, first 2 shown]
	ds_read_b128 v[10:13], v79 offset:9280
	ds_read_b128 v[14:17], v78 offset:64
	;; [unrolled: 1-line block ×9, first 2 shown]
	s_waitcnt lgkmcnt(7)
	;;#ASMSTART
	v_dot2_f32_f16 v49, v10, v14, v49
	;;#ASMEND
	;;#ASMSTART
	v_dot2_f32_f16 v49, v11, v15, v49
	;;#ASMEND
	;;#ASMSTART
	v_dot2_f32_f16 v49, v12, v16, v49
	;;#ASMEND
	;;#ASMSTART
	v_dot2_f32_f16 v49, v13, v17, v49
	;;#ASMEND
	s_waitcnt lgkmcnt(6)
	;;#ASMSTART
	v_dot2_f32_f16 v48, v10, v19, v48
	;;#ASMEND
	;;#ASMSTART
	v_dot2_f32_f16 v48, v11, v20, v48
	;;#ASMEND
	;;#ASMSTART
	v_dot2_f32_f16 v48, v12, v21, v48
	;;#ASMEND
	;;#ASMSTART
	v_dot2_f32_f16 v48, v13, v22, v48
	;;#ASMEND
	;; [unrolled: 13-line block ×8, first 2 shown]
	ds_read_b128 v[10:13], v79 offset:9296
	ds_read_b128 v[14:17], v78 offset:80
	;; [unrolled: 1-line block ×9, first 2 shown]
	s_waitcnt lgkmcnt(7)
	;;#ASMSTART
	v_dot2_f32_f16 v49, v10, v14, v49
	;;#ASMEND
	;;#ASMSTART
	v_dot2_f32_f16 v49, v11, v15, v49
	;;#ASMEND
	;;#ASMSTART
	v_dot2_f32_f16 v49, v12, v16, v49
	;;#ASMEND
	;;#ASMSTART
	v_dot2_f32_f16 v49, v13, v17, v49
	;;#ASMEND
	s_waitcnt lgkmcnt(6)
	;;#ASMSTART
	v_dot2_f32_f16 v48, v10, v19, v48
	;;#ASMEND
	;;#ASMSTART
	v_dot2_f32_f16 v48, v11, v20, v48
	;;#ASMEND
	;;#ASMSTART
	v_dot2_f32_f16 v48, v12, v21, v48
	;;#ASMEND
	;;#ASMSTART
	v_dot2_f32_f16 v48, v13, v22, v48
	;;#ASMEND
	;; [unrolled: 13-line block ×8, first 2 shown]
	ds_read_b128 v[10:13], v79 offset:9312
	ds_read_b128 v[14:17], v78 offset:96
	;; [unrolled: 1-line block ×9, first 2 shown]
	s_waitcnt lgkmcnt(7)
	;;#ASMSTART
	v_dot2_f32_f16 v49, v10, v14, v49
	;;#ASMEND
	;;#ASMSTART
	v_dot2_f32_f16 v49, v11, v15, v49
	;;#ASMEND
	;;#ASMSTART
	v_dot2_f32_f16 v49, v12, v16, v49
	;;#ASMEND
	;;#ASMSTART
	v_dot2_f32_f16 v49, v13, v17, v49
	;;#ASMEND
	s_waitcnt lgkmcnt(6)
	;;#ASMSTART
	v_dot2_f32_f16 v48, v10, v19, v48
	;;#ASMEND
	;;#ASMSTART
	v_dot2_f32_f16 v48, v11, v20, v48
	;;#ASMEND
	;;#ASMSTART
	v_dot2_f32_f16 v48, v12, v21, v48
	;;#ASMEND
	;;#ASMSTART
	v_dot2_f32_f16 v48, v13, v22, v48
	;;#ASMEND
	;; [unrolled: 13-line block ×8, first 2 shown]
	ds_read_b128 v[10:13], v79 offset:9328
	ds_read_b128 v[14:17], v78 offset:112
	ds_read_b128 v[19:22], v78 offset:256
	ds_read_b128 v[50:53], v78 offset:400
	ds_read_b128 v[55:58], v78 offset:544
	ds_read_b128 v[59:62], v78 offset:688
	ds_read_b128 v[88:91], v78 offset:832
	ds_read_b128 v[92:95], v78 offset:976
	ds_read_b128 v[96:99], v78 offset:1120
	s_waitcnt lgkmcnt(7)
	;;#ASMSTART
	v_dot2_f32_f16 v49, v10, v14, v49
	;;#ASMEND
	;;#ASMSTART
	v_dot2_f32_f16 v49, v11, v15, v49
	;;#ASMEND
	;;#ASMSTART
	v_dot2_f32_f16 v49, v12, v16, v49
	;;#ASMEND
	;;#ASMSTART
	v_dot2_f32_f16 v49, v13, v17, v49
	;;#ASMEND
	s_waitcnt lgkmcnt(6)
	;;#ASMSTART
	v_dot2_f32_f16 v48, v10, v19, v48
	;;#ASMEND
	;;#ASMSTART
	v_dot2_f32_f16 v48, v11, v20, v48
	;;#ASMEND
	;;#ASMSTART
	v_dot2_f32_f16 v48, v12, v21, v48
	;;#ASMEND
	;;#ASMSTART
	v_dot2_f32_f16 v48, v13, v22, v48
	;;#ASMEND
	;; [unrolled: 13-line block ×8, first 2 shown]
	ds_read_b128 v[19:22], v79 offset:9344
	ds_read_b128 v[55:58], v78 offset:128
	;; [unrolled: 1-line block ×9, first 2 shown]
	s_waitcnt lgkmcnt(7)
	;;#ASMSTART
	v_dot2_f32_f16 v49, v19, v55, v49
	;;#ASMEND
	;;#ASMSTART
	v_dot2_f32_f16 v49, v20, v56, v49
	;;#ASMEND
	;;#ASMSTART
	v_dot2_f32_f16 v49, v21, v57, v49
	;;#ASMEND
	;;#ASMSTART
	v_dot2_f32_f16 v49, v22, v58, v49
	;;#ASMEND
	s_waitcnt lgkmcnt(6)
	;;#ASMSTART
	v_dot2_f32_f16 v48, v19, v59, v48
	;;#ASMEND
	;;#ASMSTART
	v_dot2_f32_f16 v48, v20, v60, v48
	;;#ASMEND
	;;#ASMSTART
	v_dot2_f32_f16 v48, v21, v61, v48
	;;#ASMEND
	;;#ASMSTART
	v_dot2_f32_f16 v48, v22, v62, v48
	;;#ASMEND
	;; [unrolled: 13-line block ×5, first 2 shown]
	s_waitcnt lgkmcnt(2)
	;;#ASMSTART
	v_dot2_f32_f16 v44, v19, v100, v44
	;;#ASMEND
	;;#ASMSTART
	v_dot2_f32_f16 v44, v20, v101, v44
	;;#ASMEND
	;; [unrolled: 3-line block ×3, first 2 shown]
	v_mov_b32_e32 v17, v9
	;;#ASMSTART
	v_dot2_f32_f16 v44, v22, v103, v44
	;;#ASMEND
	s_waitcnt lgkmcnt(1)
	;;#ASMSTART
	v_dot2_f32_f16 v27, v19, v104, v27
	;;#ASMEND
	v_mov_b32_e32 v16, v8
	v_mov_b32_e32 v15, v7
	;; [unrolled: 1-line block ×7, first 2 shown]
	v_cndmask_b32_e64 v52, 0, 1, s13
	;;#ASMSTART
	v_dot2_f32_f16 v27, v20, v105, v27
	;;#ASMEND
	;;#ASMSTART
	v_dot2_f32_f16 v27, v21, v106, v27
	;;#ASMEND
	;; [unrolled: 3-line block ×3, first 2 shown]
	s_waitcnt lgkmcnt(0)
	;;#ASMSTART
	v_dot2_f32_f16 v26, v19, v108, v26
	;;#ASMEND
	;;#ASMSTART
	v_dot2_f32_f16 v26, v20, v109, v26
	;;#ASMEND
	;; [unrolled: 3-line block ×4, first 2 shown]
	s_and_saveexec_b32 s11, s10
	s_cbranch_execz .LBB52_57
; %bb.54:
	s_andn2_b32 vcc_lo, exec_lo, s13
	s_cbranch_vccnz .LBB52_56
; %bb.55:
	v_mul_hi_u32 v10, s36, v72
	v_add_nc_u32_e32 v10, v72, v10
	v_lshrrev_b32_e32 v10, s37, v10
	v_mul_lo_u32 v10, v10, s38
	v_sub_nc_u32_e32 v10, v72, v10
	v_mad_u64_u32 v[10:11], null, v10, s51, v[1:2]
	v_ashrrev_i32_e32 v11, 31, v10
	v_lshlrev_b64 v[10:11], 1, v[10:11]
	v_add_co_u32 v10, vcc_lo, s42, v10
	v_add_co_ci_u32_e64 v11, null, s43, v11, vcc_lo
	global_load_ushort v10, v[10:11], off
	s_waitcnt vmcnt(0)
	v_cvt_f32_f16_e32 v10, v10
	v_mul_f32_e32 v18, v76, v10
.LBB52_56:
	v_add_f32_e32 v49, v49, v18
	v_max_f32_e32 v18, v2, v2
	v_mov_b32_e32 v17, v9
	v_mov_b32_e32 v10, v2
	;; [unrolled: 1-line block ×3, first 2 shown]
	v_add_f32_e32 v19, 0x40051340, v49
	v_mov_b32_e32 v15, v7
	v_mov_b32_e32 v14, v6
	;; [unrolled: 1-line block ×5, first 2 shown]
	v_max_f32_e32 v10, v18, v19
.LBB52_57:
	s_or_b32 exec_lo, exec_lo, s11
	v_xor_b32_e32 v23, 16, v73
	v_xor_b32_e32 v22, 8, v73
	;; [unrolled: 1-line block ×4, first 2 shown]
	v_cmp_gt_i32_e32 vcc_lo, 32, v23
	v_cndmask_b32_e32 v18, v73, v23, vcc_lo
	v_cmp_gt_i32_e32 vcc_lo, 32, v22
	v_lshlrev_b32_e32 v53, 2, v18
	v_cndmask_b32_e32 v19, v73, v22, vcc_lo
	v_cmp_gt_i32_e32 vcc_lo, 32, v21
	ds_bpermute_b32 v18, v53, v10
	v_max_f32_e32 v10, v10, v10
	v_lshlrev_b32_e32 v55, 2, v19
	v_cndmask_b32_e32 v19, v73, v21, vcc_lo
	v_cmp_gt_i32_e32 vcc_lo, 32, v20
	v_lshlrev_b32_e32 v56, 2, v19
	v_cndmask_b32_e32 v19, v73, v20, vcc_lo
	v_lshlrev_b32_e32 v51, 2, v19
	v_xor_b32_e32 v19, 1, v73
	v_cmp_gt_i32_e32 vcc_lo, 32, v19
	s_waitcnt lgkmcnt(0)
	v_max_f32_e32 v18, v18, v18
	v_cndmask_b32_e32 v50, v73, v19, vcc_lo
	v_max_f32_e32 v10, v10, v18
	v_lshlrev_b32_e32 v50, 2, v50
	ds_bpermute_b32 v18, v55, v10
	s_waitcnt lgkmcnt(0)
	v_max_f32_e32 v18, v18, v18
	v_max_f32_e32 v10, v10, v18
	ds_bpermute_b32 v18, v56, v10
	s_waitcnt lgkmcnt(0)
	v_max_f32_e32 v18, v18, v18
	v_max_f32_e32 v10, v10, v18
	;; [unrolled: 4-line block ×3, first 2 shown]
	ds_bpermute_b32 v18, v50, v10
	s_waitcnt lgkmcnt(0)
	v_max_f32_e32 v57, v18, v18
	v_mov_b32_e32 v18, 32
	v_max_f32_e32 v10, v10, v57
	s_and_saveexec_b32 s11, s10
	s_cbranch_execz .LBB52_62
; %bb.58:
	v_cmp_ne_u32_e32 vcc_lo, 1, v52
	s_cbranch_vccnz .LBB52_60
; %bb.59:
	v_or_b32_e32 v57, 1, v72
	v_mul_hi_u32 v58, s36, v57
	v_add_nc_u32_e32 v58, v57, v58
	v_lshrrev_b32_e32 v58, s37, v58
	v_mul_lo_u32 v58, v58, s38
	v_sub_nc_u32_e32 v57, v57, v58
	v_mad_u64_u32 v[57:58], null, v57, s51, v[1:2]
	v_ashrrev_i32_e32 v58, 31, v57
	v_lshlrev_b64 v[57:58], 1, v[57:58]
	v_add_co_u32 v57, vcc_lo, s42, v57
	v_add_co_ci_u32_e64 v58, null, s43, v58, vcc_lo
	global_load_ushort v57, v[57:58], off
	s_waitcnt vmcnt(0)
	v_cvt_f32_f16_e32 v57, v57
	v_mul_f32_e32 v57, v76, v57
	s_branch .LBB52_61
.LBB52_60:
	v_mov_b32_e32 v57, 0
.LBB52_61:
	v_add_f32_e32 v48, v48, v57
	v_max_f32_e32 v11, v11, v11
	v_add_f32_e32 v57, 0x40051340, v48
	v_max_f32_e32 v11, v11, v57
.LBB52_62:
	s_or_b32 exec_lo, exec_lo, s11
	ds_bpermute_b32 v57, v53, v11
	v_max_f32_e32 v11, v11, v11
	s_waitcnt lgkmcnt(0)
	v_max_f32_e32 v57, v57, v57
	v_max_f32_e32 v11, v11, v57
	ds_bpermute_b32 v57, v55, v11
	s_waitcnt lgkmcnt(0)
	v_max_f32_e32 v57, v57, v57
	v_max_f32_e32 v11, v11, v57
	ds_bpermute_b32 v57, v56, v11
	s_waitcnt lgkmcnt(0)
	v_max_f32_e32 v57, v57, v57
	v_max_f32_e32 v11, v11, v57
	ds_bpermute_b32 v57, v51, v11
	s_waitcnt lgkmcnt(0)
	v_max_f32_e32 v57, v57, v57
	v_max_f32_e32 v11, v11, v57
	ds_bpermute_b32 v57, v50, v11
	s_waitcnt lgkmcnt(0)
	v_max_f32_e32 v57, v57, v57
	v_max_f32_e32 v11, v11, v57
	s_and_saveexec_b32 s11, s10
	s_cbranch_execz .LBB52_67
; %bb.63:
	v_cmp_ne_u32_e32 vcc_lo, 1, v52
	s_cbranch_vccnz .LBB52_65
; %bb.64:
	v_or_b32_e32 v57, 2, v72
	v_mul_hi_u32 v58, s36, v57
	v_add_nc_u32_e32 v58, v57, v58
	v_lshrrev_b32_e32 v58, s37, v58
	v_mul_lo_u32 v58, v58, s38
	v_sub_nc_u32_e32 v57, v57, v58
	v_mad_u64_u32 v[57:58], null, v57, s51, v[1:2]
	v_ashrrev_i32_e32 v58, 31, v57
	v_lshlrev_b64 v[57:58], 1, v[57:58]
	v_add_co_u32 v57, vcc_lo, s42, v57
	v_add_co_ci_u32_e64 v58, null, s43, v58, vcc_lo
	global_load_ushort v57, v[57:58], off
	s_waitcnt vmcnt(0)
	v_cvt_f32_f16_e32 v57, v57
	v_mul_f32_e32 v57, v76, v57
	s_branch .LBB52_66
.LBB52_65:
	v_mov_b32_e32 v57, 0
.LBB52_66:
	v_add_f32_e32 v47, v47, v57
	v_max_f32_e32 v12, v12, v12
	v_add_f32_e32 v57, 0x40051340, v47
	v_max_f32_e32 v12, v12, v57
.LBB52_67:
	s_or_b32 exec_lo, exec_lo, s11
	ds_bpermute_b32 v57, v53, v12
	v_max_f32_e32 v12, v12, v12
	s_waitcnt lgkmcnt(0)
	v_max_f32_e32 v57, v57, v57
	v_max_f32_e32 v12, v12, v57
	ds_bpermute_b32 v57, v55, v12
	s_waitcnt lgkmcnt(0)
	v_max_f32_e32 v57, v57, v57
	v_max_f32_e32 v12, v12, v57
	ds_bpermute_b32 v57, v56, v12
	s_waitcnt lgkmcnt(0)
	v_max_f32_e32 v57, v57, v57
	v_max_f32_e32 v12, v12, v57
	ds_bpermute_b32 v57, v51, v12
	s_waitcnt lgkmcnt(0)
	v_max_f32_e32 v57, v57, v57
	v_max_f32_e32 v12, v12, v57
	ds_bpermute_b32 v57, v50, v12
	s_waitcnt lgkmcnt(0)
	v_max_f32_e32 v57, v57, v57
	v_max_f32_e32 v12, v12, v57
	s_and_saveexec_b32 s11, s10
	s_cbranch_execz .LBB52_72
; %bb.68:
	v_cmp_ne_u32_e32 vcc_lo, 1, v52
	s_cbranch_vccnz .LBB52_70
; %bb.69:
	v_or_b32_e32 v57, 3, v72
	v_mul_hi_u32 v58, s36, v57
	v_add_nc_u32_e32 v58, v57, v58
	v_lshrrev_b32_e32 v58, s37, v58
	v_mul_lo_u32 v58, v58, s38
	v_sub_nc_u32_e32 v57, v57, v58
	v_mad_u64_u32 v[57:58], null, v57, s51, v[1:2]
	v_ashrrev_i32_e32 v58, 31, v57
	v_lshlrev_b64 v[57:58], 1, v[57:58]
	v_add_co_u32 v57, vcc_lo, s42, v57
	v_add_co_ci_u32_e64 v58, null, s43, v58, vcc_lo
	global_load_ushort v57, v[57:58], off
	s_waitcnt vmcnt(0)
	v_cvt_f32_f16_e32 v57, v57
	v_mul_f32_e32 v57, v76, v57
	s_branch .LBB52_71
.LBB52_70:
	v_mov_b32_e32 v57, 0
.LBB52_71:
	v_add_f32_e32 v46, v46, v57
	v_max_f32_e32 v13, v13, v13
	v_add_f32_e32 v57, 0x40051340, v46
	v_max_f32_e32 v13, v13, v57
.LBB52_72:
	s_or_b32 exec_lo, exec_lo, s11
	ds_bpermute_b32 v57, v53, v13
	v_max_f32_e32 v13, v13, v13
	s_waitcnt lgkmcnt(0)
	v_max_f32_e32 v57, v57, v57
	v_max_f32_e32 v13, v13, v57
	ds_bpermute_b32 v57, v55, v13
	s_waitcnt lgkmcnt(0)
	v_max_f32_e32 v57, v57, v57
	v_max_f32_e32 v13, v13, v57
	ds_bpermute_b32 v57, v56, v13
	s_waitcnt lgkmcnt(0)
	v_max_f32_e32 v57, v57, v57
	v_max_f32_e32 v13, v13, v57
	ds_bpermute_b32 v57, v51, v13
	s_waitcnt lgkmcnt(0)
	v_max_f32_e32 v57, v57, v57
	v_max_f32_e32 v13, v13, v57
	ds_bpermute_b32 v57, v50, v13
	s_waitcnt lgkmcnt(0)
	v_max_f32_e32 v57, v57, v57
	v_max_f32_e32 v13, v13, v57
	s_and_saveexec_b32 s11, s10
	s_cbranch_execz .LBB52_77
; %bb.73:
	v_cmp_ne_u32_e32 vcc_lo, 1, v52
	s_cbranch_vccnz .LBB52_75
; %bb.74:
	v_or_b32_e32 v57, 4, v72
	v_mul_hi_u32 v58, s36, v57
	v_add_nc_u32_e32 v58, v57, v58
	v_lshrrev_b32_e32 v58, s37, v58
	v_mul_lo_u32 v58, v58, s38
	v_sub_nc_u32_e32 v57, v57, v58
	v_mad_u64_u32 v[57:58], null, v57, s51, v[1:2]
	v_ashrrev_i32_e32 v58, 31, v57
	v_lshlrev_b64 v[57:58], 1, v[57:58]
	v_add_co_u32 v57, vcc_lo, s42, v57
	v_add_co_ci_u32_e64 v58, null, s43, v58, vcc_lo
	global_load_ushort v57, v[57:58], off
	s_waitcnt vmcnt(0)
	v_cvt_f32_f16_e32 v57, v57
	v_mul_f32_e32 v57, v76, v57
	s_branch .LBB52_76
.LBB52_75:
	v_mov_b32_e32 v57, 0
.LBB52_76:
	v_add_f32_e32 v45, v45, v57
	v_max_f32_e32 v14, v14, v14
	v_add_f32_e32 v57, 0x40051340, v45
	v_max_f32_e32 v14, v14, v57
.LBB52_77:
	s_or_b32 exec_lo, exec_lo, s11
	ds_bpermute_b32 v57, v53, v14
	v_max_f32_e32 v14, v14, v14
	s_waitcnt lgkmcnt(0)
	v_max_f32_e32 v57, v57, v57
	v_max_f32_e32 v14, v14, v57
	ds_bpermute_b32 v57, v55, v14
	s_waitcnt lgkmcnt(0)
	v_max_f32_e32 v57, v57, v57
	v_max_f32_e32 v14, v14, v57
	ds_bpermute_b32 v57, v56, v14
	s_waitcnt lgkmcnt(0)
	v_max_f32_e32 v57, v57, v57
	v_max_f32_e32 v14, v14, v57
	ds_bpermute_b32 v57, v51, v14
	s_waitcnt lgkmcnt(0)
	v_max_f32_e32 v57, v57, v57
	v_max_f32_e32 v14, v14, v57
	ds_bpermute_b32 v57, v50, v14
	s_waitcnt lgkmcnt(0)
	v_max_f32_e32 v57, v57, v57
	v_max_f32_e32 v14, v14, v57
	s_and_saveexec_b32 s11, s10
	s_cbranch_execz .LBB52_82
; %bb.78:
	v_cmp_ne_u32_e32 vcc_lo, 1, v52
	s_cbranch_vccnz .LBB52_80
; %bb.79:
	v_or_b32_e32 v57, 5, v72
	v_mul_hi_u32 v58, s36, v57
	v_add_nc_u32_e32 v58, v57, v58
	v_lshrrev_b32_e32 v58, s37, v58
	v_mul_lo_u32 v58, v58, s38
	v_sub_nc_u32_e32 v57, v57, v58
	v_mad_u64_u32 v[57:58], null, v57, s51, v[1:2]
	v_ashrrev_i32_e32 v58, 31, v57
	v_lshlrev_b64 v[57:58], 1, v[57:58]
	v_add_co_u32 v57, vcc_lo, s42, v57
	v_add_co_ci_u32_e64 v58, null, s43, v58, vcc_lo
	global_load_ushort v57, v[57:58], off
	s_waitcnt vmcnt(0)
	v_cvt_f32_f16_e32 v57, v57
	v_mul_f32_e32 v57, v76, v57
	s_branch .LBB52_81
.LBB52_80:
	v_mov_b32_e32 v57, 0
.LBB52_81:
	v_add_f32_e32 v44, v44, v57
	v_max_f32_e32 v15, v15, v15
	v_add_f32_e32 v57, 0x40051340, v44
	v_max_f32_e32 v15, v15, v57
.LBB52_82:
	s_or_b32 exec_lo, exec_lo, s11
	ds_bpermute_b32 v57, v53, v15
	v_max_f32_e32 v15, v15, v15
	s_waitcnt lgkmcnt(0)
	v_max_f32_e32 v57, v57, v57
	v_max_f32_e32 v15, v15, v57
	ds_bpermute_b32 v57, v55, v15
	s_waitcnt lgkmcnt(0)
	v_max_f32_e32 v57, v57, v57
	v_max_f32_e32 v15, v15, v57
	ds_bpermute_b32 v57, v56, v15
	s_waitcnt lgkmcnt(0)
	v_max_f32_e32 v57, v57, v57
	v_max_f32_e32 v15, v15, v57
	ds_bpermute_b32 v57, v51, v15
	s_waitcnt lgkmcnt(0)
	v_max_f32_e32 v57, v57, v57
	v_max_f32_e32 v15, v15, v57
	ds_bpermute_b32 v57, v50, v15
	s_waitcnt lgkmcnt(0)
	v_max_f32_e32 v57, v57, v57
	v_max_f32_e32 v15, v15, v57
	s_and_saveexec_b32 s11, s10
	s_cbranch_execz .LBB52_87
; %bb.83:
	v_cmp_ne_u32_e32 vcc_lo, 1, v52
	s_cbranch_vccnz .LBB52_85
; %bb.84:
	v_or_b32_e32 v57, 6, v72
	v_mul_hi_u32 v58, s36, v57
	v_add_nc_u32_e32 v58, v57, v58
	v_lshrrev_b32_e32 v58, s37, v58
	v_mul_lo_u32 v58, v58, s38
	v_sub_nc_u32_e32 v57, v57, v58
	v_mad_u64_u32 v[57:58], null, v57, s51, v[1:2]
	v_ashrrev_i32_e32 v58, 31, v57
	v_lshlrev_b64 v[57:58], 1, v[57:58]
	v_add_co_u32 v57, vcc_lo, s42, v57
	v_add_co_ci_u32_e64 v58, null, s43, v58, vcc_lo
	global_load_ushort v57, v[57:58], off
	s_waitcnt vmcnt(0)
	v_cvt_f32_f16_e32 v57, v57
	v_mul_f32_e32 v57, v76, v57
	s_branch .LBB52_86
.LBB52_85:
	v_mov_b32_e32 v57, 0
.LBB52_86:
	v_add_f32_e32 v27, v27, v57
	v_max_f32_e32 v16, v16, v16
	v_add_f32_e32 v57, 0x40051340, v27
	v_max_f32_e32 v16, v16, v57
.LBB52_87:
	s_or_b32 exec_lo, exec_lo, s11
	ds_bpermute_b32 v57, v53, v16
	v_max_f32_e32 v16, v16, v16
	s_waitcnt lgkmcnt(0)
	v_max_f32_e32 v57, v57, v57
	v_max_f32_e32 v16, v16, v57
	ds_bpermute_b32 v57, v55, v16
	s_waitcnt lgkmcnt(0)
	v_max_f32_e32 v57, v57, v57
	v_max_f32_e32 v16, v16, v57
	ds_bpermute_b32 v57, v56, v16
	s_waitcnt lgkmcnt(0)
	v_max_f32_e32 v57, v57, v57
	v_max_f32_e32 v16, v16, v57
	ds_bpermute_b32 v57, v51, v16
	s_waitcnt lgkmcnt(0)
	v_max_f32_e32 v57, v57, v57
	v_max_f32_e32 v16, v16, v57
	ds_bpermute_b32 v57, v50, v16
	s_waitcnt lgkmcnt(0)
	v_max_f32_e32 v57, v57, v57
	v_max_f32_e32 v16, v16, v57
	s_and_saveexec_b32 s11, s10
	s_cbranch_execz .LBB52_92
; %bb.88:
	v_cmp_ne_u32_e32 vcc_lo, 1, v52
	s_cbranch_vccnz .LBB52_90
; %bb.89:
	v_or_b32_e32 v52, 7, v72
	v_mul_hi_u32 v57, s36, v52
	v_add_nc_u32_e32 v57, v52, v57
	v_lshrrev_b32_e32 v57, s37, v57
	v_mul_lo_u32 v57, v57, s38
	v_sub_nc_u32_e32 v52, v52, v57
	v_mad_u64_u32 v[57:58], null, v52, s51, v[1:2]
	v_ashrrev_i32_e32 v58, 31, v57
	v_lshlrev_b64 v[57:58], 1, v[57:58]
	v_add_co_u32 v57, vcc_lo, s42, v57
	v_add_co_ci_u32_e64 v58, null, s43, v58, vcc_lo
	global_load_ushort v1, v[57:58], off
	s_waitcnt vmcnt(0)
	v_cvt_f32_f16_e32 v1, v1
	v_mul_f32_e32 v1, v76, v1
	s_branch .LBB52_91
.LBB52_90:
	v_mov_b32_e32 v1, 0
.LBB52_91:
	v_add_f32_e32 v26, v26, v1
	v_max_f32_e32 v17, v17, v17
	v_add_f32_e32 v1, 0x40051340, v26
	v_max_f32_e32 v17, v17, v1
.LBB52_92:
	s_or_b32 exec_lo, exec_lo, s11
	ds_bpermute_b32 v1, v53, v17
	v_max_f32_e32 v17, v17, v17
	v_sub_f32_e32 v49, v49, v10
	v_sub_f32_e32 v48, v48, v11
	;; [unrolled: 1-line block ×5, first 2 shown]
	v_mul_f32_e32 v52, 0x3fb8aa3b, v49
	v_sub_f32_e32 v44, v44, v15
	v_sub_f32_e32 v27, v27, v16
	v_cmp_ngt_f32_e32 vcc_lo, 0xc2ce8ed0, v49
	v_mul_f32_e32 v57, 0x3fb8aa3b, v45
	v_fma_f32 v60, 0x3fb8aa3b, v49, -v52
	v_rndne_f32_e32 v61, v52
	v_mul_f32_e32 v58, 0x3fb8aa3b, v44
	v_mul_f32_e32 v59, 0x3fb8aa3b, v27
	v_fma_f32 v90, 0x3fb8aa3b, v45, -v57
	v_fmac_f32_e32 v60, 0x32a5705f, v49
	v_sub_f32_e32 v52, v52, v61
	v_rndne_f32_e32 v91, v57
	s_waitcnt lgkmcnt(0)
	v_max_f32_e32 v1, v1, v1
	v_fma_f32 v92, 0x3fb8aa3b, v44, -v58
	v_rndne_f32_e32 v93, v58
	v_add_f32_e32 v52, v52, v60
	v_fma_f32 v94, 0x3fb8aa3b, v27, -v59
	v_max_f32_e32 v1, v17, v1
	v_rndne_f32_e32 v95, v59
	v_fmac_f32_e32 v90, 0x32a5705f, v45
	v_sub_f32_e32 v57, v57, v91
	v_exp_f32_e32 v52, v52
	ds_bpermute_b32 v17, v55, v1
	v_mul_f32_e32 v55, 0x3fb8aa3b, v48
	v_cvt_i32_f32_e32 v61, v61
	v_fmac_f32_e32 v92, 0x32a5705f, v44
	v_sub_f32_e32 v58, v58, v93
	v_fmac_f32_e32 v94, 0x32a5705f, v27
	v_fma_f32 v62, 0x3fb8aa3b, v48, -v55
	v_rndne_f32_e32 v76, v55
	v_sub_f32_e32 v59, v59, v95
	v_add_f32_e32 v57, v57, v90
	v_add_f32_e32 v58, v58, v92
	v_fmac_f32_e32 v62, 0x32a5705f, v48
	v_sub_f32_e32 v55, v55, v76
	v_cvt_i32_f32_e32 v76, v76
	v_add_f32_e32 v59, v59, v94
	v_exp_f32_e32 v57, v57
	v_ldexp_f32 v52, v52, v61
	v_add_f32_e32 v55, v55, v62
	v_cmp_nlt_f32_e64 s10, 0x42b17218, v48
	s_mul_hi_i32 s11, s50, s45
	s_waitcnt lgkmcnt(0)
	v_max_f32_e32 v17, v17, v17
	v_cndmask_b32_e32 v52, 0, v52, vcc_lo
	v_exp_f32_e32 v55, v55
	v_cmp_ngt_f32_e32 vcc_lo, 0xc2ce8ed0, v48
	v_lshl_add_u32 v53, v0, 4, v75
	v_max_f32_e32 v1, v1, v17
	s_barrier
	buffer_gl0_inv
	ds_bpermute_b32 v17, v56, v1
	v_mul_f32_e32 v56, 0x3fb8aa3b, v47
	v_fma_f32 v78, 0x3fb8aa3b, v47, -v56
	v_rndne_f32_e32 v79, v56
	v_fmac_f32_e32 v78, 0x32a5705f, v47
	v_sub_f32_e32 v56, v56, v79
	v_cvt_i32_f32_e32 v79, v79
	v_add_f32_e32 v56, v56, v78
	s_waitcnt lgkmcnt(0)
	v_max_f32_e32 v17, v17, v17
	v_exp_f32_e32 v56, v56
	v_max_f32_e32 v1, v1, v17
	v_mul_f32_e32 v17, 0x3fb8aa3b, v46
	ds_bpermute_b32 v51, v51, v1
	v_fma_f32 v88, 0x3fb8aa3b, v46, -v17
	v_rndne_f32_e32 v89, v17
	v_fmac_f32_e32 v88, 0x32a5705f, v46
	v_sub_f32_e32 v17, v17, v89
	v_add_f32_e32 v17, v17, v88
	v_exp_f32_e32 v60, v17
	s_waitcnt lgkmcnt(0)
	v_max_f32_e32 v51, v51, v51
	v_max_f32_e32 v1, v1, v51
	v_cvt_i32_f32_e32 v51, v89
	v_cvt_i32_f32_e32 v89, v91
	;; [unrolled: 1-line block ×3, first 2 shown]
	ds_bpermute_b32 v50, v50, v1
	v_ldexp_f32 v51, v60, v51
	s_waitcnt lgkmcnt(0)
	v_max_f32_e32 v17, v50, v50
	v_exp_f32_e32 v50, v58
	v_exp_f32_e32 v58, v59
	v_cvt_i32_f32_e32 v59, v95
	v_max_f32_e32 v17, v1, v17
	v_ldexp_f32 v1, v55, v76
	v_ldexp_f32 v55, v56, v79
	v_ldexp_f32 v56, v57, v89
	v_sub_f32_e32 v57, v26, v17
	v_cndmask_b32_e32 v1, 0, v1, vcc_lo
	v_cmp_ngt_f32_e32 vcc_lo, 0xc2ce8ed0, v47
	v_ldexp_f32 v26, v50, v91
	v_ldexp_f32 v50, v58, v59
	v_mul_f32_e32 v58, 0x3fb8aa3b, v57
	v_cndmask_b32_e64 v48, 0x7f800000, v1, s10
	v_cndmask_b32_e32 v55, 0, v55, vcc_lo
	v_cmp_ngt_f32_e32 vcc_lo, 0xc2ce8ed0, v46
	v_cmp_nlt_f32_e64 s10, 0x42b17218, v47
	v_fma_f32 v59, 0x3fb8aa3b, v57, -v58
	v_rndne_f32_e32 v60, v58
	v_cndmask_b32_e32 v51, 0, v51, vcc_lo
	v_cmp_ngt_f32_e32 vcc_lo, 0xc2ce8ed0, v45
	v_fmac_f32_e32 v59, 0x32a5705f, v57
	v_sub_f32_e32 v58, v58, v60
	v_cndmask_b32_e64 v47, 0x7f800000, v55, s10
	v_cmp_nlt_f32_e64 s10, 0x42b17218, v46
	v_cndmask_b32_e32 v56, 0, v56, vcc_lo
	v_cmp_ngt_f32_e32 vcc_lo, 0xc2ce8ed0, v44
	v_add_f32_e32 v58, v58, v59
	v_cndmask_b32_e64 v46, 0x7f800000, v51, s10
	v_cmp_nlt_f32_e64 s10, 0x42b17218, v45
	v_cndmask_b32_e32 v26, 0, v26, vcc_lo
	v_cmp_ngt_f32_e32 vcc_lo, 0xc2ce8ed0, v27
	v_exp_f32_e32 v1, v58
	v_cvt_i32_f32_e32 v51, v60
	v_cndmask_b32_e64 v45, 0x7f800000, v56, s10
	v_cmp_nlt_f32_e64 s10, 0x42b17218, v44
	v_cndmask_b32_e32 v50, 0, v50, vcc_lo
	v_cmp_nlt_f32_e32 vcc_lo, 0x42b17218, v49
	v_cndmask_b32_e32 v49, 0x7f800000, v52, vcc_lo
	v_cndmask_b32_e64 v52, 0x7f800000, v26, s10
	v_cmp_nlt_f32_e64 s10, 0x42b17218, v27
	v_cmp_gt_u32_e32 vcc_lo, s12, v0
	v_ldexp_f32 v44, v1, v51
	v_cndmask_b32_e64 v50, 0x7f800000, v50, s10
	v_cmp_ngt_f32_e64 s10, 0xc2ce8ed0, v57
	v_cndmask_b32_e32 v26, 0, v48, vcc_lo
	v_cndmask_b32_e32 v1, 0, v49, vcc_lo
	;; [unrolled: 1-line block ×4, first 2 shown]
	v_cndmask_b32_e64 v48, 0, v44, s10
	v_cmp_nlt_f32_e64 s10, 0x42b17218, v57
	v_cndmask_b32_e32 v44, 0, v46, vcc_lo
	v_cndmask_b32_e32 v46, 0, v52, vcc_lo
	;; [unrolled: 1-line block ×3, first 2 shown]
	v_cvt_f16_f32_e32 v49, v1
	v_cndmask_b32_e64 v48, 0x7f800000, v48, s10
	v_cvt_f16_f32_e32 v50, v27
	v_cvt_f16_f32_e32 v52, v44
	;; [unrolled: 1-line block ×4, first 2 shown]
	v_cndmask_b32_e32 v48, 0, v48, vcc_lo
	v_cvt_f16_f32_e32 v56, v47
	v_cvt_f16_f32_e32 v58, v26
	s_mul_i32 s10, s50, s45
	v_pack_b32_f16 v51, v51, v55
	v_cvt_f16_f32_e32 v57, v48
	v_pack_b32_f16 v50, v50, v52
	v_pack_b32_f16 v49, v49, v58
	s_lshl_b64 s[10:11], s[10:11], 2
	v_pack_b32_f16 v52, v56, v57
	s_add_u32 s10, s48, s10
	s_addc_u32 s11, s49, s11
	ds_write_b128 v53, v[49:52]
	s_and_saveexec_b32 s12, s9
	s_cbranch_execz .LBB52_94
; %bb.93:
	v_mul_lo_u32 v49, s45, v77
	s_mov_b64 s[14:15], src_private_base
	v_mov_b32_e32 v51, 0
	v_mul_u32_u24_e32 v53, 0x90, v77
	buffer_store_dword v51, off, s[0:3], 0
	buffer_store_dword v51, off, s[0:3], 0 offset:4
	buffer_store_dword v51, off, s[0:3], 0 offset:8
	;; [unrolled: 1-line block ×3, first 2 shown]
	v_ashrrev_i32_e32 v50, 31, v49
	v_lshlrev_b64 v[49:50], 2, v[49:50]
	v_add_co_u32 v49, vcc_lo, s10, v49
	v_add_co_ci_u32_e64 v50, null, s11, v50, vcc_lo
	v_add_co_u32 v49, vcc_lo, 0x80, v49
	v_add_co_ci_u32_e64 v50, null, 0, v50, vcc_lo
	v_cndmask_b32_e64 v49, 0, v49, s8
	v_cndmask_b32_e64 v50, s15, v50, s8
	flat_load_dwordx4 v[49:52], v[49:50]
	s_waitcnt vmcnt(0) lgkmcnt(0)
	ds_write_b128 v53, v[49:52] offset:9344
.LBB52_94:
	s_or_b32 exec_lo, exec_lo, s12
	v_mul_lo_u32 v49, s45, v24
	s_mov_b64 s[8:9], src_private_base
	v_mov_b32_e32 v51, 0
	v_sub_f32_e32 v53, v2, v10
	v_sub_f32_e32 v55, v3, v11
	buffer_store_dword v51, off, s[0:3], 0
	buffer_store_dword v51, off, s[0:3], 0 offset:4
	buffer_store_dword v51, off, s[0:3], 0 offset:8
	;; [unrolled: 1-line block ×3, first 2 shown]
	v_ashrrev_i32_e32 v50, 31, v49
	v_mul_f32_e32 v56, 0x3fb8aa3b, v53
	v_sub_f32_e32 v4, v4, v12
	v_mul_f32_e32 v57, 0x3fb8aa3b, v55
	v_sub_f32_e32 v5, v5, v13
	v_lshlrev_b64 v[49:50], 2, v[49:50]
	v_fma_f32 v77, 0x3fb8aa3b, v53, -v56
	v_rndne_f32_e32 v78, v56
	v_mul_f32_e32 v58, 0x3fb8aa3b, v4
	v_fma_f32 v79, 0x3fb8aa3b, v55, -v57
	v_rndne_f32_e32 v88, v57
	v_add_co_u32 v49, vcc_lo, s10, v49
	v_add_co_ci_u32_e64 v50, null, s11, v50, vcc_lo
	v_fmac_f32_e32 v77, 0x32a5705f, v53
	v_add_co_u32 v49, vcc_lo, v49, v25
	v_add_co_ci_u32_e64 v50, null, 0, v50, vcc_lo
	v_sub_f32_e32 v56, v56, v78
	v_cndmask_b32_e64 v49, 0, v49, s7
	v_sub_f32_e32 v6, v6, v14
	v_cndmask_b32_e64 v50, s9, v50, s7
	v_mul_f32_e32 v59, 0x3fb8aa3b, v5
	v_fma_f32 v89, 0x3fb8aa3b, v4, -v58
	v_rndne_f32_e32 v90, v58
	v_fmac_f32_e32 v79, 0x32a5705f, v55
	flat_load_dwordx4 v[49:52], v[49:50]
	v_sub_f32_e32 v57, v57, v88
	v_add_f32_e32 v56, v56, v77
	v_sub_f32_e32 v7, v7, v15
	v_mul_f32_e32 v60, 0x3fb8aa3b, v6
	v_fma_f32 v91, 0x3fb8aa3b, v5, -v59
	v_rndne_f32_e32 v92, v59
	v_fmac_f32_e32 v89, 0x32a5705f, v4
	v_sub_f32_e32 v58, v58, v90
	v_add_f32_e32 v57, v57, v79
	v_exp_f32_e32 v56, v56
	v_sub_f32_e32 v8, v8, v16
	v_mul_f32_e32 v61, 0x3fb8aa3b, v7
	v_fma_f32 v93, 0x3fb8aa3b, v6, -v60
	v_rndne_f32_e32 v94, v60
	v_cvt_i32_f32_e32 v78, v78
	v_fmac_f32_e32 v91, 0x32a5705f, v5
	v_sub_f32_e32 v59, v59, v92
	v_add_f32_e32 v58, v58, v89
	v_exp_f32_e32 v57, v57
	v_sub_f32_e32 v9, v9, v17
	v_mul_f32_e32 v62, 0x3fb8aa3b, v8
	v_fma_f32 v95, 0x3fb8aa3b, v7, -v61
	v_rndne_f32_e32 v96, v61
	v_cvt_i32_f32_e32 v88, v88
	v_fmac_f32_e32 v93, 0x32a5705f, v6
	v_sub_f32_e32 v60, v60, v94
	v_add_f32_e32 v59, v59, v91
	v_exp_f32_e32 v58, v58
	v_ldexp_f32 v56, v56, v78
	v_cmp_ngt_f32_e32 vcc_lo, 0xc2ce8ed0, v53
	v_mul_f32_e32 v76, 0x3fb8aa3b, v9
	v_fma_f32 v97, 0x3fb8aa3b, v8, -v62
	v_rndne_f32_e32 v98, v62
	v_cvt_i32_f32_e32 v90, v90
	v_fmac_f32_e32 v95, 0x32a5705f, v7
	v_sub_f32_e32 v61, v61, v96
	v_add_f32_e32 v60, v60, v93
	v_exp_f32_e32 v59, v59
	v_ldexp_f32 v57, v57, v88
	v_cndmask_b32_e32 v56, 0, v56, vcc_lo
	v_cmp_ngt_f32_e32 vcc_lo, 0xc2ce8ed0, v55
	v_fma_f32 v99, 0x3fb8aa3b, v9, -v76
	v_rndne_f32_e32 v100, v76
	v_cvt_i32_f32_e32 v92, v92
	v_fmac_f32_e32 v97, 0x32a5705f, v8
	v_sub_f32_e32 v62, v62, v98
	v_add_f32_e32 v61, v61, v95
	v_exp_f32_e32 v60, v60
	v_ldexp_f32 v58, v58, v90
	v_cndmask_b32_e32 v57, 0, v57, vcc_lo
	v_cmp_ngt_f32_e32 vcc_lo, 0xc2ce8ed0, v4
	v_cvt_i32_f32_e32 v94, v94
	v_fmac_f32_e32 v99, 0x32a5705f, v9
	v_sub_f32_e32 v76, v76, v100
	v_add_f32_e32 v62, v62, v97
	v_exp_f32_e32 v61, v61
	v_ldexp_f32 v59, v59, v92
	v_cndmask_b32_e32 v58, 0, v58, vcc_lo
	v_cmp_ngt_f32_e32 vcc_lo, 0xc2ce8ed0, v5
	v_cvt_i32_f32_e32 v96, v96
	v_add_f32_e32 v76, v76, v99
	v_exp_f32_e32 v62, v62
	v_ldexp_f32 v60, v60, v94
	v_cndmask_b32_e32 v59, 0, v59, vcc_lo
	v_cmp_ngt_f32_e32 vcc_lo, 0xc2ce8ed0, v6
	v_exp_f32_e32 v76, v76
	v_cvt_i32_f32_e32 v77, v98
	v_ldexp_f32 v61, v61, v96
	v_cvt_i32_f32_e32 v79, v100
	v_cndmask_b32_e32 v60, 0, v60, vcc_lo
	v_cmp_ngt_f32_e32 vcc_lo, 0xc2ce8ed0, v7
	v_ldexp_f32 v62, v62, v77
	v_mov_b32_e32 v2, 0x10001
	v_mad_u32_u24 v24, 0x90, v24, v25
	v_add_nc_u32_e32 v25, 0x2000, v74
	v_cndmask_b32_e32 v61, 0, v61, vcc_lo
	v_cmp_ngt_f32_e32 vcc_lo, 0xc2ce8ed0, v8
	v_ldexp_f32 v76, v76, v79
	v_add_nc_u32_e32 v3, 0x2800, v74
	v_cndmask_b32_e32 v62, 0, v62, vcc_lo
	v_cmp_ngt_f32_e32 vcc_lo, 0xc2ce8ed0, v9
	v_cndmask_b32_e32 v76, 0, v76, vcc_lo
	v_cmp_nlt_f32_e32 vcc_lo, 0x42b17218, v53
	v_cndmask_b32_e32 v53, 0x7f800000, v56, vcc_lo
	v_cmp_nlt_f32_e32 vcc_lo, 0x42b17218, v55
	v_fmac_f32_e32 v1, v87, v53
	v_cndmask_b32_e32 v55, 0x7f800000, v57, vcc_lo
	v_cmp_nlt_f32_e32 vcc_lo, 0x42b17218, v4
	v_cvt_f16_f32_e32 v53, v53
	v_fmac_f32_e32 v26, v86, v55
	v_cndmask_b32_e32 v4, 0x7f800000, v58, vcc_lo
	v_cmp_nlt_f32_e32 vcc_lo, 0x42b17218, v5
	v_cvt_f16_f32_e32 v55, v55
	v_mul_u32_u24_sdwa v53, v53, v2 dst_sel:DWORD dst_unused:UNUSED_PAD src0_sel:WORD_0 src1_sel:DWORD
	v_fmac_f32_e32 v27, v85, v4
	v_cndmask_b32_e32 v5, 0x7f800000, v59, vcc_lo
	v_cmp_nlt_f32_e32 vcc_lo, 0x42b17218, v6
	v_cvt_f16_f32_e32 v4, v4
	v_mul_u32_u24_sdwa v55, v55, v2 dst_sel:DWORD dst_unused:UNUSED_PAD src0_sel:WORD_0 src1_sel:DWORD
	v_pk_mul_f16 v108, v42, v53
	v_fmac_f32_e32 v44, v84, v5
	v_cndmask_b32_e32 v6, 0x7f800000, v60, vcc_lo
	v_cmp_nlt_f32_e32 vcc_lo, 0x42b17218, v7
	v_cvt_f16_f32_e32 v5, v5
	v_mul_u32_u24_sdwa v4, v4, v2 dst_sel:DWORD dst_unused:UNUSED_PAD src0_sel:WORD_0 src1_sel:DWORD
	v_pk_mul_f16 v53, v43, v53
	v_fmac_f32_e32 v45, v83, v6
	v_cndmask_b32_e32 v7, 0x7f800000, v61, vcc_lo
	v_cvt_f16_f32_e32 v6, v6
	v_cmp_nlt_f32_e32 vcc_lo, 0x42b17218, v8
	v_mul_u32_u24_sdwa v5, v5, v2 dst_sel:DWORD dst_unused:UNUSED_PAD src0_sel:WORD_0 src1_sel:DWORD
	v_pk_mul_f16 v111, v38, v4
	v_fmac_f32_e32 v46, v82, v7
	v_cvt_f16_f32_e32 v7, v7
	v_mul_u32_u24_sdwa v6, v6, v2 dst_sel:DWORD dst_unused:UNUSED_PAD src0_sel:WORD_0 src1_sel:DWORD
	v_cndmask_b32_e32 v8, 0x7f800000, v62, vcc_lo
	v_cmp_nlt_f32_e32 vcc_lo, 0x42b17218, v9
	v_pk_mul_f16 v112, v39, v4
	v_mul_u32_u24_sdwa v7, v7, v2 dst_sel:DWORD dst_unused:UNUSED_PAD src0_sel:WORD_0 src1_sel:DWORD
	v_pk_mul_f16 v113, v36, v5
	v_pk_mul_f16 v114, v37, v5
	;; [unrolled: 1-line block ×6, first 2 shown]
	v_cndmask_b32_e32 v9, 0x7f800000, v76, vcc_lo
	v_fmac_f32_e32 v47, v80, v8
	v_cvt_f16_f32_e32 v8, v8
	v_pk_mul_f16 v109, v40, v55
	v_pk_mul_f16 v110, v41, v55
	v_fmac_f32_e32 v48, v81, v9
	v_cvt_f16_f32_e32 v9, v9
	v_mul_u32_u24_sdwa v8, v8, v2 dst_sel:DWORD dst_unused:UNUSED_PAD src0_sel:WORD_0 src1_sel:DWORD
	v_mul_u32_u24_sdwa v9, v9, v2 dst_sel:DWORD dst_unused:UNUSED_PAD src0_sel:WORD_0 src1_sel:DWORD
	v_pk_mul_f16 v119, v29, v9
	v_pk_mul_f16 v9, v28, v9
	s_waitcnt vmcnt(0) lgkmcnt(0)
	ds_write_b128 v24, v[49:52] offset:9216
	s_waitcnt lgkmcnt(0)
	s_waitcnt_vscnt null, 0x0
	s_barrier
	buffer_gl0_inv
	ds_read_b128 v[4:7], v75
	v_pk_mul_f16 v24, v30, v8
	v_pk_mul_f16 v8, v31, v8
	ds_read2_b64 v[28:31], v25 offset0:128 offset1:146
	ds_read_b128 v[32:35], v75 offset:16
	ds_read_b128 v[36:39], v75 offset:32
	;; [unrolled: 1-line block ×3, first 2 shown]
	ds_read2_b64 v[49:52], v25 offset0:164 offset1:182
	ds_read2_b64 v[55:58], v25 offset0:200 offset1:218
	ds_read_b128 v[59:62], v75 offset:64
	ds_read_b128 v[76:79], v75 offset:80
	ds_read2_b64 v[80:83], v25 offset0:236 offset1:254
	ds_read_b128 v[84:87], v75 offset:96
	ds_read_b128 v[88:91], v75 offset:112
	;; [unrolled: 3-line block ×3, first 2 shown]
	ds_read_b128 v[104:107], v75 offset:160
	s_waitcnt lgkmcnt(13)
	v_mul_u32_u24_sdwa v123, v32, v2 dst_sel:DWORD dst_unused:UNUSED_PAD src0_sel:WORD_0 src1_sel:DWORD
	v_mul_u32_u24_sdwa v32, v32, v2 dst_sel:DWORD dst_unused:UNUSED_PAD src0_sel:WORD_1 src1_sel:DWORD
	v_mul_u32_u24_sdwa v124, v33, v2 dst_sel:DWORD dst_unused:UNUSED_PAD src0_sel:WORD_0 src1_sel:DWORD
	v_mul_u32_u24_sdwa v33, v33, v2 dst_sel:DWORD dst_unused:UNUSED_PAD src0_sel:WORD_1 src1_sel:DWORD
	;; [unrolled: 2-line block ×4, first 2 shown]
	s_waitcnt lgkmcnt(12)
	v_mul_u32_u24_sdwa v127, v36, v2 dst_sel:DWORD dst_unused:UNUSED_PAD src0_sel:WORD_0 src1_sel:DWORD
	v_mul_u32_u24_sdwa v36, v36, v2 dst_sel:DWORD dst_unused:UNUSED_PAD src0_sel:WORD_1 src1_sel:DWORD
	v_mul_u32_u24_sdwa v25, v4, v2 dst_sel:DWORD dst_unused:UNUSED_PAD src0_sel:WORD_0 src1_sel:DWORD
	v_mul_u32_u24_sdwa v4, v4, v2 dst_sel:DWORD dst_unused:UNUSED_PAD src0_sel:WORD_1 src1_sel:DWORD
	;; [unrolled: 2-line block ×5, first 2 shown]
	v_pk_fma_f16 v108, v28, v25, v108
	v_pk_fma_f16 v109, v28, v4, v109
	;; [unrolled: 1-line block ×10, first 2 shown]
	v_mul_u32_u24_sdwa v128, v37, v2 dst_sel:DWORD dst_unused:UNUSED_PAD src0_sel:WORD_0 src1_sel:DWORD
	v_mul_u32_u24_sdwa v130, v39, v2 dst_sel:DWORD dst_unused:UNUSED_PAD src0_sel:WORD_0 src1_sel:DWORD
	v_mul_u32_u24_sdwa v39, v39, v2 dst_sel:DWORD dst_unused:UNUSED_PAD src0_sel:WORD_1 src1_sel:DWORD
	v_pk_fma_f16 v4, v29, v4, v110
	v_pk_fma_f16 v5, v29, v5, v114
	v_pk_fma_f16 v110, v29, v121, v116
	v_pk_fma_f16 v6, v29, v6, v118
	v_pk_fma_f16 v8, v29, v122, v8
	v_pk_fma_f16 v7, v29, v7, v9
	v_pk_fma_f16 v9, v30, v123, v108
	v_pk_fma_f16 v29, v30, v32, v109
	v_pk_fma_f16 v108, v30, v124, v111
	v_pk_fma_f16 v109, v30, v33, v113
	v_pk_fma_f16 v111, v30, v125, v115
	v_pk_fma_f16 v112, v30, v34, v117
	v_pk_fma_f16 v24, v30, v126, v24
	v_pk_fma_f16 v28, v30, v35, v28
	v_pk_fma_f16 v30, v31, v124, v53
	v_mul_u32_u24_sdwa v37, v37, v2 dst_sel:DWORD dst_unused:UNUSED_PAD src0_sel:WORD_1 src1_sel:DWORD
	v_mul_u32_u24_sdwa v129, v38, v2 dst_sel:DWORD dst_unused:UNUSED_PAD src0_sel:WORD_0 src1_sel:DWORD
	v_mul_u32_u24_sdwa v38, v38, v2 dst_sel:DWORD dst_unused:UNUSED_PAD src0_sel:WORD_1 src1_sel:DWORD
	s_waitcnt lgkmcnt(11)
	v_mul_u32_u24_sdwa v131, v40, v2 dst_sel:DWORD dst_unused:UNUSED_PAD src0_sel:WORD_0 src1_sel:DWORD
	v_mul_u32_u24_sdwa v40, v40, v2 dst_sel:DWORD dst_unused:UNUSED_PAD src0_sel:WORD_1 src1_sel:DWORD
	v_mul_u32_u24_sdwa v132, v41, v2 dst_sel:DWORD dst_unused:UNUSED_PAD src0_sel:WORD_0 src1_sel:DWORD
	v_mul_u32_u24_sdwa v134, v43, v2 dst_sel:DWORD dst_unused:UNUSED_PAD src0_sel:WORD_0 src1_sel:DWORD
	v_mul_u32_u24_sdwa v43, v43, v2 dst_sel:DWORD dst_unused:UNUSED_PAD src0_sel:WORD_1 src1_sel:DWORD
	v_pk_fma_f16 v25, v31, v123, v25
	v_pk_fma_f16 v4, v31, v32, v4
	;; [unrolled: 1-line block ×7, first 2 shown]
	s_waitcnt lgkmcnt(10)
	v_pk_fma_f16 v29, v49, v36, v29
	v_pk_fma_f16 v31, v49, v128, v108
	v_pk_fma_f16 v28, v49, v39, v28
	v_pk_fma_f16 v30, v50, v128, v30
	v_mul_u32_u24_sdwa v41, v41, v2 dst_sel:DWORD dst_unused:UNUSED_PAD src0_sel:WORD_1 src1_sel:DWORD
	v_mul_u32_u24_sdwa v133, v42, v2 dst_sel:DWORD dst_unused:UNUSED_PAD src0_sel:WORD_0 src1_sel:DWORD
	v_mul_u32_u24_sdwa v42, v42, v2 dst_sel:DWORD dst_unused:UNUSED_PAD src0_sel:WORD_1 src1_sel:DWORD
	s_waitcnt lgkmcnt(8)
	v_mul_u32_u24_sdwa v135, v59, v2 dst_sel:DWORD dst_unused:UNUSED_PAD src0_sel:WORD_0 src1_sel:DWORD
	v_mul_u32_u24_sdwa v59, v59, v2 dst_sel:DWORD dst_unused:UNUSED_PAD src0_sel:WORD_1 src1_sel:DWORD
	v_mul_u32_u24_sdwa v136, v60, v2 dst_sel:DWORD dst_unused:UNUSED_PAD src0_sel:WORD_0 src1_sel:DWORD
	v_mul_u32_u24_sdwa v138, v62, v2 dst_sel:DWORD dst_unused:UNUSED_PAD src0_sel:WORD_0 src1_sel:DWORD
	v_mul_u32_u24_sdwa v62, v62, v2 dst_sel:DWORD dst_unused:UNUSED_PAD src0_sel:WORD_1 src1_sel:DWORD
	v_pk_fma_f16 v4, v50, v36, v4
	v_pk_fma_f16 v5, v50, v37, v5
	v_pk_fma_f16 v6, v50, v38, v6
	v_pk_fma_f16 v7, v50, v39, v7
	v_pk_fma_f16 v29, v51, v40, v29
	v_pk_fma_f16 v31, v51, v132, v31
	v_pk_fma_f16 v28, v51, v43, v28
	v_pk_fma_f16 v30, v52, v132, v30
	v_mul_u32_u24_sdwa v60, v60, v2 dst_sel:DWORD dst_unused:UNUSED_PAD src0_sel:WORD_1 src1_sel:DWORD
	v_mul_u32_u24_sdwa v137, v61, v2 dst_sel:DWORD dst_unused:UNUSED_PAD src0_sel:WORD_0 src1_sel:DWORD
	v_mul_u32_u24_sdwa v61, v61, v2 dst_sel:DWORD dst_unused:UNUSED_PAD src0_sel:WORD_1 src1_sel:DWORD
	s_waitcnt lgkmcnt(7)
	v_mul_u32_u24_sdwa v139, v76, v2 dst_sel:DWORD dst_unused:UNUSED_PAD src0_sel:WORD_0 src1_sel:DWORD
	v_mul_u32_u24_sdwa v76, v76, v2 dst_sel:DWORD dst_unused:UNUSED_PAD src0_sel:WORD_1 src1_sel:DWORD
	v_mul_u32_u24_sdwa v140, v77, v2 dst_sel:DWORD dst_unused:UNUSED_PAD src0_sel:WORD_0 src1_sel:DWORD
	v_mul_u32_u24_sdwa v142, v79, v2 dst_sel:DWORD dst_unused:UNUSED_PAD src0_sel:WORD_0 src1_sel:DWORD
	v_mul_u32_u24_sdwa v79, v79, v2 dst_sel:DWORD dst_unused:UNUSED_PAD src0_sel:WORD_1 src1_sel:DWORD
	v_pk_fma_f16 v4, v52, v40, v4
	v_pk_fma_f16 v5, v52, v41, v5
	v_pk_fma_f16 v6, v52, v42, v6
	v_pk_fma_f16 v7, v52, v43, v7
	;; [unrolled: 17-line block ×3, first 2 shown]
	v_pk_fma_f16 v24, v49, v130, v24
	v_pk_fma_f16 v25, v50, v127, v25
	v_pk_fma_f16 v32, v50, v129, v32
	v_pk_fma_f16 v8, v50, v130, v8
	v_pk_fma_f16 v4, v56, v59, v4
	v_pk_fma_f16 v5, v56, v60, v5
	v_pk_fma_f16 v6, v56, v61, v6
	v_pk_fma_f16 v7, v56, v62, v7
	v_pk_fma_f16 v29, v57, v76, v29
	v_pk_fma_f16 v31, v57, v140, v31
	v_pk_fma_f16 v28, v57, v79, v28
	v_pk_fma_f16 v30, v58, v140, v30
	v_mul_u32_u24_sdwa v85, v85, v2 dst_sel:DWORD dst_unused:UNUSED_PAD src0_sel:WORD_1 src1_sel:DWORD
	v_mul_u32_u24_sdwa v145, v86, v2 dst_sel:DWORD dst_unused:UNUSED_PAD src0_sel:WORD_0 src1_sel:DWORD
	v_mul_u32_u24_sdwa v86, v86, v2 dst_sel:DWORD dst_unused:UNUSED_PAD src0_sel:WORD_1 src1_sel:DWORD
	s_waitcnt lgkmcnt(4)
	v_mul_u32_u24_sdwa v147, v88, v2 dst_sel:DWORD dst_unused:UNUSED_PAD src0_sel:WORD_0 src1_sel:DWORD
	v_mul_u32_u24_sdwa v88, v88, v2 dst_sel:DWORD dst_unused:UNUSED_PAD src0_sel:WORD_1 src1_sel:DWORD
	v_mul_u32_u24_sdwa v148, v89, v2 dst_sel:DWORD dst_unused:UNUSED_PAD src0_sel:WORD_0 src1_sel:DWORD
	v_mul_u32_u24_sdwa v150, v91, v2 dst_sel:DWORD dst_unused:UNUSED_PAD src0_sel:WORD_0 src1_sel:DWORD
	v_mul_u32_u24_sdwa v91, v91, v2 dst_sel:DWORD dst_unused:UNUSED_PAD src0_sel:WORD_1 src1_sel:DWORD
	v_pk_fma_f16 v9, v51, v131, v9
	v_pk_fma_f16 v33, v51, v41, v33
	v_pk_fma_f16 v34, v51, v133, v34
	v_pk_fma_f16 v35, v51, v42, v35
	v_pk_fma_f16 v24, v51, v134, v24
	v_pk_fma_f16 v25, v52, v131, v25
	v_pk_fma_f16 v32, v52, v133, v32
	v_pk_fma_f16 v8, v52, v134, v8
	v_pk_fma_f16 v4, v58, v76, v4
	v_pk_fma_f16 v5, v58, v77, v5
	v_pk_fma_f16 v6, v58, v78, v6
	v_pk_fma_f16 v7, v58, v79, v7
	v_pk_fma_f16 v29, v80, v84, v29
	v_pk_fma_f16 v31, v80, v144, v31
	v_pk_fma_f16 v28, v80, v87, v28
	v_pk_fma_f16 v30, v81, v144, v30
	v_mul_u32_u24_sdwa v89, v89, v2 dst_sel:DWORD dst_unused:UNUSED_PAD src0_sel:WORD_1 src1_sel:DWORD
	v_mul_u32_u24_sdwa v149, v90, v2 dst_sel:DWORD dst_unused:UNUSED_PAD src0_sel:WORD_0 src1_sel:DWORD
	v_mul_u32_u24_sdwa v90, v90, v2 dst_sel:DWORD dst_unused:UNUSED_PAD src0_sel:WORD_1 src1_sel:DWORD
	s_waitcnt lgkmcnt(2)
	v_mul_u32_u24_sdwa v151, v96, v2 dst_sel:DWORD dst_unused:UNUSED_PAD src0_sel:WORD_0 src1_sel:DWORD
	v_mul_u32_u24_sdwa v96, v96, v2 dst_sel:DWORD dst_unused:UNUSED_PAD src0_sel:WORD_1 src1_sel:DWORD
	v_mul_u32_u24_sdwa v152, v97, v2 dst_sel:DWORD dst_unused:UNUSED_PAD src0_sel:WORD_0 src1_sel:DWORD
	v_mul_u32_u24_sdwa v154, v99, v2 dst_sel:DWORD dst_unused:UNUSED_PAD src0_sel:WORD_0 src1_sel:DWORD
	v_mul_u32_u24_sdwa v99, v99, v2 dst_sel:DWORD dst_unused:UNUSED_PAD src0_sel:WORD_1 src1_sel:DWORD
	v_pk_fma_f16 v9, v55, v135, v9
	v_pk_fma_f16 v33, v55, v60, v33
	v_pk_fma_f16 v34, v55, v137, v34
	v_pk_fma_f16 v35, v55, v61, v35
	;; [unrolled: 25-line block ×3, first 2 shown]
	v_pk_fma_f16 v24, v57, v142, v24
	v_pk_fma_f16 v25, v58, v139, v25
	;; [unrolled: 1-line block ×26, first 2 shown]
	ds_read2_b64 v[4:7], v3 offset0:52 offset1:70
	v_pk_fma_f16 v42, v94, v103, v28
	v_pk_fma_f16 v43, v95, v156, v30
	ds_read_b128 v[28:31], v75 offset:176
	v_pk_fma_f16 v9, v82, v147, v9
	v_pk_fma_f16 v33, v82, v89, v33
	;; [unrolled: 1-line block ×8, first 2 shown]
	v_mul_u32_u24_sdwa v101, v101, v2 dst_sel:DWORD dst_unused:UNUSED_PAD src0_sel:WORD_1 src1_sel:DWORD
	v_mul_u32_u24_sdwa v157, v102, v2 dst_sel:DWORD dst_unused:UNUSED_PAD src0_sel:WORD_0 src1_sel:DWORD
	v_mul_u32_u24_sdwa v102, v102, v2 dst_sel:DWORD dst_unused:UNUSED_PAD src0_sel:WORD_1 src1_sel:DWORD
	v_pk_fma_f16 v9, v92, v151, v9
	v_pk_fma_f16 v33, v92, v97, v33
	;; [unrolled: 1-line block ×20, first 2 shown]
	s_waitcnt lgkmcnt(2)
	v_mul_u32_u24_sdwa v49, v104, v2 dst_sel:DWORD dst_unused:UNUSED_PAD src0_sel:WORD_0 src1_sel:DWORD
	v_mul_u32_u24_sdwa v50, v104, v2 dst_sel:DWORD dst_unused:UNUSED_PAD src0_sel:WORD_1 src1_sel:DWORD
	v_mul_u32_u24_sdwa v51, v105, v2 dst_sel:DWORD dst_unused:UNUSED_PAD src0_sel:WORD_0 src1_sel:DWORD
	v_mul_u32_u24_sdwa v52, v105, v2 dst_sel:DWORD dst_unused:UNUSED_PAD src0_sel:WORD_1 src1_sel:DWORD
	v_mul_u32_u24_sdwa v53, v106, v2 dst_sel:DWORD dst_unused:UNUSED_PAD src0_sel:WORD_0 src1_sel:DWORD
	v_mul_u32_u24_sdwa v55, v106, v2 dst_sel:DWORD dst_unused:UNUSED_PAD src0_sel:WORD_1 src1_sel:DWORD
	v_mul_u32_u24_sdwa v56, v107, v2 dst_sel:DWORD dst_unused:UNUSED_PAD src0_sel:WORD_0 src1_sel:DWORD
	v_mul_u32_u24_sdwa v57, v107, v2 dst_sel:DWORD dst_unused:UNUSED_PAD src0_sel:WORD_1 src1_sel:DWORD
	s_waitcnt lgkmcnt(1)
	v_pk_fma_f16 v9, v4, v49, v9
	v_pk_fma_f16 v40, v4, v50, v40
	v_pk_fma_f16 v41, v4, v51, v41
	v_pk_fma_f16 v58, v4, v52, v33
	v_pk_fma_f16 v59, v4, v53, v34
	v_pk_fma_f16 v60, v4, v55, v35
	v_pk_fma_f16 v24, v4, v56, v24
	v_pk_fma_f16 v4, v4, v57, v42
	v_pk_fma_f16 v25, v5, v49, v25
	v_pk_fma_f16 v36, v5, v50, v36
	v_pk_fma_f16 v42, v5, v51, v43
	v_pk_fma_f16 v37, v5, v52, v37
	v_pk_fma_f16 v43, v5, v53, v32
	v_pk_fma_f16 v38, v5, v55, v38
	v_pk_fma_f16 v8, v5, v56, v8
	v_pk_fma_f16 v5, v5, v57, v39
	ds_read_b128 v[32:35], v75 offset:192
	s_waitcnt lgkmcnt(1)
	v_mul_u32_u24_sdwa v39, v28, v2 dst_sel:DWORD dst_unused:UNUSED_PAD src0_sel:WORD_0 src1_sel:DWORD
	v_mul_u32_u24_sdwa v49, v28, v2 dst_sel:DWORD dst_unused:UNUSED_PAD src0_sel:WORD_1 src1_sel:DWORD
	v_mul_u32_u24_sdwa v50, v29, v2 dst_sel:DWORD dst_unused:UNUSED_PAD src0_sel:WORD_0 src1_sel:DWORD
	v_mul_u32_u24_sdwa v51, v29, v2 dst_sel:DWORD dst_unused:UNUSED_PAD src0_sel:WORD_1 src1_sel:DWORD
	v_mul_u32_u24_sdwa v52, v30, v2 dst_sel:DWORD dst_unused:UNUSED_PAD src0_sel:WORD_0 src1_sel:DWORD
	v_mul_u32_u24_sdwa v53, v30, v2 dst_sel:DWORD dst_unused:UNUSED_PAD src0_sel:WORD_1 src1_sel:DWORD
	v_mul_u32_u24_sdwa v55, v31, v2 dst_sel:DWORD dst_unused:UNUSED_PAD src0_sel:WORD_0 src1_sel:DWORD
	v_mul_u32_u24_sdwa v56, v31, v2 dst_sel:DWORD dst_unused:UNUSED_PAD src0_sel:WORD_1 src1_sel:DWORD
	v_pk_fma_f16 v9, v6, v39, v9
	v_pk_fma_f16 v40, v6, v49, v40
	v_pk_fma_f16 v41, v6, v50, v41
	v_pk_fma_f16 v57, v6, v51, v58
	v_pk_fma_f16 v58, v6, v52, v59
	v_pk_fma_f16 v59, v6, v53, v60
	ds_read2_b64 v[28:31], v3 offset0:88 offset1:106
	v_pk_fma_f16 v24, v6, v55, v24
	v_pk_fma_f16 v60, v6, v56, v4
	v_pk_fma_f16 v25, v7, v39, v25
	v_pk_fma_f16 v36, v7, v49, v36
	v_pk_fma_f16 v39, v7, v50, v42
	v_pk_fma_f16 v37, v7, v51, v37
	v_pk_fma_f16 v42, v7, v52, v43
	v_pk_fma_f16 v38, v7, v53, v38
	v_pk_fma_f16 v8, v7, v55, v8
	v_pk_fma_f16 v43, v7, v56, v5
	ds_read_b128 v[4:7], v75 offset:208
	s_waitcnt lgkmcnt(2)
	v_mul_u32_u24_sdwa v49, v32, v2 dst_sel:DWORD dst_unused:UNUSED_PAD src0_sel:WORD_0 src1_sel:DWORD
	v_mul_u32_u24_sdwa v32, v32, v2 dst_sel:DWORD dst_unused:UNUSED_PAD src0_sel:WORD_1 src1_sel:DWORD
	v_mul_u32_u24_sdwa v50, v33, v2 dst_sel:DWORD dst_unused:UNUSED_PAD src0_sel:WORD_0 src1_sel:DWORD
	v_mul_u32_u24_sdwa v33, v33, v2 dst_sel:DWORD dst_unused:UNUSED_PAD src0_sel:WORD_1 src1_sel:DWORD
	v_mul_u32_u24_sdwa v51, v34, v2 dst_sel:DWORD dst_unused:UNUSED_PAD src0_sel:WORD_0 src1_sel:DWORD
	v_mul_u32_u24_sdwa v34, v34, v2 dst_sel:DWORD dst_unused:UNUSED_PAD src0_sel:WORD_1 src1_sel:DWORD
	v_mul_u32_u24_sdwa v52, v35, v2 dst_sel:DWORD dst_unused:UNUSED_PAD src0_sel:WORD_0 src1_sel:DWORD
	v_mul_u32_u24_sdwa v35, v35, v2 dst_sel:DWORD dst_unused:UNUSED_PAD src0_sel:WORD_1 src1_sel:DWORD
	s_waitcnt lgkmcnt(1)
	v_pk_fma_f16 v9, v28, v49, v9
	v_pk_fma_f16 v40, v28, v32, v40
	v_pk_fma_f16 v41, v28, v50, v41
	v_pk_fma_f16 v53, v28, v33, v57
	v_pk_fma_f16 v55, v28, v51, v58
	v_pk_fma_f16 v56, v28, v34, v59
	v_pk_fma_f16 v24, v28, v52, v24
	v_pk_fma_f16 v28, v28, v35, v60
	v_pk_fma_f16 v25, v29, v49, v25
	v_pk_fma_f16 v36, v29, v32, v36
	v_pk_fma_f16 v39, v29, v50, v39
	v_pk_fma_f16 v37, v29, v33, v37
	v_pk_fma_f16 v42, v29, v51, v42
	v_pk_fma_f16 v38, v29, v34, v38
	v_pk_fma_f16 v8, v29, v52, v8
	v_pk_fma_f16 v29, v29, v35, v43
	ds_read_b128 v[32:35], v75 offset:224
	s_waitcnt lgkmcnt(1)
	v_mul_u32_u24_sdwa v43, v4, v2 dst_sel:DWORD dst_unused:UNUSED_PAD src0_sel:WORD_0 src1_sel:DWORD
	v_mul_u32_u24_sdwa v49, v4, v2 dst_sel:DWORD dst_unused:UNUSED_PAD src0_sel:WORD_1 src1_sel:DWORD
	v_mul_u32_u24_sdwa v50, v5, v2 dst_sel:DWORD dst_unused:UNUSED_PAD src0_sel:WORD_0 src1_sel:DWORD
	v_mul_u32_u24_sdwa v51, v5, v2 dst_sel:DWORD dst_unused:UNUSED_PAD src0_sel:WORD_1 src1_sel:DWORD
	v_mul_u32_u24_sdwa v52, v6, v2 dst_sel:DWORD dst_unused:UNUSED_PAD src0_sel:WORD_0 src1_sel:DWORD
	v_mul_u32_u24_sdwa v57, v6, v2 dst_sel:DWORD dst_unused:UNUSED_PAD src0_sel:WORD_1 src1_sel:DWORD
	v_mul_u32_u24_sdwa v58, v7, v2 dst_sel:DWORD dst_unused:UNUSED_PAD src0_sel:WORD_0 src1_sel:DWORD
	v_mul_u32_u24_sdwa v59, v7, v2 dst_sel:DWORD dst_unused:UNUSED_PAD src0_sel:WORD_1 src1_sel:DWORD
	v_pk_fma_f16 v9, v30, v43, v9
	v_pk_fma_f16 v40, v30, v49, v40
	v_pk_fma_f16 v41, v30, v50, v41
	v_pk_fma_f16 v53, v30, v51, v53
	v_pk_fma_f16 v55, v30, v52, v55
	v_pk_fma_f16 v56, v30, v57, v56
	ds_read2_b64 v[4:7], v3 offset0:124 offset1:142
	v_pk_fma_f16 v24, v30, v58, v24
	v_pk_fma_f16 v60, v30, v59, v28
	v_pk_fma_f16 v25, v31, v43, v25
	v_pk_fma_f16 v36, v31, v49, v36
	v_pk_fma_f16 v39, v31, v50, v39
	v_pk_fma_f16 v37, v31, v51, v37
	v_pk_fma_f16 v42, v31, v52, v42
	v_pk_fma_f16 v38, v31, v57, v38
	v_pk_fma_f16 v8, v31, v58, v8
	v_pk_fma_f16 v43, v31, v59, v29
	ds_read_b128 v[28:31], v75 offset:240
	;; [unrolled: 54-line block ×5, first 2 shown]
	s_waitcnt lgkmcnt(2)
	v_mul_u32_u24_sdwa v43, v32, v2 dst_sel:DWORD dst_unused:UNUSED_PAD src0_sel:WORD_0 src1_sel:DWORD
	v_mul_u32_u24_sdwa v32, v32, v2 dst_sel:DWORD dst_unused:UNUSED_PAD src0_sel:WORD_1 src1_sel:DWORD
	v_mul_u32_u24_sdwa v49, v33, v2 dst_sel:DWORD dst_unused:UNUSED_PAD src0_sel:WORD_0 src1_sel:DWORD
	v_mul_u32_u24_sdwa v33, v33, v2 dst_sel:DWORD dst_unused:UNUSED_PAD src0_sel:WORD_1 src1_sel:DWORD
	;; [unrolled: 2-line block ×4, first 2 shown]
	s_waitcnt lgkmcnt(1)
	v_pk_fma_f16 v9, v28, v43, v9
	v_pk_fma_f16 v40, v28, v32, v40
	;; [unrolled: 1-line block ×16, first 2 shown]
	s_waitcnt lgkmcnt(0)
	v_mul_u32_u24_sdwa v29, v3, v2 dst_sel:DWORD dst_unused:UNUSED_PAD src0_sel:WORD_0 src1_sel:DWORD
	v_mul_u32_u24_sdwa v43, v3, v2 dst_sel:DWORD dst_unused:UNUSED_PAD src0_sel:WORD_1 src1_sel:DWORD
	v_mul_u32_u24_sdwa v49, v4, v2 dst_sel:DWORD dst_unused:UNUSED_PAD src0_sel:WORD_0 src1_sel:DWORD
	v_mul_u32_u24_sdwa v50, v4, v2 dst_sel:DWORD dst_unused:UNUSED_PAD src0_sel:WORD_1 src1_sel:DWORD
	;; [unrolled: 2-line block ×4, first 2 shown]
	ds_read_b128 v[3:6], v75 offset:352
	v_add_nc_u32_e32 v59, 0x3000, v74
	v_pk_fma_f16 v9, v30, v29, v9
	v_pk_fma_f16 v40, v30, v43, v40
	v_pk_fma_f16 v41, v30, v49, v41
	v_pk_fma_f16 v52, v30, v50, v52
	v_pk_fma_f16 v53, v30, v51, v53
	v_pk_fma_f16 v55, v30, v56, v55
	ds_read2_b64 v[32:35], v59 offset0:12 offset1:30
	v_pk_fma_f16 v24, v30, v57, v24
	v_pk_fma_f16 v60, v30, v58, v28
	v_pk_fma_f16 v25, v31, v29, v25
	v_pk_fma_f16 v36, v31, v43, v36
	v_pk_fma_f16 v39, v31, v49, v39
	v_pk_fma_f16 v37, v31, v50, v37
	v_pk_fma_f16 v42, v31, v51, v42
	v_pk_fma_f16 v38, v31, v56, v38
	v_pk_fma_f16 v8, v31, v57, v8
	v_pk_fma_f16 v7, v31, v58, v7
	ds_read_b128 v[28:31], v75 offset:368
	s_waitcnt lgkmcnt(2)
	v_mul_u32_u24_sdwa v43, v3, v2 dst_sel:DWORD dst_unused:UNUSED_PAD src0_sel:WORD_0 src1_sel:DWORD
	v_mul_u32_u24_sdwa v3, v3, v2 dst_sel:DWORD dst_unused:UNUSED_PAD src0_sel:WORD_1 src1_sel:DWORD
	v_mul_u32_u24_sdwa v49, v4, v2 dst_sel:DWORD dst_unused:UNUSED_PAD src0_sel:WORD_0 src1_sel:DWORD
	v_mul_u32_u24_sdwa v4, v4, v2 dst_sel:DWORD dst_unused:UNUSED_PAD src0_sel:WORD_1 src1_sel:DWORD
	v_mul_u32_u24_sdwa v50, v5, v2 dst_sel:DWORD dst_unused:UNUSED_PAD src0_sel:WORD_0 src1_sel:DWORD
	v_mul_u32_u24_sdwa v5, v5, v2 dst_sel:DWORD dst_unused:UNUSED_PAD src0_sel:WORD_1 src1_sel:DWORD
	v_mul_u32_u24_sdwa v51, v6, v2 dst_sel:DWORD dst_unused:UNUSED_PAD src0_sel:WORD_0 src1_sel:DWORD
	v_mul_u32_u24_sdwa v6, v6, v2 dst_sel:DWORD dst_unused:UNUSED_PAD src0_sel:WORD_1 src1_sel:DWORD
	s_waitcnt lgkmcnt(1)
	v_pk_fma_f16 v9, v32, v43, v9
	v_pk_fma_f16 v40, v32, v3, v40
	v_pk_fma_f16 v41, v32, v49, v41
	v_pk_fma_f16 v52, v32, v4, v52
	v_pk_fma_f16 v53, v32, v50, v53
	v_pk_fma_f16 v55, v32, v5, v55
	v_pk_fma_f16 v24, v32, v51, v24
	v_pk_fma_f16 v32, v32, v6, v60
	v_pk_fma_f16 v25, v33, v43, v25
	v_pk_fma_f16 v36, v33, v3, v36
	v_pk_fma_f16 v39, v33, v49, v39
	v_pk_fma_f16 v37, v33, v4, v37
	v_pk_fma_f16 v42, v33, v50, v42
	v_pk_fma_f16 v38, v33, v5, v38
	v_pk_fma_f16 v8, v33, v51, v8
	v_pk_fma_f16 v7, v33, v6, v7
	s_waitcnt lgkmcnt(0)
	v_mul_u32_u24_sdwa v33, v28, v2 dst_sel:DWORD dst_unused:UNUSED_PAD src0_sel:WORD_0 src1_sel:DWORD
	v_mul_u32_u24_sdwa v43, v28, v2 dst_sel:DWORD dst_unused:UNUSED_PAD src0_sel:WORD_1 src1_sel:DWORD
	v_mul_u32_u24_sdwa v49, v29, v2 dst_sel:DWORD dst_unused:UNUSED_PAD src0_sel:WORD_0 src1_sel:DWORD
	v_mul_u32_u24_sdwa v50, v29, v2 dst_sel:DWORD dst_unused:UNUSED_PAD src0_sel:WORD_1 src1_sel:DWORD
	v_mul_u32_u24_sdwa v51, v30, v2 dst_sel:DWORD dst_unused:UNUSED_PAD src0_sel:WORD_0 src1_sel:DWORD
	v_mul_u32_u24_sdwa v56, v30, v2 dst_sel:DWORD dst_unused:UNUSED_PAD src0_sel:WORD_1 src1_sel:DWORD
	v_mul_u32_u24_sdwa v57, v31, v2 dst_sel:DWORD dst_unused:UNUSED_PAD src0_sel:WORD_0 src1_sel:DWORD
	ds_read_b128 v[3:6], v75 offset:384
	v_mul_u32_u24_sdwa v58, v31, v2 dst_sel:DWORD dst_unused:UNUSED_PAD src0_sel:WORD_1 src1_sel:DWORD
	v_pk_fma_f16 v9, v34, v33, v9
	v_pk_fma_f16 v40, v34, v43, v40
	v_pk_fma_f16 v41, v34, v49, v41
	v_pk_fma_f16 v52, v34, v50, v52
	v_pk_fma_f16 v53, v34, v51, v53
	v_pk_fma_f16 v55, v34, v56, v55
	ds_read2_b64 v[28:31], v59 offset0:48 offset1:66
	v_pk_fma_f16 v24, v34, v57, v24
	v_pk_fma_f16 v60, v34, v58, v32
	v_pk_fma_f16 v25, v35, v33, v25
	v_pk_fma_f16 v36, v35, v43, v36
	v_pk_fma_f16 v39, v35, v49, v39
	v_pk_fma_f16 v37, v35, v50, v37
	v_pk_fma_f16 v42, v35, v51, v42
	v_pk_fma_f16 v38, v35, v56, v38
	v_pk_fma_f16 v8, v35, v57, v8
	v_pk_fma_f16 v7, v35, v58, v7
	ds_read_b128 v[32:35], v75 offset:400
	s_waitcnt lgkmcnt(2)
	v_mul_u32_u24_sdwa v43, v3, v2 dst_sel:DWORD dst_unused:UNUSED_PAD src0_sel:WORD_0 src1_sel:DWORD
	v_mul_u32_u24_sdwa v3, v3, v2 dst_sel:DWORD dst_unused:UNUSED_PAD src0_sel:WORD_1 src1_sel:DWORD
	v_mul_u32_u24_sdwa v49, v4, v2 dst_sel:DWORD dst_unused:UNUSED_PAD src0_sel:WORD_0 src1_sel:DWORD
	v_mul_u32_u24_sdwa v4, v4, v2 dst_sel:DWORD dst_unused:UNUSED_PAD src0_sel:WORD_1 src1_sel:DWORD
	v_mul_u32_u24_sdwa v50, v5, v2 dst_sel:DWORD dst_unused:UNUSED_PAD src0_sel:WORD_0 src1_sel:DWORD
	v_mul_u32_u24_sdwa v5, v5, v2 dst_sel:DWORD dst_unused:UNUSED_PAD src0_sel:WORD_1 src1_sel:DWORD
	v_mul_u32_u24_sdwa v51, v6, v2 dst_sel:DWORD dst_unused:UNUSED_PAD src0_sel:WORD_0 src1_sel:DWORD
	v_mul_u32_u24_sdwa v6, v6, v2 dst_sel:DWORD dst_unused:UNUSED_PAD src0_sel:WORD_1 src1_sel:DWORD
	s_waitcnt lgkmcnt(1)
	v_pk_fma_f16 v9, v28, v43, v9
	v_pk_fma_f16 v40, v28, v3, v40
	v_pk_fma_f16 v41, v28, v49, v41
	v_pk_fma_f16 v52, v28, v4, v52
	v_pk_fma_f16 v53, v28, v50, v53
	v_pk_fma_f16 v55, v28, v5, v55
	v_pk_fma_f16 v24, v28, v51, v24
	v_pk_fma_f16 v28, v28, v6, v60
	v_pk_fma_f16 v25, v29, v43, v25
	v_pk_fma_f16 v36, v29, v3, v36
	v_pk_fma_f16 v39, v29, v49, v39
	v_pk_fma_f16 v37, v29, v4, v37
	v_pk_fma_f16 v42, v29, v50, v42
	v_pk_fma_f16 v38, v29, v5, v38
	v_pk_fma_f16 v8, v29, v51, v8
	v_pk_fma_f16 v7, v29, v6, v7
	s_waitcnt lgkmcnt(0)
	v_mul_u32_u24_sdwa v29, v32, v2 dst_sel:DWORD dst_unused:UNUSED_PAD src0_sel:WORD_0 src1_sel:DWORD
	v_mul_u32_u24_sdwa v43, v32, v2 dst_sel:DWORD dst_unused:UNUSED_PAD src0_sel:WORD_1 src1_sel:DWORD
	v_mul_u32_u24_sdwa v49, v33, v2 dst_sel:DWORD dst_unused:UNUSED_PAD src0_sel:WORD_0 src1_sel:DWORD
	v_mul_u32_u24_sdwa v50, v33, v2 dst_sel:DWORD dst_unused:UNUSED_PAD src0_sel:WORD_1 src1_sel:DWORD
	v_mul_u32_u24_sdwa v51, v34, v2 dst_sel:DWORD dst_unused:UNUSED_PAD src0_sel:WORD_0 src1_sel:DWORD
	v_mul_u32_u24_sdwa v56, v34, v2 dst_sel:DWORD dst_unused:UNUSED_PAD src0_sel:WORD_1 src1_sel:DWORD
	v_mul_u32_u24_sdwa v57, v35, v2 dst_sel:DWORD dst_unused:UNUSED_PAD src0_sel:WORD_0 src1_sel:DWORD
	ds_read_b128 v[3:6], v75 offset:416
	v_mul_u32_u24_sdwa v58, v35, v2 dst_sel:DWORD dst_unused:UNUSED_PAD src0_sel:WORD_1 src1_sel:DWORD
	;; [unrolled: 54-line block ×4, first 2 shown]
	v_pk_fma_f16 v9, v30, v29, v9
	v_pk_fma_f16 v40, v30, v32, v40
	;; [unrolled: 1-line block ×6, first 2 shown]
	ds_read2_b64 v[49:52], v59 offset0:156 offset1:174
	v_pk_fma_f16 v24, v30, v57, v24
	v_pk_fma_f16 v59, v30, v35, v28
	;; [unrolled: 1-line block ×10, first 2 shown]
	ds_read_b128 v[28:31], v75 offset:496
	s_waitcnt lgkmcnt(2)
	v_mul_u32_u24_sdwa v35, v3, v2 dst_sel:DWORD dst_unused:UNUSED_PAD src0_sel:WORD_0 src1_sel:DWORD
	v_mul_u32_u24_sdwa v3, v3, v2 dst_sel:DWORD dst_unused:UNUSED_PAD src0_sel:WORD_1 src1_sel:DWORD
	v_mul_u32_u24_sdwa v38, v4, v2 dst_sel:DWORD dst_unused:UNUSED_PAD src0_sel:WORD_0 src1_sel:DWORD
	v_mul_u32_u24_sdwa v4, v4, v2 dst_sel:DWORD dst_unused:UNUSED_PAD src0_sel:WORD_1 src1_sel:DWORD
	;; [unrolled: 2-line block ×4, first 2 shown]
	s_waitcnt lgkmcnt(1)
	v_pk_fma_f16 v9, v49, v35, v9
	v_pk_fma_f16 v40, v49, v3, v40
	;; [unrolled: 1-line block ×16, first 2 shown]
	s_waitcnt lgkmcnt(0)
	v_mul_u32_u24_sdwa v7, v28, v2 dst_sel:DWORD dst_unused:UNUSED_PAD src0_sel:WORD_0 src1_sel:DWORD
	v_mul_u32_u24_sdwa v28, v28, v2 dst_sel:DWORD dst_unused:UNUSED_PAD src0_sel:WORD_1 src1_sel:DWORD
	v_mul_u32_u24_sdwa v37, v29, v2 dst_sel:DWORD dst_unused:UNUSED_PAD src0_sel:WORD_0 src1_sel:DWORD
	v_mul_u32_u24_sdwa v50, v29, v2 dst_sel:DWORD dst_unused:UNUSED_PAD src0_sel:WORD_1 src1_sel:DWORD
	;; [unrolled: 2-line block ×4, first 2 shown]
	v_pk_fma_f16 v42, v51, v7, v9
	v_pk_fma_f16 v40, v51, v28, v40
	;; [unrolled: 1-line block ×13, first 2 shown]
	v_mov_b32_e32 v2, v10
	v_pk_fma_f16 v34, v51, v56, v53
	v_pk_fma_f16 v32, v51, v57, v55
	;; [unrolled: 1-line block ×3, first 2 shown]
	v_mov_b32_e32 v81, v48
	v_mov_b32_e32 v80, v47
	;; [unrolled: 1-line block ×15, first 2 shown]
	s_barrier
	buffer_gl0_inv
.LBB52_95:
	v_cmp_lt_i32_e32 vcc_lo, v23, v18
	s_cmp_eq_u64 s[24:25], 0
	s_cselect_b32 s7, -1, 0
	s_cmp_lg_u32 s34, 0
	v_cndmask_b32_e32 v1, v73, v23, vcc_lo
	v_cmp_lt_i32_e32 vcc_lo, v22, v18
	s_cselect_b32 s8, -1, 0
	s_or_b32 s7, s8, s7
	v_lshlrev_b32_e32 v1, 2, v1
	v_cndmask_b32_e32 v17, v73, v22, vcc_lo
	v_cmp_lt_i32_e32 vcc_lo, v21, v18
	ds_bpermute_b32 v10, v1, v87
	ds_bpermute_b32 v11, v1, v86
	;; [unrolled: 1-line block ×8, first 2 shown]
	v_lshlrev_b32_e32 v17, 2, v17
	v_cndmask_b32_e32 v21, v73, v21, vcc_lo
	v_cmp_lt_i32_e32 vcc_lo, v20, v18
	v_lshlrev_b32_e32 v21, 2, v21
	v_cndmask_b32_e32 v20, v73, v20, vcc_lo
	v_cmp_lt_i32_e32 vcc_lo, v19, v18
	v_lshlrev_b32_e32 v20, 2, v20
	s_waitcnt lgkmcnt(7)
	v_add_f32_e32 v10, v87, v10
	s_waitcnt lgkmcnt(6)
	v_add_f32_e32 v11, v86, v11
	s_waitcnt lgkmcnt(5)
	v_add_f32_e32 v12, v85, v12
	s_waitcnt lgkmcnt(4)
	v_add_f32_e32 v13, v84, v13
	s_waitcnt lgkmcnt(3)
	v_add_f32_e32 v14, v83, v14
	s_waitcnt lgkmcnt(2)
	v_add_f32_e32 v15, v82, v15
	s_waitcnt lgkmcnt(1)
	v_add_f32_e32 v16, v80, v16
	s_waitcnt lgkmcnt(0)
	v_add_f32_e32 v1, v81, v1
	ds_bpermute_b32 v22, v17, v10
	ds_bpermute_b32 v23, v17, v11
	;; [unrolled: 1-line block ×8, first 2 shown]
	v_cndmask_b32_e32 v18, v73, v19, vcc_lo
	s_and_b32 vcc_lo, exec_lo, s7
	v_lshlrev_b32_e32 v18, 2, v18
	s_waitcnt lgkmcnt(7)
	v_add_f32_e32 v10, v10, v22
	s_waitcnt lgkmcnt(6)
	v_add_f32_e32 v11, v11, v23
	s_waitcnt lgkmcnt(5)
	v_add_f32_e32 v12, v12, v24
	s_waitcnt lgkmcnt(4)
	v_add_f32_e32 v13, v13, v25
	s_waitcnt lgkmcnt(3)
	v_add_f32_e32 v14, v14, v26
	s_waitcnt lgkmcnt(2)
	v_add_f32_e32 v15, v15, v27
	s_waitcnt lgkmcnt(1)
	v_add_f32_e32 v16, v16, v44
	s_waitcnt lgkmcnt(0)
	v_add_f32_e32 v1, v1, v17
	ds_bpermute_b32 v17, v21, v10
	ds_bpermute_b32 v22, v21, v11
	ds_bpermute_b32 v23, v21, v12
	ds_bpermute_b32 v24, v21, v13
	ds_bpermute_b32 v25, v21, v14
	ds_bpermute_b32 v26, v21, v15
	ds_bpermute_b32 v27, v21, v16
	ds_bpermute_b32 v21, v21, v1
	s_waitcnt lgkmcnt(7)
	v_add_f32_e32 v10, v10, v17
	s_waitcnt lgkmcnt(6)
	v_add_f32_e32 v11, v11, v22
	s_waitcnt lgkmcnt(5)
	v_add_f32_e32 v12, v12, v23
	s_waitcnt lgkmcnt(4)
	v_add_f32_e32 v13, v13, v24
	s_waitcnt lgkmcnt(3)
	v_add_f32_e32 v14, v14, v25
	s_waitcnt lgkmcnt(2)
	v_add_f32_e32 v15, v15, v26
	s_waitcnt lgkmcnt(1)
	v_add_f32_e32 v16, v16, v27
	s_waitcnt lgkmcnt(0)
	v_add_f32_e32 v1, v1, v21
	ds_bpermute_b32 v17, v20, v10
	ds_bpermute_b32 v21, v20, v11
	ds_bpermute_b32 v22, v20, v12
	ds_bpermute_b32 v23, v20, v13
	ds_bpermute_b32 v24, v20, v14
	ds_bpermute_b32 v25, v20, v15
	ds_bpermute_b32 v26, v20, v16
	ds_bpermute_b32 v20, v20, v1
	;; [unrolled: 24-line block ×3, first 2 shown]
	s_waitcnt lgkmcnt(7)
	v_add_f32_e32 v10, v10, v17
	s_waitcnt lgkmcnt(6)
	v_add_f32_e32 v11, v11, v19
	;; [unrolled: 2-line block ×8, first 2 shown]
	s_cbranch_vccnz .LBB52_98
; %bb.96:
	s_lshl_b64 s[8:9], s[40:41], 2
	v_mov_b32_e32 v1, 0
	s_add_u32 s8, s24, s8
	s_addc_u32 s9, s25, s9
	v_max_f32_e32 v18, v2, v2
	v_max_f32_e32 v19, v3, v3
	global_load_dword v1, v1, s[8:9]
	v_max_f32_e32 v25, v8, v8
	v_max_f32_e32 v27, v9, v9
	;; [unrolled: 1-line block ×6, first 2 shown]
	v_mov_b32_e32 v26, 0x10001
	s_waitcnt vmcnt(0)
	v_max_f32_e32 v22, v1, v1
	v_max_f32_e32 v44, v18, v22
	;; [unrolled: 1-line block ×6, first 2 shown]
	v_sub_f32_e32 v2, v2, v44
	v_sub_f32_e32 v18, v1, v44
	;; [unrolled: 1-line block ×5, first 2 shown]
	v_mul_f32_e32 v25, 0x3fb8aa3b, v2
	v_mul_f32_e32 v27, 0x3fb8aa3b, v18
	;; [unrolled: 1-line block ×4, first 2 shown]
	v_max_f32_e32 v47, v21, v22
	v_fma_f32 v77, 0x3fb8aa3b, v2, -v25
	v_rndne_f32_e32 v78, v25
	v_fma_f32 v79, 0x3fb8aa3b, v18, -v27
	v_rndne_f32_e32 v80, v27
	v_fma_f32 v81, 0x3fb8aa3b, v3, -v52
	v_fmac_f32_e32 v77, 0x32a5705f, v2
	v_sub_f32_e32 v25, v25, v78
	v_rndne_f32_e32 v82, v52
	v_fmac_f32_e32 v79, 0x32a5705f, v18
	v_sub_f32_e32 v27, v27, v80
	v_sub_f32_e32 v20, v1, v46
	v_add_f32_e32 v25, v25, v77
	v_mul_f32_e32 v55, 0x3fb8aa3b, v4
	v_fma_f32 v83, 0x3fb8aa3b, v19, -v53
	v_rndne_f32_e32 v84, v53
	v_fmac_f32_e32 v81, 0x32a5705f, v3
	v_sub_f32_e32 v52, v52, v82
	v_add_f32_e32 v27, v27, v79
	v_exp_f32_e32 v25, v25
	v_sub_f32_e32 v5, v5, v47
	v_mul_f32_e32 v56, 0x3fb8aa3b, v20
	v_fma_f32 v85, 0x3fb8aa3b, v4, -v55
	v_rndne_f32_e32 v86, v55
	v_cvt_i32_f32_e32 v78, v78
	v_fmac_f32_e32 v83, 0x32a5705f, v19
	v_sub_f32_e32 v53, v53, v84
	v_add_f32_e32 v52, v52, v81
	v_exp_f32_e32 v27, v27
	v_max_f32_e32 v48, v23, v22
	v_sub_f32_e32 v21, v1, v47
	v_mul_f32_e32 v57, 0x3fb8aa3b, v5
	v_fma_f32 v87, 0x3fb8aa3b, v20, -v56
	v_rndne_f32_e32 v88, v56
	v_cvt_i32_f32_e32 v80, v80
	v_fmac_f32_e32 v85, 0x32a5705f, v4
	v_sub_f32_e32 v55, v55, v86
	v_add_f32_e32 v53, v53, v83
	v_exp_f32_e32 v52, v52
	v_ldexp_f32 v25, v25, v78
	v_cmp_ngt_f32_e32 vcc_lo, 0xc2ce8ed0, v2
	v_sub_f32_e32 v6, v6, v48
	v_mul_f32_e32 v58, 0x3fb8aa3b, v21
	v_fma_f32 v89, 0x3fb8aa3b, v5, -v57
	v_rndne_f32_e32 v90, v57
	v_cvt_i32_f32_e32 v82, v82
	v_fmac_f32_e32 v87, 0x32a5705f, v20
	v_sub_f32_e32 v56, v56, v88
	v_add_f32_e32 v55, v55, v85
	v_exp_f32_e32 v53, v53
	v_ldexp_f32 v27, v27, v80
	v_cndmask_b32_e32 v25, 0, v25, vcc_lo
	v_cmp_ngt_f32_e32 vcc_lo, 0xc2ce8ed0, v18
	v_max_f32_e32 v49, v24, v22
	v_sub_f32_e32 v22, v1, v48
	v_mul_f32_e32 v59, 0x3fb8aa3b, v6
	v_fma_f32 v91, 0x3fb8aa3b, v21, -v58
	v_rndne_f32_e32 v92, v58
	v_cvt_i32_f32_e32 v84, v84
	v_fmac_f32_e32 v89, 0x32a5705f, v5
	v_sub_f32_e32 v57, v57, v90
	v_add_f32_e32 v56, v56, v87
	v_exp_f32_e32 v55, v55
	v_ldexp_f32 v52, v52, v82
	v_cndmask_b32_e32 v27, 0, v27, vcc_lo
	v_cmp_ngt_f32_e32 vcc_lo, 0xc2ce8ed0, v3
	v_sub_f32_e32 v7, v7, v49
	v_mul_f32_e32 v60, 0x3fb8aa3b, v22
	v_fma_f32 v93, 0x3fb8aa3b, v6, -v59
	v_rndne_f32_e32 v94, v59
	v_cvt_i32_f32_e32 v86, v86
	v_fmac_f32_e32 v91, 0x32a5705f, v21
	v_sub_f32_e32 v58, v58, v92
	v_add_f32_e32 v57, v57, v89
	v_exp_f32_e32 v56, v56
	v_ldexp_f32 v53, v53, v84
	v_cndmask_b32_e32 v52, 0, v52, vcc_lo
	v_cmp_ngt_f32_e32 vcc_lo, 0xc2ce8ed0, v19
	;; [unrolled: 12-line block ×7, first 2 shown]
	v_mul_f32_e32 v76, 0x3fb8aa3b, v1
	v_fma_f32 v105, 0x3fb8aa3b, v9, -v75
	v_rndne_f32_e32 v106, v75
	v_cvt_i32_f32_e32 v98, v98
	v_fmac_f32_e32 v103, 0x32a5705f, v24
	v_sub_f32_e32 v74, v74, v104
	v_add_f32_e32 v73, v73, v101
	v_exp_f32_e32 v62, v62
	v_ldexp_f32 v60, v60, v96
	v_cndmask_b32_e32 v59, 0, v59, vcc_lo
	v_cmp_ngt_f32_e32 vcc_lo, 0xc2ce8ed0, v22
	v_fma_f32 v107, 0x3fb8aa3b, v1, -v76
	v_rndne_f32_e32 v108, v76
	v_cvt_i32_f32_e32 v100, v100
	v_fmac_f32_e32 v105, 0x32a5705f, v9
	v_sub_f32_e32 v75, v75, v106
	v_add_f32_e32 v74, v74, v103
	v_exp_f32_e32 v73, v73
	v_ldexp_f32 v61, v61, v98
	v_cndmask_b32_e32 v60, 0, v60, vcc_lo
	v_cmp_ngt_f32_e32 vcc_lo, 0xc2ce8ed0, v7
	v_cvt_i32_f32_e32 v102, v102
	v_fmac_f32_e32 v107, 0x32a5705f, v1
	v_sub_f32_e32 v76, v76, v108
	v_add_f32_e32 v75, v75, v105
	v_exp_f32_e32 v74, v74
	v_ldexp_f32 v62, v62, v100
	v_cndmask_b32_e32 v61, 0, v61, vcc_lo
	v_cmp_ngt_f32_e32 vcc_lo, 0xc2ce8ed0, v23
	v_cvt_i32_f32_e32 v104, v104
	v_add_f32_e32 v76, v76, v107
	v_exp_f32_e32 v75, v75
	v_ldexp_f32 v73, v73, v102
	v_cndmask_b32_e32 v62, 0, v62, vcc_lo
	v_cmp_ngt_f32_e32 vcc_lo, 0xc2ce8ed0, v8
	v_cvt_i32_f32_e32 v106, v106
	v_exp_f32_e32 v76, v76
	v_ldexp_f32 v74, v74, v104
	v_cvt_i32_f32_e32 v108, v108
	v_cndmask_b32_e32 v73, 0, v73, vcc_lo
	v_cmp_ngt_f32_e32 vcc_lo, 0xc2ce8ed0, v24
	v_ldexp_f32 v75, v75, v106
	v_cndmask_b32_e32 v74, 0, v74, vcc_lo
	v_cmp_ngt_f32_e32 vcc_lo, 0xc2ce8ed0, v9
	v_ldexp_f32 v76, v76, v108
	v_cndmask_b32_e32 v75, 0, v75, vcc_lo
	v_cmp_ngt_f32_e32 vcc_lo, 0xc2ce8ed0, v1
	v_cndmask_b32_e32 v76, 0, v76, vcc_lo
	v_cmp_nlt_f32_e32 vcc_lo, 0x42b17218, v2
	v_cndmask_b32_e32 v2, 0x7f800000, v25, vcc_lo
	v_cmp_nlt_f32_e32 vcc_lo, 0x42b17218, v18
	v_cndmask_b32_e32 v18, 0x7f800000, v27, vcc_lo
	v_cmp_nlt_f32_e32 vcc_lo, 0x42b17218, v3
	v_fmac_f32_e32 v18, v10, v2
	v_cndmask_b32_e32 v3, 0x7f800000, v52, vcc_lo
	v_cmp_nlt_f32_e32 vcc_lo, 0x42b17218, v19
	v_cndmask_b32_e32 v19, 0x7f800000, v53, vcc_lo
	v_cmp_nlt_f32_e32 vcc_lo, 0x42b17218, v4
	v_fmac_f32_e32 v19, v11, v3
	v_cndmask_b32_e32 v4, 0x7f800000, v55, vcc_lo
	v_cmp_nlt_f32_e32 vcc_lo, 0x42b17218, v20
	v_cndmask_b32_e32 v20, 0x7f800000, v56, vcc_lo
	v_cmp_nlt_f32_e32 vcc_lo, 0x42b17218, v5
	;; [unrolled: 5-line block ×6, first 2 shown]
	v_fmac_f32_e32 v24, v16, v8
	v_cndmask_b32_e32 v9, 0x7f800000, v75, vcc_lo
	v_cmp_nlt_f32_e32 vcc_lo, 0x42b17218, v1
	v_cvt_f16_f32_e32 v1, v2
	v_cvt_f16_f32_e32 v2, v3
	;; [unrolled: 1-line block ×8, first 2 shown]
	v_cndmask_b32_e32 v25, 0x7f800000, v76, vcc_lo
	v_mul_u32_u24_sdwa v2, v2, v26 dst_sel:DWORD dst_unused:UNUSED_PAD src0_sel:WORD_0 src1_sel:DWORD
	v_mul_u32_u24_sdwa v3, v3, v26 dst_sel:DWORD dst_unused:UNUSED_PAD src0_sel:WORD_0 src1_sel:DWORD
	;; [unrolled: 1-line block ×7, first 2 shown]
	v_fmac_f32_e32 v25, v17, v9
	v_mul_u32_u24_sdwa v1, v1, v26 dst_sel:DWORD dst_unused:UNUSED_PAD src0_sel:WORD_0 src1_sel:DWORD
	v_mov_b32_e32 v10, v18
	v_pk_mul_f16 v40, v40, v2
	v_pk_mul_f16 v41, v41, v2
	;; [unrolled: 1-line block ×14, first 2 shown]
	v_mov_b32_e32 v2, v44
	v_mov_b32_e32 v11, v19
	v_mov_b32_e32 v12, v20
	v_mov_b32_e32 v13, v21
	v_mov_b32_e32 v14, v22
	v_mov_b32_e32 v15, v23
	v_mov_b32_e32 v16, v24
	v_mov_b32_e32 v17, v25
	v_pk_mul_f16 v42, v42, v1
	v_pk_mul_f16 v43, v43, v1
	v_mov_b32_e32 v3, v45
	v_mov_b32_e32 v4, v46
	;; [unrolled: 1-line block ×7, first 2 shown]
	s_mov_b32 s7, exec_lo
	v_cmpx_gt_i32_e64 s38, v72
	s_cbranch_execnz .LBB52_99
.LBB52_97:
	s_endpgm
.LBB52_98:
	v_mov_b32_e32 v18, v10
	v_mov_b32_e32 v19, v11
	v_mov_b32_e32 v20, v12
	v_mov_b32_e32 v21, v13
	v_mov_b32_e32 v22, v14
	v_mov_b32_e32 v23, v15
	v_mov_b32_e32 v24, v16
	v_mov_b32_e32 v25, v17
	s_mov_b32 s7, exec_lo
	v_cmpx_gt_i32_e64 s38, v72
	s_cbranch_execz .LBB52_97
.LBB52_99:
	s_load_dword s4, s[4:5], 0xd4
	v_mov_b32_e32 v1, 1.0
	s_waitcnt lgkmcnt(0)
	s_cmp_lg_u32 s4, 1
	s_cselect_b32 s7, -1, 0
	s_cmp_eq_u32 s4, 1
	s_cselect_b32 s8, -1, 0
	s_and_b32 vcc_lo, exec_lo, s7
	s_cbranch_vccnz .LBB52_101
; %bb.100:
	v_div_scale_f32 v1, null, v18, v18, 1.0
	v_rcp_f32_e32 v26, v1
	v_fma_f32 v27, -v1, v26, 1.0
	v_fmac_f32_e32 v26, v27, v26
	v_div_scale_f32 v27, vcc_lo, 1.0, v18, 1.0
	v_mul_f32_e32 v44, v27, v26
	v_fma_f32 v45, -v1, v44, v27
	v_fmac_f32_e32 v44, v45, v26
	v_fma_f32 v1, -v1, v44, v27
	v_div_fmas_f32 v1, v1, v26, v44
	v_div_fixup_f32 v1, v1, v18, 1.0
.LBB52_101:
	s_mul_i32 s5, s35, s38
	s_add_i32 s5, s5, s33
	v_add_nc_u32_e32 v18, s5, v70
	v_mad_u64_u32 v[26:27], null, v18, s39, s[40:41]
	v_mad_u64_u32 v[26:27], null, s4, v26, s[34:35]
	s_and_saveexec_b32 s9, s6
	s_cbranch_execz .LBB52_103
; %bb.102:
	v_mad_u64_u32 v[44:45], null, 0x48, v26, v[54:55]
	v_mov_b32_e32 v45, 0
	v_cvt_f32_f16_sdwa v18, v43 dst_sel:DWORD dst_unused:UNUSED_PAD src0_sel:WORD_1
	v_cvt_f32_f16_e32 v27, v43
	v_cvt_f32_f16_sdwa v43, v42 dst_sel:DWORD dst_unused:UNUSED_PAD src0_sel:WORD_1
	v_cvt_f32_f16_e32 v42, v42
	v_lshlrev_b64 v[46:47], 2, v[44:45]
	v_mul_f32_e32 v45, v1, v18
	v_mul_f32_e32 v44, v1, v27
	;; [unrolled: 1-line block ×4, first 2 shown]
	v_add_co_u32 v46, vcc_lo, s28, v46
	v_add_co_ci_u32_e64 v47, null, s29, v47, vcc_lo
	global_store_dwordx4 v[46:47], v[42:45], off
.LBB52_103:
	s_or_b32 exec_lo, exec_lo, s9
	v_cmp_eq_u32_e32 vcc_lo, 0, v0
	s_and_b32 s7, vcc_lo, s7
	s_and_saveexec_b32 s9, s7
	s_cbranch_execz .LBB52_105
; %bb.104:
	v_ashrrev_i32_e32 v27, 31, v26
	v_lshlrev_b64 v[0:1], 3, v[26:27]
	v_mov_b32_e32 v26, v2
	v_mov_b32_e32 v27, v10
	v_add_co_u32 v0, vcc_lo, s30, v0
	v_add_co_ci_u32_e64 v1, null, s31, v1, vcc_lo
	global_store_dwordx2 v[0:1], v[26:27], off
.LBB52_105:
	s_or_b32 exec_lo, exec_lo, s9
	v_cmp_gt_i32_e32 vcc_lo, s38, v71
	s_and_b32 exec_lo, exec_lo, vcc_lo
	s_cbranch_execz .LBB52_97
; %bb.106:
	v_cndmask_b32_e64 v2, 0, 1, s8
	v_mov_b32_e32 v10, 1.0
	s_andn2_b32 vcc_lo, exec_lo, s8
	s_cbranch_vccnz .LBB52_108
; %bb.107:
	v_div_scale_f32 v0, null, v19, v19, 1.0
	v_rcp_f32_e32 v1, v0
	v_fma_f32 v10, -v0, v1, 1.0
	v_fmac_f32_e32 v1, v10, v1
	v_div_scale_f32 v10, vcc_lo, 1.0, v19, 1.0
	v_mul_f32_e32 v18, v10, v1
	v_fma_f32 v26, -v0, v18, v10
	v_fmac_f32_e32 v18, v26, v1
	v_fma_f32 v0, -v0, v18, v10
	v_div_fmas_f32 v0, v0, v1, v18
	v_div_fixup_f32 v10, v0, v19, 1.0
.LBB52_108:
	v_add_nc_u32_e32 v0, s5, v69
	v_mad_u64_u32 v[0:1], null, v0, s39, s[40:41]
	v_mad_u64_u32 v[0:1], null, s4, v0, s[34:35]
	s_and_saveexec_b32 s8, s6
	s_cbranch_execz .LBB52_110
; %bb.109:
	v_mad_u64_u32 v[18:19], null, 0x48, v0, v[54:55]
	v_mov_b32_e32 v19, 0
	v_cvt_f32_f16_sdwa v1, v41 dst_sel:DWORD dst_unused:UNUSED_PAD src0_sel:WORD_1
	v_cvt_f32_f16_e32 v26, v41
	v_cvt_f32_f16_sdwa v27, v40 dst_sel:DWORD dst_unused:UNUSED_PAD src0_sel:WORD_1
	v_cvt_f32_f16_e32 v40, v40
	v_mul_f32_e32 v43, v10, v1
	v_lshlrev_b64 v[18:19], 2, v[18:19]
	v_mul_f32_e32 v42, v10, v26
	v_mul_f32_e32 v41, v10, v27
	v_mul_f32_e32 v40, v10, v40
	v_add_co_u32 v18, vcc_lo, s28, v18
	v_add_co_ci_u32_e64 v19, null, s29, v19, vcc_lo
	global_store_dwordx4 v[18:19], v[40:43], off
.LBB52_110:
	s_or_b32 exec_lo, exec_lo, s8
	s_and_saveexec_b32 s8, s7
	s_cbranch_execz .LBB52_112
; %bb.111:
	v_ashrrev_i32_e32 v1, 31, v0
	v_mov_b32_e32 v10, v3
	v_lshlrev_b64 v[0:1], 3, v[0:1]
	v_add_co_u32 v0, vcc_lo, s30, v0
	v_add_co_ci_u32_e64 v1, null, s31, v1, vcc_lo
	global_store_dwordx2 v[0:1], v[10:11], off
.LBB52_112:
	s_or_b32 exec_lo, exec_lo, s8
	v_add_nc_u32_e32 v0, s33, v68
	v_cmp_gt_i32_e32 vcc_lo, s38, v0
	s_and_b32 exec_lo, exec_lo, vcc_lo
	s_cbranch_execz .LBB52_97
; %bb.113:
	v_cmp_ne_u32_e32 vcc_lo, 1, v2
	v_mov_b32_e32 v3, 1.0
	s_cbranch_vccnz .LBB52_115
; %bb.114:
	v_div_scale_f32 v0, null, v20, v20, 1.0
	v_rcp_f32_e32 v1, v0
	v_fma_f32 v3, -v0, v1, 1.0
	v_fmac_f32_e32 v1, v3, v1
	v_div_scale_f32 v3, vcc_lo, 1.0, v20, 1.0
	v_mul_f32_e32 v10, v3, v1
	v_fma_f32 v11, -v0, v10, v3
	v_fmac_f32_e32 v10, v11, v1
	v_fma_f32 v0, -v0, v10, v3
	v_div_fmas_f32 v0, v0, v1, v10
	v_div_fixup_f32 v3, v0, v20, 1.0
.LBB52_115:
	v_add_nc_u32_e32 v0, s5, v68
	v_mad_u64_u32 v[0:1], null, v0, s39, s[40:41]
	v_mad_u64_u32 v[0:1], null, s4, v0, s[34:35]
	s_and_saveexec_b32 s8, s6
	s_cbranch_execz .LBB52_117
; %bb.116:
	v_mad_u64_u32 v[10:11], null, 0x48, v0, v[54:55]
	v_mov_b32_e32 v11, 0
	v_cvt_f32_f16_sdwa v1, v39 dst_sel:DWORD dst_unused:UNUSED_PAD src0_sel:WORD_1
	v_cvt_f32_f16_e32 v18, v39
	v_cvt_f32_f16_sdwa v19, v38 dst_sel:DWORD dst_unused:UNUSED_PAD src0_sel:WORD_1
	v_cvt_f32_f16_e32 v20, v38
	v_mul_f32_e32 v41, v3, v1
	v_lshlrev_b64 v[10:11], 2, v[10:11]
	v_mul_f32_e32 v40, v3, v18
	v_mul_f32_e32 v39, v3, v19
	v_mul_f32_e32 v38, v3, v20
	v_add_co_u32 v10, vcc_lo, s28, v10
	v_add_co_ci_u32_e64 v11, null, s29, v11, vcc_lo
	global_store_dwordx4 v[10:11], v[38:41], off
.LBB52_117:
	s_or_b32 exec_lo, exec_lo, s8
	s_and_saveexec_b32 s8, s7
	s_cbranch_execz .LBB52_119
; %bb.118:
	v_ashrrev_i32_e32 v1, 31, v0
	v_mov_b32_e32 v11, v4
	v_lshlrev_b64 v[0:1], 3, v[0:1]
	v_add_co_u32 v0, vcc_lo, s30, v0
	v_add_co_ci_u32_e64 v1, null, s31, v1, vcc_lo
	global_store_dwordx2 v[0:1], v[11:12], off
.LBB52_119:
	s_or_b32 exec_lo, exec_lo, s8
	v_add_nc_u32_e32 v0, s33, v67
	v_cmp_gt_i32_e32 vcc_lo, s38, v0
	s_and_b32 exec_lo, exec_lo, vcc_lo
	s_cbranch_execz .LBB52_97
; %bb.120:
	v_cmp_ne_u32_e32 vcc_lo, 1, v2
	v_mov_b32_e32 v3, 1.0
	s_cbranch_vccnz .LBB52_122
; %bb.121:
	v_div_scale_f32 v0, null, v21, v21, 1.0
	v_rcp_f32_e32 v1, v0
	v_fma_f32 v3, -v0, v1, 1.0
	v_fmac_f32_e32 v1, v3, v1
	v_div_scale_f32 v3, vcc_lo, 1.0, v21, 1.0
	v_mul_f32_e32 v4, v3, v1
	v_fma_f32 v10, -v0, v4, v3
	v_fmac_f32_e32 v4, v10, v1
	v_fma_f32 v0, -v0, v4, v3
	v_div_fmas_f32 v0, v0, v1, v4
	v_div_fixup_f32 v3, v0, v21, 1.0
.LBB52_122:
	v_add_nc_u32_e32 v0, s5, v67
	v_mad_u64_u32 v[0:1], null, v0, s39, s[40:41]
	v_mad_u64_u32 v[0:1], null, s4, v0, s[34:35]
	s_and_saveexec_b32 s8, s6
	s_cbranch_execz .LBB52_124
; %bb.123:
	v_mad_u64_u32 v[10:11], null, 0x48, v0, v[54:55]
	v_mov_b32_e32 v11, 0
	v_cvt_f32_f16_sdwa v1, v37 dst_sel:DWORD dst_unused:UNUSED_PAD src0_sel:WORD_1
	v_cvt_f32_f16_e32 v4, v37
	v_cvt_f32_f16_sdwa v12, v36 dst_sel:DWORD dst_unused:UNUSED_PAD src0_sel:WORD_1
	v_cvt_f32_f16_e32 v18, v36
	v_mul_f32_e32 v21, v3, v1
	v_lshlrev_b64 v[10:11], 2, v[10:11]
	v_mul_f32_e32 v20, v3, v4
	v_mul_f32_e32 v19, v3, v12
	v_mul_f32_e32 v18, v3, v18
	v_add_co_u32 v10, vcc_lo, s28, v10
	v_add_co_ci_u32_e64 v11, null, s29, v11, vcc_lo
	global_store_dwordx4 v[10:11], v[18:21], off
.LBB52_124:
	s_or_b32 exec_lo, exec_lo, s8
	s_and_saveexec_b32 s8, s7
	s_cbranch_execz .LBB52_126
; %bb.125:
	v_ashrrev_i32_e32 v1, 31, v0
	v_mov_b32_e32 v12, v5
	v_lshlrev_b64 v[0:1], 3, v[0:1]
	v_add_co_u32 v0, vcc_lo, s30, v0
	v_add_co_ci_u32_e64 v1, null, s31, v1, vcc_lo
	global_store_dwordx2 v[0:1], v[12:13], off
.LBB52_126:
	s_or_b32 exec_lo, exec_lo, s8
	v_add_nc_u32_e32 v0, s33, v66
	v_cmp_gt_i32_e32 vcc_lo, s38, v0
	s_and_b32 exec_lo, exec_lo, vcc_lo
	s_cbranch_execz .LBB52_97
; %bb.127:
	v_cmp_ne_u32_e32 vcc_lo, 1, v2
	v_mov_b32_e32 v3, 1.0
	s_cbranch_vccnz .LBB52_129
; %bb.128:
	v_div_scale_f32 v0, null, v22, v22, 1.0
	v_rcp_f32_e32 v1, v0
	v_fma_f32 v3, -v0, v1, 1.0
	v_fmac_f32_e32 v1, v3, v1
	v_div_scale_f32 v3, vcc_lo, 1.0, v22, 1.0
	v_mul_f32_e32 v4, v3, v1
	v_fma_f32 v5, -v0, v4, v3
	v_fmac_f32_e32 v4, v5, v1
	v_fma_f32 v0, -v0, v4, v3
	v_div_fmas_f32 v0, v0, v1, v4
	v_div_fixup_f32 v3, v0, v22, 1.0
.LBB52_129:
	v_add_nc_u32_e32 v0, s5, v66
	v_mad_u64_u32 v[0:1], null, v0, s39, s[40:41]
	v_mad_u64_u32 v[0:1], null, s4, v0, s[34:35]
	s_and_saveexec_b32 s8, s6
	s_cbranch_execz .LBB52_131
; %bb.130:
	v_mad_u64_u32 v[4:5], null, 0x48, v0, v[54:55]
	v_mov_b32_e32 v5, 0
	v_cvt_f32_f16_sdwa v1, v35 dst_sel:DWORD dst_unused:UNUSED_PAD src0_sel:WORD_1
	v_cvt_f32_f16_e32 v10, v35
	v_cvt_f32_f16_sdwa v11, v34 dst_sel:DWORD dst_unused:UNUSED_PAD src0_sel:WORD_1
	v_cvt_f32_f16_e32 v18, v34
	v_mul_f32_e32 v13, v3, v1
	v_lshlrev_b64 v[4:5], 2, v[4:5]
	v_mul_f32_e32 v12, v3, v10
	v_mul_f32_e32 v11, v3, v11
	v_mul_f32_e32 v10, v3, v18
	v_add_co_u32 v4, vcc_lo, s28, v4
	v_add_co_ci_u32_e64 v5, null, s29, v5, vcc_lo
	global_store_dwordx4 v[4:5], v[10:13], off
.LBB52_131:
	s_or_b32 exec_lo, exec_lo, s8
	s_and_saveexec_b32 s8, s7
	s_cbranch_execz .LBB52_133
; %bb.132:
	v_ashrrev_i32_e32 v1, 31, v0
	v_mov_b32_e32 v13, v6
	v_lshlrev_b64 v[0:1], 3, v[0:1]
	v_add_co_u32 v0, vcc_lo, s30, v0
	v_add_co_ci_u32_e64 v1, null, s31, v1, vcc_lo
	global_store_dwordx2 v[0:1], v[13:14], off
.LBB52_133:
	s_or_b32 exec_lo, exec_lo, s8
	v_add_nc_u32_e32 v0, s33, v65
	v_cmp_gt_i32_e32 vcc_lo, s38, v0
	s_and_b32 exec_lo, exec_lo, vcc_lo
	s_cbranch_execz .LBB52_97
; %bb.134:
	v_cmp_ne_u32_e32 vcc_lo, 1, v2
	v_mov_b32_e32 v3, 1.0
	s_cbranch_vccnz .LBB52_136
; %bb.135:
	v_div_scale_f32 v0, null, v23, v23, 1.0
	v_rcp_f32_e32 v1, v0
	v_fma_f32 v3, -v0, v1, 1.0
	v_fmac_f32_e32 v1, v3, v1
	v_div_scale_f32 v3, vcc_lo, 1.0, v23, 1.0
	v_mul_f32_e32 v4, v3, v1
	v_fma_f32 v5, -v0, v4, v3
	v_fmac_f32_e32 v4, v5, v1
	v_fma_f32 v0, -v0, v4, v3
	v_div_fmas_f32 v0, v0, v1, v4
	v_div_fixup_f32 v3, v0, v23, 1.0
.LBB52_136:
	v_add_nc_u32_e32 v0, s5, v65
	v_mad_u64_u32 v[0:1], null, v0, s39, s[40:41]
	v_mad_u64_u32 v[0:1], null, s4, v0, s[34:35]
	s_and_saveexec_b32 s8, s6
	s_cbranch_execz .LBB52_138
; %bb.137:
	v_mad_u64_u32 v[4:5], null, 0x48, v0, v[54:55]
	v_mov_b32_e32 v5, 0
	v_cvt_f32_f16_sdwa v1, v33 dst_sel:DWORD dst_unused:UNUSED_PAD src0_sel:WORD_1
	v_cvt_f32_f16_e32 v12, v33
	v_cvt_f32_f16_sdwa v13, v32 dst_sel:DWORD dst_unused:UNUSED_PAD src0_sel:WORD_1
	v_cvt_f32_f16_e32 v14, v32
	v_mul_f32_e32 v6, v3, v1
	v_lshlrev_b64 v[10:11], 2, v[4:5]
	v_mul_f32_e32 v5, v3, v12
	v_mul_f32_e32 v4, v3, v13
	v_mul_f32_e32 v3, v3, v14
	v_add_co_u32 v10, vcc_lo, s28, v10
	v_add_co_ci_u32_e64 v11, null, s29, v11, vcc_lo
	global_store_dwordx4 v[10:11], v[3:6], off
.LBB52_138:
	s_or_b32 exec_lo, exec_lo, s8
	s_and_saveexec_b32 s8, s7
	s_cbranch_execz .LBB52_140
; %bb.139:
	v_ashrrev_i32_e32 v1, 31, v0
	v_mov_b32_e32 v14, v7
	v_lshlrev_b64 v[0:1], 3, v[0:1]
	v_add_co_u32 v0, vcc_lo, s30, v0
	v_add_co_ci_u32_e64 v1, null, s31, v1, vcc_lo
	global_store_dwordx2 v[0:1], v[14:15], off
.LBB52_140:
	s_or_b32 exec_lo, exec_lo, s8
	v_add_nc_u32_e32 v0, s33, v64
	v_cmp_gt_i32_e32 vcc_lo, s38, v0
	s_and_b32 exec_lo, exec_lo, vcc_lo
	s_cbranch_execz .LBB52_97
; %bb.141:
	v_cmp_ne_u32_e32 vcc_lo, 1, v2
	v_mov_b32_e32 v3, 1.0
	s_cbranch_vccnz .LBB52_143
; %bb.142:
	v_div_scale_f32 v0, null, v24, v24, 1.0
	v_rcp_f32_e32 v1, v0
	v_fma_f32 v3, -v0, v1, 1.0
	v_fmac_f32_e32 v1, v3, v1
	v_div_scale_f32 v3, vcc_lo, 1.0, v24, 1.0
	v_mul_f32_e32 v4, v3, v1
	v_fma_f32 v5, -v0, v4, v3
	v_fmac_f32_e32 v4, v5, v1
	v_fma_f32 v0, -v0, v4, v3
	v_div_fmas_f32 v0, v0, v1, v4
	v_div_fixup_f32 v3, v0, v24, 1.0
.LBB52_143:
	v_add_nc_u32_e32 v0, s5, v64
	v_mad_u64_u32 v[0:1], null, v0, s39, s[40:41]
	v_mad_u64_u32 v[0:1], null, s4, v0, s[34:35]
	s_and_saveexec_b32 s8, s6
	s_cbranch_execz .LBB52_145
; %bb.144:
	v_mad_u64_u32 v[4:5], null, 0x48, v0, v[54:55]
	v_mov_b32_e32 v5, 0
	v_cvt_f32_f16_sdwa v1, v31 dst_sel:DWORD dst_unused:UNUSED_PAD src0_sel:WORD_1
	v_cvt_f32_f16_e32 v7, v31
	v_cvt_f32_f16_sdwa v12, v30 dst_sel:DWORD dst_unused:UNUSED_PAD src0_sel:WORD_1
	v_cvt_f32_f16_e32 v13, v30
	v_mul_f32_e32 v6, v3, v1
	v_lshlrev_b64 v[10:11], 2, v[4:5]
	v_mul_f32_e32 v5, v3, v7
	v_mul_f32_e32 v4, v3, v12
	v_mul_f32_e32 v3, v3, v13
	v_add_co_u32 v10, vcc_lo, s28, v10
	v_add_co_ci_u32_e64 v11, null, s29, v11, vcc_lo
	global_store_dwordx4 v[10:11], v[3:6], off
.LBB52_145:
	s_or_b32 exec_lo, exec_lo, s8
	s_and_saveexec_b32 s8, s7
	s_cbranch_execz .LBB52_147
; %bb.146:
	v_ashrrev_i32_e32 v1, 31, v0
	v_mov_b32_e32 v15, v8
	v_lshlrev_b64 v[0:1], 3, v[0:1]
	v_add_co_u32 v0, vcc_lo, s30, v0
	v_add_co_ci_u32_e64 v1, null, s31, v1, vcc_lo
	global_store_dwordx2 v[0:1], v[15:16], off
.LBB52_147:
	s_or_b32 exec_lo, exec_lo, s8
	v_add_nc_u32_e32 v0, s33, v63
	v_cmp_gt_i32_e32 vcc_lo, s38, v0
	s_and_b32 exec_lo, exec_lo, vcc_lo
	s_cbranch_execz .LBB52_97
; %bb.148:
	v_cmp_ne_u32_e32 vcc_lo, 1, v2
	v_mov_b32_e32 v2, 1.0
	s_cbranch_vccnz .LBB52_150
; %bb.149:
	v_div_scale_f32 v0, null, v25, v25, 1.0
	v_rcp_f32_e32 v1, v0
	v_fma_f32 v2, -v0, v1, 1.0
	v_fmac_f32_e32 v1, v2, v1
	v_div_scale_f32 v2, vcc_lo, 1.0, v25, 1.0
	v_mul_f32_e32 v3, v2, v1
	v_fma_f32 v4, -v0, v3, v2
	v_fmac_f32_e32 v3, v4, v1
	v_fma_f32 v0, -v0, v3, v2
	v_div_fmas_f32 v0, v0, v1, v3
	v_div_fixup_f32 v2, v0, v25, 1.0
.LBB52_150:
	v_add_nc_u32_e32 v0, s5, v63
	v_mad_u64_u32 v[0:1], null, v0, s39, s[40:41]
	v_mad_u64_u32 v[0:1], null, s4, v0, s[34:35]
	s_and_saveexec_b32 s4, s6
	s_cbranch_execz .LBB52_152
; %bb.151:
	v_mad_u64_u32 v[3:4], null, 0x48, v0, v[54:55]
	v_mov_b32_e32 v4, 0
	v_cvt_f32_f16_sdwa v1, v28 dst_sel:DWORD dst_unused:UNUSED_PAD src0_sel:WORD_1
	v_cvt_f32_f16_e32 v8, v28
	v_cvt_f32_f16_sdwa v10, v29 dst_sel:DWORD dst_unused:UNUSED_PAD src0_sel:WORD_1
	v_cvt_f32_f16_e32 v11, v29
	v_mul_f32_e32 v5, v2, v1
	v_lshlrev_b64 v[6:7], 2, v[3:4]
	v_mul_f32_e32 v4, v2, v8
	v_mul_f32_e32 v3, v2, v10
	;; [unrolled: 1-line block ×3, first 2 shown]
	v_add_co_u32 v6, vcc_lo, s28, v6
	v_add_co_ci_u32_e64 v7, null, s29, v7, vcc_lo
	global_store_dwordx4 v[6:7], v[2:5], off
.LBB52_152:
	s_or_b32 exec_lo, exec_lo, s4
	s_and_b32 exec_lo, exec_lo, s7
	s_cbranch_execz .LBB52_97
; %bb.153:
	v_ashrrev_i32_e32 v1, 31, v0
	v_mov_b32_e32 v16, v9
	v_lshlrev_b64 v[0:1], 3, v[0:1]
	v_add_co_u32 v0, vcc_lo, s30, v0
	v_add_co_ci_u32_e64 v1, null, s31, v1, vcc_lo
	global_store_dwordx2 v[0:1], v[16:17], off
	s_endpgm
	.section	.rodata,"a",@progbits
	.p2align	6, 0x0
	.amdhsa_kernel _ZL15flash_attn_tileILi72ELi72ELi64ELi1ELb0EEvPKcS1_S1_S1_S1_PKiPfP15HIP_vector_typeIfLj2EEffffjfiS5_IjLj3EEiiiiiiiiiiiliiliiiiil
		.amdhsa_group_segment_fixed_size 18656
		.amdhsa_private_segment_fixed_size 32
		.amdhsa_kernarg_size 464
		.amdhsa_user_sgpr_count 8
		.amdhsa_user_sgpr_private_segment_buffer 1
		.amdhsa_user_sgpr_dispatch_ptr 0
		.amdhsa_user_sgpr_queue_ptr 0
		.amdhsa_user_sgpr_kernarg_segment_ptr 1
		.amdhsa_user_sgpr_dispatch_id 0
		.amdhsa_user_sgpr_flat_scratch_init 1
		.amdhsa_user_sgpr_private_segment_size 0
		.amdhsa_wavefront_size32 1
		.amdhsa_uses_dynamic_stack 0
		.amdhsa_system_sgpr_private_segment_wavefront_offset 1
		.amdhsa_system_sgpr_workgroup_id_x 1
		.amdhsa_system_sgpr_workgroup_id_y 1
		.amdhsa_system_sgpr_workgroup_id_z 1
		.amdhsa_system_sgpr_workgroup_info 0
		.amdhsa_system_vgpr_workitem_id 1
		.amdhsa_next_free_vgpr 195
		.amdhsa_next_free_sgpr 58
		.amdhsa_reserve_vcc 1
		.amdhsa_reserve_flat_scratch 1
		.amdhsa_float_round_mode_32 0
		.amdhsa_float_round_mode_16_64 0
		.amdhsa_float_denorm_mode_32 3
		.amdhsa_float_denorm_mode_16_64 3
		.amdhsa_dx10_clamp 1
		.amdhsa_ieee_mode 1
		.amdhsa_fp16_overflow 0
		.amdhsa_workgroup_processor_mode 1
		.amdhsa_memory_ordered 1
		.amdhsa_forward_progress 1
		.amdhsa_shared_vgpr_count 0
		.amdhsa_exception_fp_ieee_invalid_op 0
		.amdhsa_exception_fp_denorm_src 0
		.amdhsa_exception_fp_ieee_div_zero 0
		.amdhsa_exception_fp_ieee_overflow 0
		.amdhsa_exception_fp_ieee_underflow 0
		.amdhsa_exception_fp_ieee_inexact 0
		.amdhsa_exception_int_div_zero 0
	.end_amdhsa_kernel
	.section	.text._ZL15flash_attn_tileILi72ELi72ELi64ELi1ELb0EEvPKcS1_S1_S1_S1_PKiPfP15HIP_vector_typeIfLj2EEffffjfiS5_IjLj3EEiiiiiiiiiiiliiliiiiil,"axG",@progbits,_ZL15flash_attn_tileILi72ELi72ELi64ELi1ELb0EEvPKcS1_S1_S1_S1_PKiPfP15HIP_vector_typeIfLj2EEffffjfiS5_IjLj3EEiiiiiiiiiiiliiliiiiil,comdat
.Lfunc_end52:
	.size	_ZL15flash_attn_tileILi72ELi72ELi64ELi1ELb0EEvPKcS1_S1_S1_S1_PKiPfP15HIP_vector_typeIfLj2EEffffjfiS5_IjLj3EEiiiiiiiiiiiliiliiiiil, .Lfunc_end52-_ZL15flash_attn_tileILi72ELi72ELi64ELi1ELb0EEvPKcS1_S1_S1_S1_PKiPfP15HIP_vector_typeIfLj2EEffffjfiS5_IjLj3EEiiiiiiiiiiiliiliiiiil
                                        ; -- End function
	.set _ZL15flash_attn_tileILi72ELi72ELi64ELi1ELb0EEvPKcS1_S1_S1_S1_PKiPfP15HIP_vector_typeIfLj2EEffffjfiS5_IjLj3EEiiiiiiiiiiiliiliiiiil.num_vgpr, 195
	.set _ZL15flash_attn_tileILi72ELi72ELi64ELi1ELb0EEvPKcS1_S1_S1_S1_PKiPfP15HIP_vector_typeIfLj2EEffffjfiS5_IjLj3EEiiiiiiiiiiiliiliiiiil.num_agpr, 0
	.set _ZL15flash_attn_tileILi72ELi72ELi64ELi1ELb0EEvPKcS1_S1_S1_S1_PKiPfP15HIP_vector_typeIfLj2EEffffjfiS5_IjLj3EEiiiiiiiiiiiliiliiiiil.numbered_sgpr, 58
	.set _ZL15flash_attn_tileILi72ELi72ELi64ELi1ELb0EEvPKcS1_S1_S1_S1_PKiPfP15HIP_vector_typeIfLj2EEffffjfiS5_IjLj3EEiiiiiiiiiiiliiliiiiil.num_named_barrier, 0
	.set _ZL15flash_attn_tileILi72ELi72ELi64ELi1ELb0EEvPKcS1_S1_S1_S1_PKiPfP15HIP_vector_typeIfLj2EEffffjfiS5_IjLj3EEiiiiiiiiiiiliiliiiiil.private_seg_size, 32
	.set _ZL15flash_attn_tileILi72ELi72ELi64ELi1ELb0EEvPKcS1_S1_S1_S1_PKiPfP15HIP_vector_typeIfLj2EEffffjfiS5_IjLj3EEiiiiiiiiiiiliiliiiiil.uses_vcc, 1
	.set _ZL15flash_attn_tileILi72ELi72ELi64ELi1ELb0EEvPKcS1_S1_S1_S1_PKiPfP15HIP_vector_typeIfLj2EEffffjfiS5_IjLj3EEiiiiiiiiiiiliiliiiiil.uses_flat_scratch, 1
	.set _ZL15flash_attn_tileILi72ELi72ELi64ELi1ELb0EEvPKcS1_S1_S1_S1_PKiPfP15HIP_vector_typeIfLj2EEffffjfiS5_IjLj3EEiiiiiiiiiiiliiliiiiil.has_dyn_sized_stack, 0
	.set _ZL15flash_attn_tileILi72ELi72ELi64ELi1ELb0EEvPKcS1_S1_S1_S1_PKiPfP15HIP_vector_typeIfLj2EEffffjfiS5_IjLj3EEiiiiiiiiiiiliiliiiiil.has_recursion, 0
	.set _ZL15flash_attn_tileILi72ELi72ELi64ELi1ELb0EEvPKcS1_S1_S1_S1_PKiPfP15HIP_vector_typeIfLj2EEffffjfiS5_IjLj3EEiiiiiiiiiiiliiliiiiil.has_indirect_call, 0
	.section	.AMDGPU.csdata,"",@progbits
; Kernel info:
; codeLenInByte = 44712
; TotalNumSgprs: 60
; NumVgprs: 195
; ScratchSize: 32
; MemoryBound: 0
; FloatMode: 240
; IeeeMode: 1
; LDSByteSize: 18656 bytes/workgroup (compile time only)
; SGPRBlocks: 0
; VGPRBlocks: 24
; NumSGPRsForWavesPerEU: 60
; NumVGPRsForWavesPerEU: 195
; Occupancy: 4
; WaveLimiterHint : 1
; COMPUTE_PGM_RSRC2:SCRATCH_EN: 1
; COMPUTE_PGM_RSRC2:USER_SGPR: 8
; COMPUTE_PGM_RSRC2:TRAP_HANDLER: 0
; COMPUTE_PGM_RSRC2:TGID_X_EN: 1
; COMPUTE_PGM_RSRC2:TGID_Y_EN: 1
; COMPUTE_PGM_RSRC2:TGID_Z_EN: 1
; COMPUTE_PGM_RSRC2:TIDIG_COMP_CNT: 1
	.section	.text._ZL25flash_attn_mask_to_KV_maxILi64EEvPK7__half2Piiii,"axG",@progbits,_ZL25flash_attn_mask_to_KV_maxILi64EEvPK7__half2Piiii,comdat
	.globl	_ZL25flash_attn_mask_to_KV_maxILi64EEvPK7__half2Piiii ; -- Begin function _ZL25flash_attn_mask_to_KV_maxILi64EEvPK7__half2Piiii
	.p2align	8
	.type	_ZL25flash_attn_mask_to_KV_maxILi64EEvPK7__half2Piiii,@function
_ZL25flash_attn_mask_to_KV_maxILi64EEvPK7__half2Piiii: ; @_ZL25flash_attn_mask_to_KV_maxILi64EEvPK7__half2Piiii
; %bb.0:
	s_load_dwordx4 s[8:11], s[4:5], 0x0
	s_mov_b32 s0, exec_lo
	v_cmpx_gt_u32_e32 32, v0
; %bb.1:
	v_lshlrev_b32_e32 v1, 2, v0
	v_mov_b32_e32 v2, 1
	ds_write_b32 v1, v2
; %bb.2:
	s_or_b32 exec_lo, exec_lo, s0
	s_clause 0x1
	s_load_dwordx4 s[12:15], s[4:5], 0x10
	s_load_dword s1, s[4:5], 0x20
	v_and_b32_e32 v1, 31, v0
	v_lshrrev_b32_e32 v5, 3, v0
	v_mov_b32_e32 v2, 0
	v_mov_b32_e32 v6, 0x204
	s_waitcnt lgkmcnt(0)
	v_lshlrev_b32_e32 v7, 2, v1
	s_barrier
	buffer_gl0_inv
	s_mul_i32 s0, s6, s13
	s_mul_i32 s2, s14, s7
	s_lshl_b32 s0, s0, 6
	s_add_i32 s2, s2, s0
	v_cmp_eq_u32_e64 s0, 0, v1
	s_ashr_i32 s3, s2, 31
	s_lshl_b64 s[4:5], s[2:3], 2
	s_add_u32 s3, s8, s4
	s_addc_u32 s4, s9, s5
	s_lshl_b32 s5, s12, 8
	s_branch .LBB53_4
.LBB53_3:                               ;   in Loop: Header=BB53_4 Depth=1
	s_or_b32 exec_lo, exec_lo, s8
	s_waitcnt lgkmcnt(0)
	s_barrier
	buffer_gl0_inv
	ds_read_b32 v1, v7
	s_waitcnt lgkmcnt(0)
	s_barrier
	buffer_gl0_inv
	v_cmp_ne_u32_e32 vcc_lo, 0, v1
	s_cmp_lg_u32 vcc_lo, exec_lo
	s_cselect_b32 s8, -1, 0
	s_and_b32 vcc_lo, exec_lo, s8
	s_cbranch_vccnz .LBB53_260
.LBB53_4:                               ; =>This Inner Loop Header: Depth=1
	s_mov_b32 s2, s5
	s_addk_i32 s5, 0xff00
	s_cmp_lt_i32 s5, 0
	s_cbranch_scc1 .LBB53_259
; %bb.5:                                ;   in Loop: Header=BB53_4 Depth=1
	s_lshr_b32 s8, s5, 1
	v_add_nc_u32_e32 v1, s8, v0
	v_lshlrev_b64 v[3:4], 2, v[1:2]
	v_add_co_u32 v3, vcc_lo, s3, v3
	v_add_co_ci_u32_e64 v4, null, s4, v4, vcc_lo
	global_load_dword v3, v[3:4], off
	s_waitcnt vmcnt(0)
	v_cmp_class_f16_e64 s8, v3, 0x204
	v_cmp_class_f16_sdwa s9, v3, v6 src0_sel:WORD_1 src1_sel:DWORD
	s_and_b32 s12, s8, s9
	s_mov_b32 s9, 0
	s_and_saveexec_b32 s8, s12
	s_cbranch_execz .LBB53_257
; %bb.6:                                ;   in Loop: Header=BB53_4 Depth=1
	v_add_nc_u32_e32 v3, s13, v1
	s_mov_b32 s12, 0
	v_ashrrev_i32_e32 v4, 31, v3
	v_lshlrev_b64 v[8:9], 2, v[3:4]
	v_add_co_u32 v8, vcc_lo, s3, v8
	v_add_co_ci_u32_e64 v9, null, s4, v9, vcc_lo
	global_load_dword v1, v[8:9], off
	s_waitcnt vmcnt(0)
	v_cmp_class_f16_e64 s14, v1, 0x204
	s_and_saveexec_b32 s9, s14
	s_cbranch_execz .LBB53_256
; %bb.7:                                ;   in Loop: Header=BB53_4 Depth=1
	v_cmp_class_f16_sdwa s15, v1, v6 src0_sel:WORD_1 src1_sel:DWORD
	s_mov_b32 s14, 0
	s_and_saveexec_b32 s12, s15
	s_cbranch_execz .LBB53_255
; %bb.8:                                ;   in Loop: Header=BB53_4 Depth=1
	v_add_nc_u32_e32 v3, s13, v3
	s_mov_b32 s15, 0
	v_ashrrev_i32_e32 v4, 31, v3
	v_lshlrev_b64 v[8:9], 2, v[3:4]
	v_add_co_u32 v8, vcc_lo, s3, v8
	v_add_co_ci_u32_e64 v9, null, s4, v9, vcc_lo
	global_load_dword v1, v[8:9], off
	s_waitcnt vmcnt(0)
	v_cmp_class_f16_e64 s16, v1, 0x204
	s_and_saveexec_b32 s14, s16
	s_cbranch_execz .LBB53_254
; %bb.9:                                ;   in Loop: Header=BB53_4 Depth=1
	v_cmp_class_f16_sdwa s17, v1, v6 src0_sel:WORD_1 src1_sel:DWORD
	s_mov_b32 s16, 0
	s_and_saveexec_b32 s15, s17
	s_cbranch_execz .LBB53_253
; %bb.10:                               ;   in Loop: Header=BB53_4 Depth=1
	v_add_nc_u32_e32 v3, s13, v3
	s_mov_b32 s17, 0
	v_ashrrev_i32_e32 v4, 31, v3
	v_lshlrev_b64 v[8:9], 2, v[3:4]
	v_add_co_u32 v8, vcc_lo, s3, v8
	v_add_co_ci_u32_e64 v9, null, s4, v9, vcc_lo
	global_load_dword v1, v[8:9], off
	s_waitcnt vmcnt(0)
	v_cmp_class_f16_e64 s18, v1, 0x204
	s_and_saveexec_b32 s16, s18
	s_cbranch_execz .LBB53_252
; %bb.11:                               ;   in Loop: Header=BB53_4 Depth=1
	v_cmp_class_f16_sdwa s19, v1, v6 src0_sel:WORD_1 src1_sel:DWORD
	s_mov_b32 s18, 0
	s_and_saveexec_b32 s17, s19
	s_cbranch_execz .LBB53_251
; %bb.12:                               ;   in Loop: Header=BB53_4 Depth=1
	v_add_nc_u32_e32 v3, s13, v3
	s_mov_b32 s19, 0
	v_ashrrev_i32_e32 v4, 31, v3
	v_lshlrev_b64 v[8:9], 2, v[3:4]
	v_add_co_u32 v8, vcc_lo, s3, v8
	v_add_co_ci_u32_e64 v9, null, s4, v9, vcc_lo
	global_load_dword v1, v[8:9], off
	s_waitcnt vmcnt(0)
	v_cmp_class_f16_e64 s20, v1, 0x204
	s_and_saveexec_b32 s18, s20
	s_cbranch_execz .LBB53_250
; %bb.13:                               ;   in Loop: Header=BB53_4 Depth=1
	;; [unrolled: 17-line block ×24, first 2 shown]
	v_cmp_class_f16_sdwa s66, v1, v6 src0_sel:WORD_1 src1_sel:DWORD
	s_mov_b32 s65, 0
	s_and_saveexec_b32 s64, s66
	s_cbranch_execz .LBB53_205
; %bb.58:                               ;   in Loop: Header=BB53_4 Depth=1
	v_add_nc_u32_e32 v3, s13, v3
	v_ashrrev_i32_e32 v4, 31, v3
	v_lshlrev_b64 v[8:9], 2, v[3:4]
	v_add_co_u32 v8, vcc_lo, s3, v8
	v_add_co_ci_u32_e64 v9, null, s4, v9, vcc_lo
	global_load_dword v1, v[8:9], off
	s_waitcnt vmcnt(0)
	v_cmp_class_f16_e64 s66, v1, 0x204
	s_mov_b32 s67, exec_lo
	s_and_b32 s66, s67, s66
                                        ; implicit-def: $vgpr11 : SGPR spill to VGPR lane
	v_writelane_b32 v11, s67, 0
	s_mov_b32 exec_lo, s66
	s_cbranch_execz .LBB53_204
; %bb.59:                               ;   in Loop: Header=BB53_4 Depth=1
	v_cmp_class_f16_sdwa s66, v1, v6 src0_sel:WORD_1 src1_sel:DWORD
	s_mov_b32 s67, exec_lo
	s_and_b32 s66, s67, s66
	v_writelane_b32 v11, s67, 1
	s_mov_b32 exec_lo, s66
	s_cbranch_execz .LBB53_203
; %bb.60:                               ;   in Loop: Header=BB53_4 Depth=1
	v_add_nc_u32_e32 v3, s13, v3
	v_ashrrev_i32_e32 v4, 31, v3
	v_lshlrev_b64 v[8:9], 2, v[3:4]
	v_add_co_u32 v8, vcc_lo, s3, v8
	v_add_co_ci_u32_e64 v9, null, s4, v9, vcc_lo
	global_load_dword v1, v[8:9], off
	s_waitcnt vmcnt(0)
	v_cmp_class_f16_e64 s66, v1, 0x204
	s_mov_b32 s67, exec_lo
	s_and_b32 s66, s67, s66
	v_writelane_b32 v11, s67, 2
	s_mov_b32 exec_lo, s66
	s_cbranch_execz .LBB53_202
; %bb.61:                               ;   in Loop: Header=BB53_4 Depth=1
	v_cmp_class_f16_sdwa s66, v1, v6 src0_sel:WORD_1 src1_sel:DWORD
	s_mov_b32 s67, exec_lo
	s_and_b32 s66, s67, s66
	v_writelane_b32 v11, s67, 3
	s_mov_b32 exec_lo, s66
	s_cbranch_execz .LBB53_201
; %bb.62:                               ;   in Loop: Header=BB53_4 Depth=1
	v_add_nc_u32_e32 v3, s13, v3
	v_ashrrev_i32_e32 v4, 31, v3
	v_lshlrev_b64 v[8:9], 2, v[3:4]
	v_add_co_u32 v8, vcc_lo, s3, v8
	v_add_co_ci_u32_e64 v9, null, s4, v9, vcc_lo
	global_load_dword v1, v[8:9], off
	s_waitcnt vmcnt(0)
	v_cmp_class_f16_e64 s66, v1, 0x204
	s_mov_b32 s67, exec_lo
	s_and_b32 s66, s67, s66
	;; [unrolled: 21-line block ×16, first 2 shown]
                                        ; implicit-def: $vgpr10 : SGPR spill to VGPR lane
	v_writelane_b32 v10, s67, 0
	s_mov_b32 exec_lo, s66
	s_cbranch_execz .LBB53_172
; %bb.91:                               ;   in Loop: Header=BB53_4 Depth=1
	v_cmp_class_f16_sdwa s66, v1, v6 src0_sel:WORD_1 src1_sel:DWORD
	s_mov_b32 s67, exec_lo
	s_and_b32 s66, s67, s66
	v_writelane_b32 v10, s67, 1
	s_mov_b32 exec_lo, s66
	s_cbranch_execz .LBB53_171
; %bb.92:                               ;   in Loop: Header=BB53_4 Depth=1
	v_add_nc_u32_e32 v3, s13, v3
	v_ashrrev_i32_e32 v4, 31, v3
	v_lshlrev_b64 v[8:9], 2, v[3:4]
	v_add_co_u32 v8, vcc_lo, s3, v8
	v_add_co_ci_u32_e64 v9, null, s4, v9, vcc_lo
	global_load_dword v1, v[8:9], off
	s_waitcnt vmcnt(0)
	v_cmp_class_f16_e64 s66, v1, 0x204
	s_mov_b32 s67, exec_lo
	s_and_b32 s66, s67, s66
	v_writelane_b32 v10, s67, 2
	s_mov_b32 exec_lo, s66
	s_cbranch_execz .LBB53_170
; %bb.93:                               ;   in Loop: Header=BB53_4 Depth=1
	v_cmp_class_f16_sdwa s66, v1, v6 src0_sel:WORD_1 src1_sel:DWORD
	s_mov_b32 s67, exec_lo
	s_and_b32 s66, s67, s66
	v_writelane_b32 v10, s67, 3
	s_mov_b32 exec_lo, s66
	s_cbranch_execz .LBB53_169
; %bb.94:                               ;   in Loop: Header=BB53_4 Depth=1
	v_add_nc_u32_e32 v3, s13, v3
	v_ashrrev_i32_e32 v4, 31, v3
	v_lshlrev_b64 v[8:9], 2, v[3:4]
	v_add_co_u32 v8, vcc_lo, s3, v8
	v_add_co_ci_u32_e64 v9, null, s4, v9, vcc_lo
	global_load_dword v1, v[8:9], off
	s_waitcnt vmcnt(0)
	v_cmp_class_f16_e64 s66, v1, 0x204
	s_mov_b32 s67, exec_lo
	s_and_b32 s66, s67, s66
	v_writelane_b32 v10, s67, 4
	s_mov_b32 exec_lo, s66
	s_cbranch_execz .LBB53_168
; %bb.95:                               ;   in Loop: Header=BB53_4 Depth=1
	v_cmp_class_f16_sdwa s67, v1, v6 src0_sel:WORD_1 src1_sel:DWORD
	s_mov_b32 s66, 0
	s_and_saveexec_b32 s65, s67
	s_cbranch_execz .LBB53_167
; %bb.96:                               ;   in Loop: Header=BB53_4 Depth=1
	v_add_nc_u32_e32 v3, s13, v3
	s_mov_b32 s67, 0
	v_ashrrev_i32_e32 v4, 31, v3
	v_lshlrev_b64 v[8:9], 2, v[3:4]
	v_add_co_u32 v8, vcc_lo, s3, v8
	v_add_co_ci_u32_e64 v9, null, s4, v9, vcc_lo
	global_load_dword v1, v[8:9], off
	s_waitcnt vmcnt(0)
	v_cmp_class_f16_e64 s68, v1, 0x204
	s_and_saveexec_b32 s66, s68
	s_cbranch_execz .LBB53_166
; %bb.97:                               ;   in Loop: Header=BB53_4 Depth=1
	v_cmp_class_f16_sdwa s69, v1, v6 src0_sel:WORD_1 src1_sel:DWORD
	s_mov_b32 s68, 0
	s_and_saveexec_b32 s67, s69
	s_cbranch_execz .LBB53_165
; %bb.98:                               ;   in Loop: Header=BB53_4 Depth=1
	v_add_nc_u32_e32 v3, s13, v3
	s_mov_b32 s69, 0
	v_ashrrev_i32_e32 v4, 31, v3
	v_lshlrev_b64 v[8:9], 2, v[3:4]
	v_add_co_u32 v8, vcc_lo, s3, v8
	v_add_co_ci_u32_e64 v9, null, s4, v9, vcc_lo
	global_load_dword v1, v[8:9], off
	s_waitcnt vmcnt(0)
	v_cmp_class_f16_e64 s70, v1, 0x204
	s_and_saveexec_b32 s68, s70
	s_cbranch_execz .LBB53_164
; %bb.99:                               ;   in Loop: Header=BB53_4 Depth=1
	v_cmp_class_f16_sdwa s71, v1, v6 src0_sel:WORD_1 src1_sel:DWORD
	s_mov_b32 s70, 0
	s_and_saveexec_b32 s69, s71
	s_cbranch_execz .LBB53_163
; %bb.100:                              ;   in Loop: Header=BB53_4 Depth=1
	v_add_nc_u32_e32 v3, s13, v3
	s_mov_b32 s71, 0
	v_ashrrev_i32_e32 v4, 31, v3
	v_lshlrev_b64 v[8:9], 2, v[3:4]
	v_add_co_u32 v8, vcc_lo, s3, v8
	v_add_co_ci_u32_e64 v9, null, s4, v9, vcc_lo
	global_load_dword v1, v[8:9], off
	s_waitcnt vmcnt(0)
	v_cmp_class_f16_e64 s72, v1, 0x204
	s_and_saveexec_b32 s70, s72
	s_cbranch_execz .LBB53_162
; %bb.101:                              ;   in Loop: Header=BB53_4 Depth=1
	v_cmp_class_f16_sdwa s73, v1, v6 src0_sel:WORD_1 src1_sel:DWORD
	s_mov_b32 s72, 0
	s_and_saveexec_b32 s71, s73
	s_cbranch_execz .LBB53_161
; %bb.102:                              ;   in Loop: Header=BB53_4 Depth=1
	v_add_nc_u32_e32 v3, s13, v3
	s_mov_b32 s73, 0
	v_ashrrev_i32_e32 v4, 31, v3
	v_lshlrev_b64 v[8:9], 2, v[3:4]
	v_add_co_u32 v8, vcc_lo, s3, v8
	v_add_co_ci_u32_e64 v9, null, s4, v9, vcc_lo
	global_load_dword v1, v[8:9], off
	s_waitcnt vmcnt(0)
	v_cmp_class_f16_e64 s74, v1, 0x204
	s_and_saveexec_b32 s72, s74
	s_cbranch_execz .LBB53_160
; %bb.103:                              ;   in Loop: Header=BB53_4 Depth=1
	;; [unrolled: 17-line block ×15, first 2 shown]
	v_cmp_class_f16_sdwa s104, v1, v6 src0_sel:WORD_1 src1_sel:DWORD
	s_mov_b32 vcc_lo, 0
	s_and_saveexec_b32 s99, s104
	s_cbranch_execz .LBB53_133
; %bb.130:                              ;   in Loop: Header=BB53_4 Depth=1
	v_add_nc_u32_e32 v3, s13, v3
	v_ashrrev_i32_e32 v4, 31, v3
	v_lshlrev_b64 v[3:4], 2, v[3:4]
	v_add_co_u32 v3, vcc_lo, s3, v3
	v_add_co_ci_u32_e64 v4, null, s4, v4, vcc_lo
	s_mov_b32 vcc_lo, 0
	global_load_dword v1, v[3:4], off
	s_waitcnt vmcnt(0)
	v_cmp_class_f16_e64 vcc_hi, v1, 0x204
	s_and_saveexec_b32 s104, vcc_hi
; %bb.131:                              ;   in Loop: Header=BB53_4 Depth=1
	v_cmp_class_f16_sdwa vcc_hi, v1, v6 src0_sel:WORD_1 src1_sel:DWORD
	s_and_b32 vcc_lo, vcc_hi, exec_lo
; %bb.132:                              ;   in Loop: Header=BB53_4 Depth=1
	s_or_b32 exec_lo, exec_lo, s104
	s_and_b32 vcc_lo, vcc_lo, exec_lo
.LBB53_133:                             ;   in Loop: Header=BB53_4 Depth=1
	s_or_b32 exec_lo, exec_lo, s99
	s_and_b32 s99, vcc_lo, exec_lo
.LBB53_134:                             ;   in Loop: Header=BB53_4 Depth=1
	s_or_b32 exec_lo, exec_lo, s98
	s_and_b32 s98, s99, exec_lo
.LBB53_135:                             ;   in Loop: Header=BB53_4 Depth=1
	s_or_b32 exec_lo, exec_lo, s97
	s_and_b32 s97, s98, exec_lo
.LBB53_136:                             ;   in Loop: Header=BB53_4 Depth=1
	s_or_b32 exec_lo, exec_lo, s96
	s_and_b32 s96, s97, exec_lo
.LBB53_137:                             ;   in Loop: Header=BB53_4 Depth=1
	s_or_b32 exec_lo, exec_lo, s95
	s_and_b32 s95, s96, exec_lo
.LBB53_138:                             ;   in Loop: Header=BB53_4 Depth=1
	s_or_b32 exec_lo, exec_lo, s94
	s_and_b32 s94, s95, exec_lo
.LBB53_139:                             ;   in Loop: Header=BB53_4 Depth=1
	s_or_b32 exec_lo, exec_lo, s93
	s_and_b32 s93, s94, exec_lo
.LBB53_140:                             ;   in Loop: Header=BB53_4 Depth=1
	s_or_b32 exec_lo, exec_lo, s92
	s_and_b32 s92, s93, exec_lo
.LBB53_141:                             ;   in Loop: Header=BB53_4 Depth=1
	s_or_b32 exec_lo, exec_lo, s91
	s_and_b32 s91, s92, exec_lo
.LBB53_142:                             ;   in Loop: Header=BB53_4 Depth=1
	s_or_b32 exec_lo, exec_lo, s90
	s_and_b32 s90, s91, exec_lo
.LBB53_143:                             ;   in Loop: Header=BB53_4 Depth=1
	s_or_b32 exec_lo, exec_lo, s89
	s_and_b32 s89, s90, exec_lo
.LBB53_144:                             ;   in Loop: Header=BB53_4 Depth=1
	s_or_b32 exec_lo, exec_lo, s88
	s_and_b32 s88, s89, exec_lo
.LBB53_145:                             ;   in Loop: Header=BB53_4 Depth=1
	s_or_b32 exec_lo, exec_lo, s87
	s_and_b32 s87, s88, exec_lo
.LBB53_146:                             ;   in Loop: Header=BB53_4 Depth=1
	s_or_b32 exec_lo, exec_lo, s86
	s_and_b32 s86, s87, exec_lo
.LBB53_147:                             ;   in Loop: Header=BB53_4 Depth=1
	s_or_b32 exec_lo, exec_lo, s85
	s_and_b32 s85, s86, exec_lo
.LBB53_148:                             ;   in Loop: Header=BB53_4 Depth=1
	s_or_b32 exec_lo, exec_lo, s84
	s_and_b32 s84, s85, exec_lo
.LBB53_149:                             ;   in Loop: Header=BB53_4 Depth=1
	s_or_b32 exec_lo, exec_lo, s83
	s_and_b32 s83, s84, exec_lo
.LBB53_150:                             ;   in Loop: Header=BB53_4 Depth=1
	s_or_b32 exec_lo, exec_lo, s82
	s_and_b32 s82, s83, exec_lo
.LBB53_151:                             ;   in Loop: Header=BB53_4 Depth=1
	s_or_b32 exec_lo, exec_lo, s81
	s_and_b32 s81, s82, exec_lo
.LBB53_152:                             ;   in Loop: Header=BB53_4 Depth=1
	s_or_b32 exec_lo, exec_lo, s80
	s_and_b32 s80, s81, exec_lo
.LBB53_153:                             ;   in Loop: Header=BB53_4 Depth=1
	s_or_b32 exec_lo, exec_lo, s79
	s_and_b32 s79, s80, exec_lo
.LBB53_154:                             ;   in Loop: Header=BB53_4 Depth=1
	s_or_b32 exec_lo, exec_lo, s78
	s_and_b32 s78, s79, exec_lo
.LBB53_155:                             ;   in Loop: Header=BB53_4 Depth=1
	s_or_b32 exec_lo, exec_lo, s77
	s_and_b32 s77, s78, exec_lo
.LBB53_156:                             ;   in Loop: Header=BB53_4 Depth=1
	s_or_b32 exec_lo, exec_lo, s76
	s_and_b32 s76, s77, exec_lo
.LBB53_157:                             ;   in Loop: Header=BB53_4 Depth=1
	s_or_b32 exec_lo, exec_lo, s75
	s_and_b32 s75, s76, exec_lo
.LBB53_158:                             ;   in Loop: Header=BB53_4 Depth=1
	s_or_b32 exec_lo, exec_lo, s74
	s_and_b32 s74, s75, exec_lo
.LBB53_159:                             ;   in Loop: Header=BB53_4 Depth=1
	s_or_b32 exec_lo, exec_lo, s73
	s_and_b32 s73, s74, exec_lo
.LBB53_160:                             ;   in Loop: Header=BB53_4 Depth=1
	s_or_b32 exec_lo, exec_lo, s72
	s_and_b32 s72, s73, exec_lo
.LBB53_161:                             ;   in Loop: Header=BB53_4 Depth=1
	s_or_b32 exec_lo, exec_lo, s71
	s_and_b32 s71, s72, exec_lo
.LBB53_162:                             ;   in Loop: Header=BB53_4 Depth=1
	s_or_b32 exec_lo, exec_lo, s70
	s_and_b32 s70, s71, exec_lo
.LBB53_163:                             ;   in Loop: Header=BB53_4 Depth=1
	s_or_b32 exec_lo, exec_lo, s69
	s_and_b32 s69, s70, exec_lo
.LBB53_164:                             ;   in Loop: Header=BB53_4 Depth=1
	s_or_b32 exec_lo, exec_lo, s68
	s_and_b32 s68, s69, exec_lo
.LBB53_165:                             ;   in Loop: Header=BB53_4 Depth=1
	s_or_b32 exec_lo, exec_lo, s67
	s_and_b32 s67, s68, exec_lo
.LBB53_166:                             ;   in Loop: Header=BB53_4 Depth=1
	s_or_b32 exec_lo, exec_lo, s66
	s_and_b32 s66, s67, exec_lo
.LBB53_167:                             ;   in Loop: Header=BB53_4 Depth=1
	s_or_b32 exec_lo, exec_lo, s65
	s_and_b32 s65, s66, exec_lo
.LBB53_168:                             ;   in Loop: Header=BB53_4 Depth=1
	v_readlane_b32 s66, v10, 4
	s_or_b32 exec_lo, exec_lo, s66
	s_and_b32 s65, s65, exec_lo
.LBB53_169:                             ;   in Loop: Header=BB53_4 Depth=1
	v_readlane_b32 s66, v10, 3
	s_or_b32 exec_lo, exec_lo, s66
	s_and_b32 s65, s65, exec_lo
.LBB53_170:                             ;   in Loop: Header=BB53_4 Depth=1
	v_readlane_b32 s66, v10, 2
	s_or_b32 exec_lo, exec_lo, s66
	s_and_b32 s65, s65, exec_lo
.LBB53_171:                             ;   in Loop: Header=BB53_4 Depth=1
	v_readlane_b32 s66, v10, 1
	s_or_b32 exec_lo, exec_lo, s66
	s_and_b32 s65, s65, exec_lo
.LBB53_172:                             ;   in Loop: Header=BB53_4 Depth=1
	v_readlane_b32 s66, v10, 0
	s_or_b32 exec_lo, exec_lo, s66
	s_and_b32 s65, s65, exec_lo
.LBB53_173:                             ;   in Loop: Header=BB53_4 Depth=1
	v_readlane_b32 s66, v11, 31
	s_or_b32 exec_lo, exec_lo, s66
	s_and_b32 s65, s65, exec_lo
.LBB53_174:                             ;   in Loop: Header=BB53_4 Depth=1
	v_readlane_b32 s66, v11, 30
	s_or_b32 exec_lo, exec_lo, s66
	s_and_b32 s65, s65, exec_lo
.LBB53_175:                             ;   in Loop: Header=BB53_4 Depth=1
	v_readlane_b32 s66, v11, 29
	s_or_b32 exec_lo, exec_lo, s66
	s_and_b32 s65, s65, exec_lo
.LBB53_176:                             ;   in Loop: Header=BB53_4 Depth=1
	v_readlane_b32 s66, v11, 28
	s_or_b32 exec_lo, exec_lo, s66
	s_and_b32 s65, s65, exec_lo
.LBB53_177:                             ;   in Loop: Header=BB53_4 Depth=1
	v_readlane_b32 s66, v11, 27
	s_or_b32 exec_lo, exec_lo, s66
	s_and_b32 s65, s65, exec_lo
.LBB53_178:                             ;   in Loop: Header=BB53_4 Depth=1
	v_readlane_b32 s66, v11, 26
	s_or_b32 exec_lo, exec_lo, s66
	s_and_b32 s65, s65, exec_lo
.LBB53_179:                             ;   in Loop: Header=BB53_4 Depth=1
	v_readlane_b32 s66, v11, 25
	s_or_b32 exec_lo, exec_lo, s66
	s_and_b32 s65, s65, exec_lo
.LBB53_180:                             ;   in Loop: Header=BB53_4 Depth=1
	v_readlane_b32 s66, v11, 24
	s_or_b32 exec_lo, exec_lo, s66
	s_and_b32 s65, s65, exec_lo
.LBB53_181:                             ;   in Loop: Header=BB53_4 Depth=1
	v_readlane_b32 s66, v11, 23
	s_or_b32 exec_lo, exec_lo, s66
	s_and_b32 s65, s65, exec_lo
.LBB53_182:                             ;   in Loop: Header=BB53_4 Depth=1
	v_readlane_b32 s66, v11, 22
	s_or_b32 exec_lo, exec_lo, s66
	s_and_b32 s65, s65, exec_lo
.LBB53_183:                             ;   in Loop: Header=BB53_4 Depth=1
	v_readlane_b32 s66, v11, 21
	s_or_b32 exec_lo, exec_lo, s66
	s_and_b32 s65, s65, exec_lo
.LBB53_184:                             ;   in Loop: Header=BB53_4 Depth=1
	v_readlane_b32 s66, v11, 20
	s_or_b32 exec_lo, exec_lo, s66
	s_and_b32 s65, s65, exec_lo
.LBB53_185:                             ;   in Loop: Header=BB53_4 Depth=1
	v_readlane_b32 s66, v11, 19
	s_or_b32 exec_lo, exec_lo, s66
	s_and_b32 s65, s65, exec_lo
.LBB53_186:                             ;   in Loop: Header=BB53_4 Depth=1
	v_readlane_b32 s66, v11, 18
	s_or_b32 exec_lo, exec_lo, s66
	s_and_b32 s65, s65, exec_lo
.LBB53_187:                             ;   in Loop: Header=BB53_4 Depth=1
	v_readlane_b32 s66, v11, 17
	s_or_b32 exec_lo, exec_lo, s66
	s_and_b32 s65, s65, exec_lo
.LBB53_188:                             ;   in Loop: Header=BB53_4 Depth=1
	v_readlane_b32 s66, v11, 16
	s_or_b32 exec_lo, exec_lo, s66
	s_and_b32 s65, s65, exec_lo
.LBB53_189:                             ;   in Loop: Header=BB53_4 Depth=1
	v_readlane_b32 s66, v11, 15
	s_or_b32 exec_lo, exec_lo, s66
	s_and_b32 s65, s65, exec_lo
.LBB53_190:                             ;   in Loop: Header=BB53_4 Depth=1
	v_readlane_b32 s66, v11, 14
	s_or_b32 exec_lo, exec_lo, s66
	s_and_b32 s65, s65, exec_lo
.LBB53_191:                             ;   in Loop: Header=BB53_4 Depth=1
	v_readlane_b32 s66, v11, 13
	s_or_b32 exec_lo, exec_lo, s66
	s_and_b32 s65, s65, exec_lo
.LBB53_192:                             ;   in Loop: Header=BB53_4 Depth=1
	v_readlane_b32 s66, v11, 12
	s_or_b32 exec_lo, exec_lo, s66
	s_and_b32 s65, s65, exec_lo
.LBB53_193:                             ;   in Loop: Header=BB53_4 Depth=1
	v_readlane_b32 s66, v11, 11
	s_or_b32 exec_lo, exec_lo, s66
	s_and_b32 s65, s65, exec_lo
.LBB53_194:                             ;   in Loop: Header=BB53_4 Depth=1
	v_readlane_b32 s66, v11, 10
	s_or_b32 exec_lo, exec_lo, s66
	s_and_b32 s65, s65, exec_lo
.LBB53_195:                             ;   in Loop: Header=BB53_4 Depth=1
	v_readlane_b32 s66, v11, 9
	s_or_b32 exec_lo, exec_lo, s66
	s_and_b32 s65, s65, exec_lo
.LBB53_196:                             ;   in Loop: Header=BB53_4 Depth=1
	v_readlane_b32 s66, v11, 8
	s_or_b32 exec_lo, exec_lo, s66
	s_and_b32 s65, s65, exec_lo
.LBB53_197:                             ;   in Loop: Header=BB53_4 Depth=1
	v_readlane_b32 s66, v11, 7
	s_or_b32 exec_lo, exec_lo, s66
	s_and_b32 s65, s65, exec_lo
.LBB53_198:                             ;   in Loop: Header=BB53_4 Depth=1
	v_readlane_b32 s66, v11, 6
	s_or_b32 exec_lo, exec_lo, s66
	s_and_b32 s65, s65, exec_lo
.LBB53_199:                             ;   in Loop: Header=BB53_4 Depth=1
	v_readlane_b32 s66, v11, 5
	s_or_b32 exec_lo, exec_lo, s66
	s_and_b32 s65, s65, exec_lo
.LBB53_200:                             ;   in Loop: Header=BB53_4 Depth=1
	v_readlane_b32 s66, v11, 4
	s_or_b32 exec_lo, exec_lo, s66
	s_and_b32 s65, s65, exec_lo
.LBB53_201:                             ;   in Loop: Header=BB53_4 Depth=1
	v_readlane_b32 s66, v11, 3
	s_or_b32 exec_lo, exec_lo, s66
	s_and_b32 s65, s65, exec_lo
.LBB53_202:                             ;   in Loop: Header=BB53_4 Depth=1
	v_readlane_b32 s66, v11, 2
	s_or_b32 exec_lo, exec_lo, s66
	s_and_b32 s65, s65, exec_lo
.LBB53_203:                             ;   in Loop: Header=BB53_4 Depth=1
	v_readlane_b32 s66, v11, 1
	s_or_b32 exec_lo, exec_lo, s66
	s_and_b32 s65, s65, exec_lo
.LBB53_204:                             ;   in Loop: Header=BB53_4 Depth=1
	v_readlane_b32 s66, v11, 0
	s_or_b32 exec_lo, exec_lo, s66
	s_and_b32 s65, s65, exec_lo
.LBB53_205:                             ;   in Loop: Header=BB53_4 Depth=1
	s_or_b32 exec_lo, exec_lo, s64
	s_and_b32 s64, s65, exec_lo
.LBB53_206:                             ;   in Loop: Header=BB53_4 Depth=1
	s_or_b32 exec_lo, exec_lo, s63
	s_and_b32 s63, s64, exec_lo
.LBB53_207:                             ;   in Loop: Header=BB53_4 Depth=1
	s_or_b32 exec_lo, exec_lo, s62
	s_and_b32 s62, s63, exec_lo
.LBB53_208:                             ;   in Loop: Header=BB53_4 Depth=1
	s_or_b32 exec_lo, exec_lo, s61
	s_and_b32 s61, s62, exec_lo
.LBB53_209:                             ;   in Loop: Header=BB53_4 Depth=1
	s_or_b32 exec_lo, exec_lo, s60
	s_and_b32 s60, s61, exec_lo
.LBB53_210:                             ;   in Loop: Header=BB53_4 Depth=1
	s_or_b32 exec_lo, exec_lo, s59
	s_and_b32 s59, s60, exec_lo
.LBB53_211:                             ;   in Loop: Header=BB53_4 Depth=1
	s_or_b32 exec_lo, exec_lo, s58
	s_and_b32 s58, s59, exec_lo
.LBB53_212:                             ;   in Loop: Header=BB53_4 Depth=1
	s_or_b32 exec_lo, exec_lo, s57
	s_and_b32 s57, s58, exec_lo
.LBB53_213:                             ;   in Loop: Header=BB53_4 Depth=1
	s_or_b32 exec_lo, exec_lo, s56
	s_and_b32 s56, s57, exec_lo
.LBB53_214:                             ;   in Loop: Header=BB53_4 Depth=1
	s_or_b32 exec_lo, exec_lo, s55
	s_and_b32 s55, s56, exec_lo
.LBB53_215:                             ;   in Loop: Header=BB53_4 Depth=1
	s_or_b32 exec_lo, exec_lo, s54
	s_and_b32 s54, s55, exec_lo
.LBB53_216:                             ;   in Loop: Header=BB53_4 Depth=1
	s_or_b32 exec_lo, exec_lo, s53
	s_and_b32 s53, s54, exec_lo
.LBB53_217:                             ;   in Loop: Header=BB53_4 Depth=1
	s_or_b32 exec_lo, exec_lo, s52
	s_and_b32 s52, s53, exec_lo
.LBB53_218:                             ;   in Loop: Header=BB53_4 Depth=1
	s_or_b32 exec_lo, exec_lo, s51
	s_and_b32 s51, s52, exec_lo
.LBB53_219:                             ;   in Loop: Header=BB53_4 Depth=1
	s_or_b32 exec_lo, exec_lo, s50
	s_and_b32 s50, s51, exec_lo
.LBB53_220:                             ;   in Loop: Header=BB53_4 Depth=1
	s_or_b32 exec_lo, exec_lo, s49
	s_and_b32 s49, s50, exec_lo
.LBB53_221:                             ;   in Loop: Header=BB53_4 Depth=1
	s_or_b32 exec_lo, exec_lo, s48
	s_and_b32 s48, s49, exec_lo
.LBB53_222:                             ;   in Loop: Header=BB53_4 Depth=1
	s_or_b32 exec_lo, exec_lo, s47
	s_and_b32 s47, s48, exec_lo
.LBB53_223:                             ;   in Loop: Header=BB53_4 Depth=1
	s_or_b32 exec_lo, exec_lo, s46
	s_and_b32 s46, s47, exec_lo
.LBB53_224:                             ;   in Loop: Header=BB53_4 Depth=1
	s_or_b32 exec_lo, exec_lo, s45
	s_and_b32 s45, s46, exec_lo
.LBB53_225:                             ;   in Loop: Header=BB53_4 Depth=1
	s_or_b32 exec_lo, exec_lo, s44
	s_and_b32 s44, s45, exec_lo
.LBB53_226:                             ;   in Loop: Header=BB53_4 Depth=1
	s_or_b32 exec_lo, exec_lo, s43
	s_and_b32 s43, s44, exec_lo
.LBB53_227:                             ;   in Loop: Header=BB53_4 Depth=1
	s_or_b32 exec_lo, exec_lo, s42
	s_and_b32 s42, s43, exec_lo
.LBB53_228:                             ;   in Loop: Header=BB53_4 Depth=1
	s_or_b32 exec_lo, exec_lo, s41
	s_and_b32 s41, s42, exec_lo
.LBB53_229:                             ;   in Loop: Header=BB53_4 Depth=1
	s_or_b32 exec_lo, exec_lo, s40
	s_and_b32 s40, s41, exec_lo
.LBB53_230:                             ;   in Loop: Header=BB53_4 Depth=1
	s_or_b32 exec_lo, exec_lo, s39
	s_and_b32 s39, s40, exec_lo
.LBB53_231:                             ;   in Loop: Header=BB53_4 Depth=1
	s_or_b32 exec_lo, exec_lo, s38
	s_and_b32 s38, s39, exec_lo
.LBB53_232:                             ;   in Loop: Header=BB53_4 Depth=1
	s_or_b32 exec_lo, exec_lo, s37
	s_and_b32 s37, s38, exec_lo
.LBB53_233:                             ;   in Loop: Header=BB53_4 Depth=1
	s_or_b32 exec_lo, exec_lo, s36
	s_and_b32 s36, s37, exec_lo
.LBB53_234:                             ;   in Loop: Header=BB53_4 Depth=1
	s_or_b32 exec_lo, exec_lo, s35
	s_and_b32 s35, s36, exec_lo
.LBB53_235:                             ;   in Loop: Header=BB53_4 Depth=1
	s_or_b32 exec_lo, exec_lo, s34
	s_and_b32 s34, s35, exec_lo
.LBB53_236:                             ;   in Loop: Header=BB53_4 Depth=1
	s_or_b32 exec_lo, exec_lo, s33
	s_and_b32 s33, s34, exec_lo
.LBB53_237:                             ;   in Loop: Header=BB53_4 Depth=1
	s_or_b32 exec_lo, exec_lo, s31
	s_and_b32 s31, s33, exec_lo
.LBB53_238:                             ;   in Loop: Header=BB53_4 Depth=1
	s_or_b32 exec_lo, exec_lo, s30
	s_and_b32 s30, s31, exec_lo
.LBB53_239:                             ;   in Loop: Header=BB53_4 Depth=1
	s_or_b32 exec_lo, exec_lo, s29
	s_and_b32 s29, s30, exec_lo
.LBB53_240:                             ;   in Loop: Header=BB53_4 Depth=1
	s_or_b32 exec_lo, exec_lo, s28
	s_and_b32 s28, s29, exec_lo
.LBB53_241:                             ;   in Loop: Header=BB53_4 Depth=1
	s_or_b32 exec_lo, exec_lo, s27
	s_and_b32 s27, s28, exec_lo
.LBB53_242:                             ;   in Loop: Header=BB53_4 Depth=1
	s_or_b32 exec_lo, exec_lo, s26
	s_and_b32 s26, s27, exec_lo
.LBB53_243:                             ;   in Loop: Header=BB53_4 Depth=1
	s_or_b32 exec_lo, exec_lo, s25
	s_and_b32 s25, s26, exec_lo
.LBB53_244:                             ;   in Loop: Header=BB53_4 Depth=1
	s_or_b32 exec_lo, exec_lo, s24
	s_and_b32 s24, s25, exec_lo
.LBB53_245:                             ;   in Loop: Header=BB53_4 Depth=1
	s_or_b32 exec_lo, exec_lo, s23
	s_and_b32 s23, s24, exec_lo
.LBB53_246:                             ;   in Loop: Header=BB53_4 Depth=1
	s_or_b32 exec_lo, exec_lo, s22
	s_and_b32 s22, s23, exec_lo
.LBB53_247:                             ;   in Loop: Header=BB53_4 Depth=1
	s_or_b32 exec_lo, exec_lo, s21
	s_and_b32 s21, s22, exec_lo
.LBB53_248:                             ;   in Loop: Header=BB53_4 Depth=1
	s_or_b32 exec_lo, exec_lo, s20
	s_and_b32 s20, s21, exec_lo
.LBB53_249:                             ;   in Loop: Header=BB53_4 Depth=1
	s_or_b32 exec_lo, exec_lo, s19
	s_and_b32 s19, s20, exec_lo
.LBB53_250:                             ;   in Loop: Header=BB53_4 Depth=1
	s_or_b32 exec_lo, exec_lo, s18
	s_and_b32 s18, s19, exec_lo
.LBB53_251:                             ;   in Loop: Header=BB53_4 Depth=1
	s_or_b32 exec_lo, exec_lo, s17
	s_and_b32 s17, s18, exec_lo
.LBB53_252:                             ;   in Loop: Header=BB53_4 Depth=1
	s_or_b32 exec_lo, exec_lo, s16
	s_and_b32 s16, s17, exec_lo
.LBB53_253:                             ;   in Loop: Header=BB53_4 Depth=1
	s_or_b32 exec_lo, exec_lo, s15
	s_and_b32 s15, s16, exec_lo
.LBB53_254:                             ;   in Loop: Header=BB53_4 Depth=1
	s_or_b32 exec_lo, exec_lo, s14
	s_and_b32 s14, s15, exec_lo
.LBB53_255:                             ;   in Loop: Header=BB53_4 Depth=1
	s_or_b32 exec_lo, exec_lo, s12
	s_and_b32 s12, s14, exec_lo
.LBB53_256:                             ;   in Loop: Header=BB53_4 Depth=1
	s_or_b32 exec_lo, exec_lo, s9
	s_and_b32 s9, s12, exec_lo
.LBB53_257:                             ;   in Loop: Header=BB53_4 Depth=1
	s_or_b32 exec_lo, exec_lo, s8
	v_cndmask_b32_e64 v1, 0, 1, s9
	s_mov_b32 s12, exec_lo
	v_cmp_ne_u32_e32 vcc_lo, 0, v1
	s_and_saveexec_b32 s8, s0
	s_cbranch_execz .LBB53_3
; %bb.258:                              ;   in Loop: Header=BB53_4 Depth=1
	s_cmp_eq_u32 vcc_lo, s12
	s_cselect_b32 s9, -1, 0
	v_cndmask_b32_e64 v1, 0, 1, s9
	ds_write_b32 v5, v1
	s_branch .LBB53_3
.LBB53_259:                             ;   in Loop: Header=BB53_4 Depth=1
	s_cbranch_execz .LBB53_4
.LBB53_260:
	s_mov_b32 s0, exec_lo
	v_cmpx_eq_u32_e32 0, v0
	s_cbranch_execz .LBB53_262
; %bb.261:
	s_mul_i32 s0, s1, s7
	v_mov_b32_e32 v0, 0
	s_add_i32 s0, s0, s6
	v_mov_b32_e32 v1, s2
	s_ashr_i32 s1, s0, 31
	s_lshl_b64 s[0:1], s[0:1], 2
	s_add_u32 s0, s10, s0
	s_addc_u32 s1, s11, s1
	global_store_dword v0, v1, s[0:1]
.LBB53_262:
	s_endpgm
	.section	.rodata,"a",@progbits
	.p2align	6, 0x0
	.amdhsa_kernel _ZL25flash_attn_mask_to_KV_maxILi64EEvPK7__half2Piiii
		.amdhsa_group_segment_fixed_size 128
		.amdhsa_private_segment_fixed_size 0
		.amdhsa_kernarg_size 288
		.amdhsa_user_sgpr_count 6
		.amdhsa_user_sgpr_private_segment_buffer 1
		.amdhsa_user_sgpr_dispatch_ptr 0
		.amdhsa_user_sgpr_queue_ptr 0
		.amdhsa_user_sgpr_kernarg_segment_ptr 1
		.amdhsa_user_sgpr_dispatch_id 0
		.amdhsa_user_sgpr_flat_scratch_init 0
		.amdhsa_user_sgpr_private_segment_size 0
		.amdhsa_wavefront_size32 1
		.amdhsa_uses_dynamic_stack 0
		.amdhsa_system_sgpr_private_segment_wavefront_offset 0
		.amdhsa_system_sgpr_workgroup_id_x 1
		.amdhsa_system_sgpr_workgroup_id_y 1
		.amdhsa_system_sgpr_workgroup_id_z 0
		.amdhsa_system_sgpr_workgroup_info 0
		.amdhsa_system_vgpr_workitem_id 0
		.amdhsa_next_free_vgpr 12
		.amdhsa_next_free_sgpr 105
		.amdhsa_reserve_vcc 1
		.amdhsa_reserve_flat_scratch 0
		.amdhsa_float_round_mode_32 0
		.amdhsa_float_round_mode_16_64 0
		.amdhsa_float_denorm_mode_32 3
		.amdhsa_float_denorm_mode_16_64 3
		.amdhsa_dx10_clamp 1
		.amdhsa_ieee_mode 1
		.amdhsa_fp16_overflow 0
		.amdhsa_workgroup_processor_mode 1
		.amdhsa_memory_ordered 1
		.amdhsa_forward_progress 1
		.amdhsa_shared_vgpr_count 0
		.amdhsa_exception_fp_ieee_invalid_op 0
		.amdhsa_exception_fp_denorm_src 0
		.amdhsa_exception_fp_ieee_div_zero 0
		.amdhsa_exception_fp_ieee_overflow 0
		.amdhsa_exception_fp_ieee_underflow 0
		.amdhsa_exception_fp_ieee_inexact 0
		.amdhsa_exception_int_div_zero 0
	.end_amdhsa_kernel
	.section	.text._ZL25flash_attn_mask_to_KV_maxILi64EEvPK7__half2Piiii,"axG",@progbits,_ZL25flash_attn_mask_to_KV_maxILi64EEvPK7__half2Piiii,comdat
.Lfunc_end53:
	.size	_ZL25flash_attn_mask_to_KV_maxILi64EEvPK7__half2Piiii, .Lfunc_end53-_ZL25flash_attn_mask_to_KV_maxILi64EEvPK7__half2Piiii
                                        ; -- End function
	.set _ZL25flash_attn_mask_to_KV_maxILi64EEvPK7__half2Piiii.num_vgpr, 12
	.set _ZL25flash_attn_mask_to_KV_maxILi64EEvPK7__half2Piiii.num_agpr, 0
	.set _ZL25flash_attn_mask_to_KV_maxILi64EEvPK7__half2Piiii.numbered_sgpr, 105
	.set _ZL25flash_attn_mask_to_KV_maxILi64EEvPK7__half2Piiii.num_named_barrier, 0
	.set _ZL25flash_attn_mask_to_KV_maxILi64EEvPK7__half2Piiii.private_seg_size, 0
	.set _ZL25flash_attn_mask_to_KV_maxILi64EEvPK7__half2Piiii.uses_vcc, 1
	.set _ZL25flash_attn_mask_to_KV_maxILi64EEvPK7__half2Piiii.uses_flat_scratch, 0
	.set _ZL25flash_attn_mask_to_KV_maxILi64EEvPK7__half2Piiii.has_dyn_sized_stack, 0
	.set _ZL25flash_attn_mask_to_KV_maxILi64EEvPK7__half2Piiii.has_recursion, 0
	.set _ZL25flash_attn_mask_to_KV_maxILi64EEvPK7__half2Piiii.has_indirect_call, 0
	.section	.AMDGPU.csdata,"",@progbits
; Kernel info:
; codeLenInByte = 7692
; TotalNumSgprs: 107
; NumVgprs: 12
; ScratchSize: 0
; MemoryBound: 0
; FloatMode: 240
; IeeeMode: 1
; LDSByteSize: 128 bytes/workgroup (compile time only)
; SGPRBlocks: 0
; VGPRBlocks: 1
; NumSGPRsForWavesPerEU: 107
; NumVGPRsForWavesPerEU: 12
; Occupancy: 16
; WaveLimiterHint : 0
; COMPUTE_PGM_RSRC2:SCRATCH_EN: 0
; COMPUTE_PGM_RSRC2:USER_SGPR: 6
; COMPUTE_PGM_RSRC2:TRAP_HANDLER: 0
; COMPUTE_PGM_RSRC2:TGID_X_EN: 1
; COMPUTE_PGM_RSRC2:TGID_Y_EN: 1
; COMPUTE_PGM_RSRC2:TGID_Z_EN: 0
; COMPUTE_PGM_RSRC2:TIDIG_COMP_CNT: 0
	.section	.text._ZL33flash_attn_stream_k_fixup_uniformILi72ELi64ELi1EEvPfPK15HIP_vector_typeIfLj2EEiiiiiiS1_IjLj3EES5_S5_,"axG",@progbits,_ZL33flash_attn_stream_k_fixup_uniformILi72ELi64ELi1EEvPfPK15HIP_vector_typeIfLj2EEiiiiiiS1_IjLj3EES5_S5_,comdat
	.globl	_ZL33flash_attn_stream_k_fixup_uniformILi72ELi64ELi1EEvPfPK15HIP_vector_typeIfLj2EEiiiiiiS1_IjLj3EES5_S5_ ; -- Begin function _ZL33flash_attn_stream_k_fixup_uniformILi72ELi64ELi1EEvPfPK15HIP_vector_typeIfLj2EEiiiiiiS1_IjLj3EES5_S5_
	.p2align	8
	.type	_ZL33flash_attn_stream_k_fixup_uniformILi72ELi64ELi1EEvPfPK15HIP_vector_typeIfLj2EEiiiiiiS1_IjLj3EES5_S5_,@function
_ZL33flash_attn_stream_k_fixup_uniformILi72ELi64ELi1EEvPfPK15HIP_vector_typeIfLj2EEiiiiiiS1_IjLj3EES5_S5_: ; @_ZL33flash_attn_stream_k_fixup_uniformILi72ELi64ELi1EEvPfPK15HIP_vector_typeIfLj2EEiiiiiiS1_IjLj3EES5_S5_
; %bb.0:
	s_clause 0x2
	s_load_dwordx8 s[12:19], s[4:5], 0x1c
	s_load_dwordx4 s[20:23], s[4:5], 0x3c
	s_load_dwordx2 s[10:11], s[4:5], 0x10
	s_waitcnt lgkmcnt(0)
	s_mul_hi_u32 s0, s15, s6
	s_add_i32 s0, s6, s0
	s_lshr_b32 s0, s0, s16
	s_mul_i32 s1, s0, s17
	s_sub_i32 s1, s6, s1
	s_mul_hi_u32 s2, s1, s18
	s_add_i32 s2, s1, s2
	s_lshr_b32 s9, s2, s19
	s_mul_i32 s2, s9, s20
	s_sub_i32 s1, s1, s2
	;; [unrolled: 5-line block ×3, first 2 shown]
	s_lshl_b32 s1, s15, 6
	s_add_i32 s1, s1, s7
	s_cmp_lt_i32 s1, s10
	s_cselect_b32 s1, -1, 0
	s_add_i32 s16, s16, s8
	s_cmp_lt_i32 s16, s13
	s_cselect_b32 s2, -1, 0
	s_and_b32 s1, s1, s2
	s_andn2_b32 vcc_lo, exec_lo, s1
	s_cbranch_vccnz .LBB54_6
; %bb.1:
	s_mul_i32 s10, s0, s10
	s_load_dwordx4 s[0:3], s[4:5], 0x0
	s_add_i32 s4, s10, s7
	s_mul_i32 s9, s9, s13
	s_mul_i32 s4, s4, s11
	s_add_i32 s5, s16, s9
	s_mul_i32 s9, s11, s15
	s_add_i32 s4, s5, s4
	s_mulk_i32 s9, 0x1200
	s_mulk_i32 s4, 0x48
	s_add_i32 s8, s7, s8
	v_add3_u32 v1, s4, s9, v0
	s_mul_i32 s4, s14, s6
	s_add_i32 s9, s4, s14
	v_ashrrev_i32_e32 v2, 31, v1
	v_lshlrev_b64 v[1:2], 2, v[1:2]
	s_waitcnt lgkmcnt(0)
	v_add_co_u32 v1, vcc_lo, s0, v1
	v_add_co_ci_u32_e64 v2, null, s1, v2, vcc_lo
	s_lshl_b32 s0, s9, 6
	s_add_i32 s0, s8, s0
	global_load_dword v5, v[1:2], off
	s_sub_i32 s0, s0, 64
	s_ashr_i32 s1, s0, 31
	s_lshl_b64 s[0:1], s[0:1], 3
	s_add_u32 s0, s2, s0
	s_addc_u32 s1, s3, s1
	s_add_i32 s5, s9, -2
	s_load_dword s10, s[0:1], 0x4
	s_cmp_lt_i32 s5, s4
	s_cbranch_scc1 .LBB54_4
; %bb.2:
	s_load_dword s11, s[0:1], 0x0
	s_lshl_b32 s0, s12, 8
	s_waitcnt lgkmcnt(0)
	v_mov_b32_e32 v6, s10
	s_ashr_i32 s1, s0, 31
	s_lshl_b64 s[0:1], s[0:1], 2
	s_add_u32 s5, s2, s0
	s_addc_u32 s7, s3, s1
	s_add_i32 s6, s6, 1
	s_mul_i32 s1, s8, 0x48
	s_mul_i32 s0, s14, s6
	s_lshl_b32 s6, s0, 6
	s_mulk_i32 s0, 0x1200
	s_add_i32 s6, s8, s6
	s_add_i32 s1, s1, s0
	s_lshl_b32 s0, s12, 6
	v_add3_u32 v3, s1, v0, 0xffffdc00
	s_add_i32 s0, s6, s0
	v_mov_b32_e32 v0, s11
	s_add_i32 s6, s9, -1
	s_addk_i32 s0, 0xff80
.LBB54_3:                               ; =>This Inner Loop Header: Depth=1
	v_ashrrev_i32_e32 v4, 31, v3
	s_ashr_i32 s1, s0, 31
	s_lshl_b64 s[8:9], s[0:1], 3
	s_add_u32 s8, s2, s8
	v_lshlrev_b64 v[7:8], 2, v[3:4]
	s_addc_u32 s9, s3, s9
	v_add_nc_u32_e32 v3, 0xffffee00, v3
	s_add_i32 s6, s6, -1
	s_sub_i32 s0, s0, 64
	s_cmp_le_i32 s6, s4
	v_add_co_u32 v7, vcc_lo, s5, v7
	v_add_co_ci_u32_e64 v8, null, s7, v8, vcc_lo
	s_load_dwordx2 s[8:9], s[8:9], 0x0
	global_load_dword v4, v[7:8], off
	v_max_f32_e32 v7, v0, v0
	s_waitcnt lgkmcnt(0)
	v_max_f32_e64 v8, s8, s8
	v_max_f32_e32 v7, v7, v8
	v_sub_f32_e32 v8, s8, v7
	v_sub_f32_e32 v0, v0, v7
	v_mul_f32_e32 v9, 0x3fb8aa3b, v8
	v_mul_f32_e32 v12, 0x3fb8aa3b, v0
	v_cmp_ngt_f32_e32 vcc_lo, 0xc2ce8ed0, v8
	v_fma_f32 v10, 0x3fb8aa3b, v8, -v9
	v_rndne_f32_e32 v11, v9
	v_fma_f32 v13, 0x3fb8aa3b, v0, -v12
	v_rndne_f32_e32 v14, v12
	v_fmac_f32_e32 v10, 0x32a5705f, v8
	v_sub_f32_e32 v9, v9, v11
	v_fmac_f32_e32 v13, 0x32a5705f, v0
	v_cvt_i32_f32_e32 v11, v11
	v_add_f32_e32 v9, v9, v10
	v_sub_f32_e32 v10, v12, v14
	v_exp_f32_e32 v9, v9
	v_add_f32_e32 v10, v10, v13
	v_exp_f32_e32 v10, v10
	v_ldexp_f32 v9, v9, v11
	v_cvt_i32_f32_e32 v11, v14
	v_cndmask_b32_e32 v9, 0, v9, vcc_lo
	v_cmp_nlt_f32_e32 vcc_lo, 0x42b17218, v8
	v_ldexp_f32 v10, v10, v11
	v_mov_b32_e32 v11, v6
	v_cndmask_b32_e32 v9, 0x7f800000, v9, vcc_lo
	v_cmp_ngt_f32_e32 vcc_lo, 0xc2ce8ed0, v0
	v_cndmask_b32_e32 v10, 0, v10, vcc_lo
	v_cmp_le_f32_e32 vcc_lo, 0xc1a00000, v8
	v_cndmask_b32_e32 v8, 0, v9, vcc_lo
	v_cmp_nlt_f32_e32 vcc_lo, 0x42b17218, v0
	s_waitcnt vmcnt(1)
	v_mov_b32_e32 v9, v5
	v_cndmask_b32_e32 v5, 0x7f800000, v10, vcc_lo
	v_mul_f32_e32 v10, s9, v8
	v_cmp_le_f32_e32 vcc_lo, 0xc1a00000, v0
	v_mov_b32_e32 v0, v7
	v_mov_b32_e32 v6, v10
	v_cndmask_b32_e32 v12, 0, v5, vcc_lo
	v_fmac_f32_e32 v6, v11, v12
	s_waitcnt vmcnt(0)
	v_mul_f32_e32 v5, v4, v8
	v_fmac_f32_e32 v5, v9, v12
	s_cbranch_scc0 .LBB54_3
	s_branch .LBB54_5
.LBB54_4:
	s_waitcnt lgkmcnt(0)
	v_mov_b32_e32 v6, s10
.LBB54_5:
	s_waitcnt vmcnt(0)
	v_div_scale_f32 v0, null, v6, v6, v5
	v_rcp_f32_e32 v3, v0
	v_fma_f32 v4, -v0, v3, 1.0
	v_fmac_f32_e32 v3, v4, v3
	v_div_scale_f32 v4, vcc_lo, v5, v6, v5
	v_mul_f32_e32 v7, v4, v3
	v_fma_f32 v8, -v0, v7, v4
	v_fmac_f32_e32 v7, v8, v3
	v_fma_f32 v0, -v0, v7, v4
	v_div_fmas_f32 v0, v0, v3, v7
	v_div_fixup_f32 v0, v0, v6, v5
	global_store_dword v[1:2], v0, off
.LBB54_6:
	s_endpgm
	.section	.rodata,"a",@progbits
	.p2align	6, 0x0
	.amdhsa_kernel _ZL33flash_attn_stream_k_fixup_uniformILi72ELi64ELi1EEvPfPK15HIP_vector_typeIfLj2EEiiiiiiS1_IjLj3EES5_S5_
		.amdhsa_group_segment_fixed_size 0
		.amdhsa_private_segment_fixed_size 0
		.amdhsa_kernarg_size 76
		.amdhsa_user_sgpr_count 6
		.amdhsa_user_sgpr_private_segment_buffer 1
		.amdhsa_user_sgpr_dispatch_ptr 0
		.amdhsa_user_sgpr_queue_ptr 0
		.amdhsa_user_sgpr_kernarg_segment_ptr 1
		.amdhsa_user_sgpr_dispatch_id 0
		.amdhsa_user_sgpr_flat_scratch_init 0
		.amdhsa_user_sgpr_private_segment_size 0
		.amdhsa_wavefront_size32 1
		.amdhsa_uses_dynamic_stack 0
		.amdhsa_system_sgpr_private_segment_wavefront_offset 0
		.amdhsa_system_sgpr_workgroup_id_x 1
		.amdhsa_system_sgpr_workgroup_id_y 1
		.amdhsa_system_sgpr_workgroup_id_z 1
		.amdhsa_system_sgpr_workgroup_info 0
		.amdhsa_system_vgpr_workitem_id 0
		.amdhsa_next_free_vgpr 15
		.amdhsa_next_free_sgpr 24
		.amdhsa_reserve_vcc 1
		.amdhsa_reserve_flat_scratch 0
		.amdhsa_float_round_mode_32 0
		.amdhsa_float_round_mode_16_64 0
		.amdhsa_float_denorm_mode_32 3
		.amdhsa_float_denorm_mode_16_64 3
		.amdhsa_dx10_clamp 1
		.amdhsa_ieee_mode 1
		.amdhsa_fp16_overflow 0
		.amdhsa_workgroup_processor_mode 1
		.amdhsa_memory_ordered 1
		.amdhsa_forward_progress 1
		.amdhsa_shared_vgpr_count 0
		.amdhsa_exception_fp_ieee_invalid_op 0
		.amdhsa_exception_fp_denorm_src 0
		.amdhsa_exception_fp_ieee_div_zero 0
		.amdhsa_exception_fp_ieee_overflow 0
		.amdhsa_exception_fp_ieee_underflow 0
		.amdhsa_exception_fp_ieee_inexact 0
		.amdhsa_exception_int_div_zero 0
	.end_amdhsa_kernel
	.section	.text._ZL33flash_attn_stream_k_fixup_uniformILi72ELi64ELi1EEvPfPK15HIP_vector_typeIfLj2EEiiiiiiS1_IjLj3EES5_S5_,"axG",@progbits,_ZL33flash_attn_stream_k_fixup_uniformILi72ELi64ELi1EEvPfPK15HIP_vector_typeIfLj2EEiiiiiiS1_IjLj3EES5_S5_,comdat
.Lfunc_end54:
	.size	_ZL33flash_attn_stream_k_fixup_uniformILi72ELi64ELi1EEvPfPK15HIP_vector_typeIfLj2EEiiiiiiS1_IjLj3EES5_S5_, .Lfunc_end54-_ZL33flash_attn_stream_k_fixup_uniformILi72ELi64ELi1EEvPfPK15HIP_vector_typeIfLj2EEiiiiiiS1_IjLj3EES5_S5_
                                        ; -- End function
	.set _ZL33flash_attn_stream_k_fixup_uniformILi72ELi64ELi1EEvPfPK15HIP_vector_typeIfLj2EEiiiiiiS1_IjLj3EES5_S5_.num_vgpr, 15
	.set _ZL33flash_attn_stream_k_fixup_uniformILi72ELi64ELi1EEvPfPK15HIP_vector_typeIfLj2EEiiiiiiS1_IjLj3EES5_S5_.num_agpr, 0
	.set _ZL33flash_attn_stream_k_fixup_uniformILi72ELi64ELi1EEvPfPK15HIP_vector_typeIfLj2EEiiiiiiS1_IjLj3EES5_S5_.numbered_sgpr, 24
	.set _ZL33flash_attn_stream_k_fixup_uniformILi72ELi64ELi1EEvPfPK15HIP_vector_typeIfLj2EEiiiiiiS1_IjLj3EES5_S5_.num_named_barrier, 0
	.set _ZL33flash_attn_stream_k_fixup_uniformILi72ELi64ELi1EEvPfPK15HIP_vector_typeIfLj2EEiiiiiiS1_IjLj3EES5_S5_.private_seg_size, 0
	.set _ZL33flash_attn_stream_k_fixup_uniformILi72ELi64ELi1EEvPfPK15HIP_vector_typeIfLj2EEiiiiiiS1_IjLj3EES5_S5_.uses_vcc, 1
	.set _ZL33flash_attn_stream_k_fixup_uniformILi72ELi64ELi1EEvPfPK15HIP_vector_typeIfLj2EEiiiiiiS1_IjLj3EES5_S5_.uses_flat_scratch, 0
	.set _ZL33flash_attn_stream_k_fixup_uniformILi72ELi64ELi1EEvPfPK15HIP_vector_typeIfLj2EEiiiiiiS1_IjLj3EES5_S5_.has_dyn_sized_stack, 0
	.set _ZL33flash_attn_stream_k_fixup_uniformILi72ELi64ELi1EEvPfPK15HIP_vector_typeIfLj2EEiiiiiiS1_IjLj3EES5_S5_.has_recursion, 0
	.set _ZL33flash_attn_stream_k_fixup_uniformILi72ELi64ELi1EEvPfPK15HIP_vector_typeIfLj2EEiiiiiiS1_IjLj3EES5_S5_.has_indirect_call, 0
	.section	.AMDGPU.csdata,"",@progbits
; Kernel info:
; codeLenInByte = 828
; TotalNumSgprs: 26
; NumVgprs: 15
; ScratchSize: 0
; MemoryBound: 0
; FloatMode: 240
; IeeeMode: 1
; LDSByteSize: 0 bytes/workgroup (compile time only)
; SGPRBlocks: 0
; VGPRBlocks: 1
; NumSGPRsForWavesPerEU: 26
; NumVGPRsForWavesPerEU: 15
; Occupancy: 16
; WaveLimiterHint : 0
; COMPUTE_PGM_RSRC2:SCRATCH_EN: 0
; COMPUTE_PGM_RSRC2:USER_SGPR: 6
; COMPUTE_PGM_RSRC2:TRAP_HANDLER: 0
; COMPUTE_PGM_RSRC2:TGID_X_EN: 1
; COMPUTE_PGM_RSRC2:TGID_Y_EN: 1
; COMPUTE_PGM_RSRC2:TGID_Z_EN: 1
; COMPUTE_PGM_RSRC2:TIDIG_COMP_CNT: 0
	.section	.text._ZL33flash_attn_stream_k_fixup_generalILi72ELi64ELi1EEvPfPK15HIP_vector_typeIfLj2EEiiiiS1_IjLj3EES5_S5_S5_,"axG",@progbits,_ZL33flash_attn_stream_k_fixup_generalILi72ELi64ELi1EEvPfPK15HIP_vector_typeIfLj2EEiiiiS1_IjLj3EES5_S5_S5_,comdat
	.globl	_ZL33flash_attn_stream_k_fixup_generalILi72ELi64ELi1EEvPfPK15HIP_vector_typeIfLj2EEiiiiS1_IjLj3EES5_S5_S5_ ; -- Begin function _ZL33flash_attn_stream_k_fixup_generalILi72ELi64ELi1EEvPfPK15HIP_vector_typeIfLj2EEiiiiS1_IjLj3EES5_S5_S5_
	.p2align	8
	.type	_ZL33flash_attn_stream_k_fixup_generalILi72ELi64ELi1EEvPfPK15HIP_vector_typeIfLj2EEiiiiS1_IjLj3EES5_S5_S5_,@function
_ZL33flash_attn_stream_k_fixup_generalILi72ELi64ELi1EEvPfPK15HIP_vector_typeIfLj2EEiiiiS1_IjLj3EES5_S5_S5_: ; @_ZL33flash_attn_stream_k_fixup_generalILi72ELi64ELi1EEvPfPK15HIP_vector_typeIfLj2EEiiiiS1_IjLj3EES5_S5_S5_
; %bb.0:
	s_clause 0x1
	s_load_dwordx4 s[0:3], s[4:5], 0x10
	s_load_dword s9, s[4:5], 0x50
	s_mov_b32 s16, 0
	s_waitcnt lgkmcnt(0)
	s_mul_hi_i32 s17, s3, s6
	s_mul_i32 s18, s3, s6
	s_cmp_lg_u64 s[16:17], 0
	s_cbranch_scc0 .LBB55_21
; %bb.1:
	s_add_u32 s10, s9, 0
	s_addc_u32 s11, 0, 0
	s_xor_b64 s[10:11], s[10:11], 0
	v_cvt_f32_u32_e32 v1, s10
	v_cvt_f32_u32_e32 v2, s11
	s_sub_u32 s14, 0, s10
	s_subb_u32 s15, 0, s11
	v_fmamk_f32 v1, v2, 0x4f800000, v1
	v_rcp_f32_e32 v1, v1
	v_mul_f32_e32 v1, 0x5f7ffffc, v1
	v_mul_f32_e32 v2, 0x2f800000, v1
	v_trunc_f32_e32 v2, v2
	v_fmamk_f32 v1, v2, 0xcf800000, v1
	v_cvt_u32_f32_e32 v2, v2
	v_cvt_u32_f32_e32 v1, v1
	v_readfirstlane_b32 s12, v2
	v_readfirstlane_b32 s13, v1
	s_mul_i32 s19, s14, s12
	s_mul_hi_u32 s21, s14, s13
	s_mul_i32 s20, s15, s13
	s_add_i32 s19, s21, s19
	s_mul_i32 s22, s14, s13
	s_add_i32 s19, s19, s20
	s_mul_hi_u32 s21, s13, s22
	s_mul_i32 s24, s13, s19
	s_mul_hi_u32 s23, s12, s22
	s_mul_i32 s20, s12, s22
	s_mul_hi_u32 s22, s13, s19
	s_add_u32 s21, s21, s24
	s_addc_u32 s22, 0, s22
	s_mul_hi_u32 s25, s12, s19
	s_add_u32 s20, s21, s20
	s_mul_i32 s19, s12, s19
	s_addc_u32 s20, s22, s23
	s_addc_u32 s21, s25, 0
	s_add_u32 s19, s20, s19
	s_addc_u32 s20, 0, s21
	s_add_u32 s13, s13, s19
	s_cselect_b32 s19, -1, 0
	s_mul_hi_u32 s21, s14, s13
	s_cmp_lg_u32 s19, 0
	s_mul_i32 s19, s14, s13
	s_addc_u32 s12, s12, s20
	s_mul_i32 s15, s15, s13
	s_mul_i32 s14, s14, s12
	s_mul_hi_u32 s20, s13, s19
	s_add_i32 s14, s21, s14
	s_mul_hi_u32 s21, s12, s19
	s_add_i32 s14, s14, s15
	s_mul_i32 s15, s12, s19
	s_mul_i32 s23, s13, s14
	s_mul_hi_u32 s22, s13, s14
	s_add_u32 s20, s20, s23
	s_addc_u32 s22, 0, s22
	s_mul_hi_u32 s19, s12, s14
	s_add_u32 s15, s20, s15
	s_mul_i32 s14, s12, s14
	s_addc_u32 s15, s22, s21
	s_addc_u32 s19, s19, 0
	s_add_u32 s14, s15, s14
	s_addc_u32 s15, 0, s19
	s_add_u32 s19, s13, s14
	s_cselect_b32 s13, -1, 0
	s_cmp_lg_u32 s13, 0
	s_addc_u32 s20, s12, s15
	s_ashr_i32 s12, s17, 31
	s_add_u32 s14, s18, s12
	s_mov_b32 s13, s12
	s_addc_u32 s15, s17, s12
	s_xor_b64 s[14:15], s[14:15], s[12:13]
	s_mul_i32 s21, s14, s20
	s_mul_hi_u32 s22, s14, s19
	s_mul_hi_u32 s17, s14, s20
	;; [unrolled: 1-line block ×3, first 2 shown]
	s_mul_i32 s19, s15, s19
	s_add_u32 s21, s22, s21
	s_addc_u32 s17, 0, s17
	s_mul_hi_u32 s23, s15, s20
	s_add_u32 s19, s21, s19
	s_mul_i32 s20, s15, s20
	s_addc_u32 s17, s17, s24
	s_addc_u32 s19, s23, 0
	s_add_u32 s17, s17, s20
	s_addc_u32 s19, 0, s19
	s_mul_hi_u32 s20, s10, s17
	s_mul_i32 s21, s10, s19
	s_mul_i32 s22, s11, s17
	s_add_i32 s20, s20, s21
	s_mul_i32 s21, s10, s17
	s_add_i32 s20, s20, s22
	s_sub_i32 s22, s15, s20
	s_sub_u32 s14, s14, s21
	s_cselect_b32 s21, -1, 0
	s_cmp_lg_u32 s21, 0
	s_subb_u32 s22, s22, s11
	s_sub_u32 s23, s14, s10
	s_cselect_b32 s24, -1, 0
	s_cmp_lg_u32 s24, 0
	s_subb_u32 s22, s22, 0
	s_cmp_ge_u32 s22, s11
	s_cselect_b32 s24, -1, 0
	s_cmp_ge_u32 s23, s10
	s_cselect_b32 s23, -1, 0
	s_cmp_eq_u32 s22, s11
	s_cselect_b32 s22, s23, s24
	s_add_u32 s23, s17, 1
	s_addc_u32 s24, s19, 0
	s_add_u32 s25, s17, 2
	s_addc_u32 s26, s19, 0
	s_cmp_lg_u32 s22, 0
	s_cselect_b32 s22, s25, s23
	s_cselect_b32 s23, s26, s24
	s_cmp_lg_u32 s21, 0
	s_subb_u32 s15, s15, s20
	s_cmp_ge_u32 s15, s11
	s_cselect_b32 s20, -1, 0
	s_cmp_ge_u32 s14, s10
	s_cselect_b32 s10, -1, 0
	s_cmp_eq_u32 s15, s11
	s_cselect_b32 s10, s10, s20
	s_cmp_lg_u32 s10, 0
	s_cselect_b32 s11, s23, s19
	s_cselect_b32 s10, s22, s17
	s_xor_b64 s[12:13], s[12:13], 0
	s_xor_b64 s[10:11], s[10:11], s[12:13]
	s_sub_u32 s10, s10, s12
	s_load_dwordx4 s[12:15], s[4:5], 0x44
	s_andn2_b32 vcc_lo, exec_lo, s16
	s_cbranch_vccnz .LBB55_3
.LBB55_2:
	v_cvt_f32_u32_e32 v1, s9
	s_sub_i32 s11, 0, s9
	v_rcp_iflag_f32_e32 v1, v1
	v_mul_f32_e32 v1, 0x4f7ffffe, v1
	v_cvt_u32_f32_e32 v1, v1
	v_readfirstlane_b32 s10, v1
	s_mul_i32 s11, s11, s10
	s_mul_hi_u32 s11, s10, s11
	s_add_i32 s10, s10, s11
	s_mul_hi_u32 s10, s18, s10
	s_mul_i32 s11, s10, s9
	s_waitcnt lgkmcnt(0)
	s_add_i32 s15, s10, 1
	s_sub_i32 s11, s18, s11
	s_sub_i32 s16, s11, s9
	s_cmp_ge_u32 s11, s9
	s_cselect_b32 s10, s15, s10
	s_cselect_b32 s11, s16, s11
	s_add_i32 s15, s10, 1
	s_cmp_ge_u32 s11, s9
	s_cselect_b32 s10, s15, s10
.LBB55_3:
	s_add_i32 s11, s6, 1
	s_mov_b32 s16, 0
	s_mul_hi_i32 s17, s3, s11
	s_mul_i32 s11, s3, s11
	s_cmp_lg_u64 s[16:17], 0
	s_cbranch_scc0 .LBB55_22
; %bb.4:
	s_add_u32 s18, s9, 0
	s_addc_u32 s19, 0, 0
	s_xor_b64 s[18:19], s[18:19], 0
	v_cvt_f32_u32_e32 v1, s18
	v_cvt_f32_u32_e32 v2, s19
	s_sub_u32 s21, 0, s18
	s_subb_u32 s22, 0, s19
	v_fmamk_f32 v1, v2, 0x4f800000, v1
	v_rcp_f32_e32 v1, v1
	v_mul_f32_e32 v1, 0x5f7ffffc, v1
	v_mul_f32_e32 v2, 0x2f800000, v1
	v_trunc_f32_e32 v2, v2
	v_fmamk_f32 v1, v2, 0xcf800000, v1
	v_cvt_u32_f32_e32 v2, v2
	v_cvt_u32_f32_e32 v1, v1
	s_waitcnt lgkmcnt(0)
	v_readfirstlane_b32 s15, v2
	v_readfirstlane_b32 s20, v1
	s_mul_i32 s23, s21, s15
	s_mul_hi_u32 s25, s21, s20
	s_mul_i32 s24, s22, s20
	s_add_i32 s23, s25, s23
	s_mul_i32 s26, s21, s20
	s_add_i32 s23, s23, s24
	s_mul_hi_u32 s25, s20, s26
	s_mul_i32 s28, s20, s23
	s_mul_hi_u32 s27, s15, s26
	s_mul_i32 s24, s15, s26
	s_mul_hi_u32 s26, s20, s23
	s_add_u32 s25, s25, s28
	s_addc_u32 s26, 0, s26
	s_mul_hi_u32 s29, s15, s23
	s_add_u32 s24, s25, s24
	s_mul_i32 s23, s15, s23
	s_addc_u32 s24, s26, s27
	s_addc_u32 s25, s29, 0
	s_add_u32 s23, s24, s23
	s_addc_u32 s24, 0, s25
	s_add_u32 s20, s20, s23
	s_cselect_b32 s23, -1, 0
	s_mul_hi_u32 s25, s21, s20
	s_cmp_lg_u32 s23, 0
	s_mul_i32 s23, s21, s20
	s_addc_u32 s15, s15, s24
	s_mul_i32 s22, s22, s20
	s_mul_i32 s21, s21, s15
	s_mul_hi_u32 s24, s20, s23
	s_add_i32 s21, s25, s21
	s_mul_hi_u32 s25, s15, s23
	s_add_i32 s21, s21, s22
	s_mul_i32 s22, s15, s23
	s_mul_i32 s27, s20, s21
	s_mul_hi_u32 s26, s20, s21
	s_add_u32 s24, s24, s27
	s_addc_u32 s26, 0, s26
	s_mul_hi_u32 s23, s15, s21
	s_add_u32 s22, s24, s22
	s_mul_i32 s21, s15, s21
	s_addc_u32 s22, s26, s25
	s_addc_u32 s23, s23, 0
	s_add_u32 s21, s22, s21
	s_addc_u32 s22, 0, s23
	s_add_u32 s24, s20, s21
	s_cselect_b32 s20, -1, 0
	s_cmp_lg_u32 s20, 0
	s_addc_u32 s15, s15, s22
	s_ashr_i32 s20, s17, 31
	s_add_u32 s22, s11, s20
	s_mov_b32 s21, s20
	s_addc_u32 s23, s17, s20
	s_xor_b64 s[22:23], s[22:23], s[20:21]
	s_mul_i32 s25, s22, s15
	s_mul_hi_u32 s26, s22, s24
	s_mul_hi_u32 s17, s22, s15
	;; [unrolled: 1-line block ×3, first 2 shown]
	s_mul_i32 s24, s23, s24
	s_add_u32 s25, s26, s25
	s_addc_u32 s17, 0, s17
	s_mul_hi_u32 s27, s23, s15
	s_add_u32 s24, s25, s24
	s_mul_i32 s15, s23, s15
	s_addc_u32 s17, s17, s28
	s_addc_u32 s24, s27, 0
	s_add_u32 s15, s17, s15
	s_addc_u32 s17, 0, s24
	s_mul_hi_u32 s24, s18, s15
	s_mul_i32 s25, s18, s17
	s_mul_i32 s26, s19, s15
	s_add_i32 s24, s24, s25
	s_mul_i32 s25, s18, s15
	s_add_i32 s24, s24, s26
	s_sub_i32 s26, s23, s24
	s_sub_u32 s22, s22, s25
	s_cselect_b32 s25, -1, 0
	s_cmp_lg_u32 s25, 0
	s_subb_u32 s26, s26, s19
	s_sub_u32 s27, s22, s18
	s_cselect_b32 s28, -1, 0
	s_cmp_lg_u32 s28, 0
	s_subb_u32 s26, s26, 0
	s_cmp_ge_u32 s26, s19
	s_cselect_b32 s28, -1, 0
	s_cmp_ge_u32 s27, s18
	s_cselect_b32 s27, -1, 0
	s_cmp_eq_u32 s26, s19
	s_cselect_b32 s26, s27, s28
	s_add_u32 s27, s15, 1
	s_addc_u32 s28, s17, 0
	s_add_u32 s29, s15, 2
	s_addc_u32 s30, s17, 0
	s_cmp_lg_u32 s26, 0
	s_cselect_b32 s26, s29, s27
	s_cselect_b32 s27, s30, s28
	s_cmp_lg_u32 s25, 0
	s_subb_u32 s23, s23, s24
	s_cmp_ge_u32 s23, s19
	s_cselect_b32 s24, -1, 0
	s_cmp_ge_u32 s22, s18
	s_cselect_b32 s18, -1, 0
	s_cmp_eq_u32 s23, s19
	s_cselect_b32 s18, s18, s24
	s_cmp_lg_u32 s18, 0
	s_cselect_b32 s19, s27, s17
	s_cselect_b32 s18, s26, s15
	s_xor_b64 s[20:21], s[20:21], 0
	s_xor_b64 s[18:19], s[18:19], s[20:21]
	s_sub_u32 s18, s18, s20
	s_andn2_b32 vcc_lo, exec_lo, s16
	s_cbranch_vccnz .LBB55_6
.LBB55_5:
	v_cvt_f32_u32_e32 v1, s9
	s_sub_i32 s16, 0, s9
	v_rcp_iflag_f32_e32 v1, v1
	v_mul_f32_e32 v1, 0x4f7ffffe, v1
	v_cvt_u32_f32_e32 v1, v1
	s_waitcnt lgkmcnt(0)
	v_readfirstlane_b32 s15, v1
	s_mul_i32 s16, s16, s15
	s_mul_hi_u32 s16, s15, s16
	s_add_i32 s15, s15, s16
	s_mul_hi_u32 s15, s11, s15
	s_mul_i32 s16, s15, s9
	s_sub_i32 s11, s11, s16
	s_add_i32 s16, s15, 1
	s_sub_i32 s17, s11, s9
	s_cmp_ge_u32 s11, s9
	s_cselect_b32 s15, s16, s15
	s_cselect_b32 s11, s17, s11
	s_add_i32 s16, s15, 1
	s_cmp_ge_u32 s11, s9
	s_cselect_b32 s18, s16, s15
.LBB55_6:
	s_cmp_eq_u32 s10, s18
	s_waitcnt lgkmcnt(0)
	s_mul_hi_u32 s11, s10, s12
	s_cselect_b32 s15, -1, 0
	s_add_i32 s11, s11, s10
	s_lshr_b32 s11, s11, s13
	s_mul_i32 s16, s11, s14
	s_cmp_eq_u32 s16, s10
	s_mul_hi_u32 s16, s18, s12
	s_cselect_b32 s17, -1, 0
	s_add_i32 s16, s16, s18
	s_lshr_b32 s16, s16, s13
	s_cmp_eq_u32 s11, s16
	s_mul_i32 s16, s16, s14
	s_cselect_b32 s19, -1, 0
	s_cmp_lg_u32 s16, s18
	s_cselect_b32 s16, -1, 0
	s_or_b32 s15, s15, s17
	s_and_b32 s16, s19, s16
	s_or_b32 s15, s15, s16
	s_and_b32 vcc_lo, exec_lo, s15
	s_cbranch_vccnz .LBB55_24
; %bb.7:
	s_clause 0x1
	s_load_dwordx8 s[20:27], s[4:5], 0x20
	s_load_dword s16, s[4:5], 0x40
	s_waitcnt lgkmcnt(0)
	s_mul_hi_u32 s15, s10, s20
	s_add_i32 s15, s15, s10
	s_lshr_b32 s15, s15, s21
	s_mul_i32 s17, s15, s22
	s_sub_i32 s17, s10, s17
	s_mul_hi_u32 s18, s17, s23
	s_add_i32 s18, s17, s18
	s_lshr_b32 s21, s18, s24
	s_mul_i32 s18, s21, s25
	s_sub_i32 s17, s17, s18
	;; [unrolled: 5-line block ×3, first 2 shown]
	s_mul_hi_u32 s17, s16, s12
	s_add_i32 s16, s16, s17
	s_lshr_b32 s20, s16, s13
	s_lshl_b32 s16, s20, 6
	s_add_i32 s16, s16, s7
	s_cmp_lt_i32 s16, s0
	s_cselect_b32 s16, -1, 0
	s_add_i32 s22, s22, s8
	s_cmp_lt_i32 s22, s2
	s_cselect_b32 s17, -1, 0
	s_and_b32 s16, s16, s17
	s_andn2_b32 vcc_lo, exec_lo, s16
	s_cbranch_vccnz .LBB55_24
; %bb.8:
	s_load_dwordx4 s[16:19], s[4:5], 0x0
	s_mov_b32 s4, 0
	s_lshl_b32 s24, s9, 8
	s_mov_b32 s25, s4
	s_add_i32 s8, s7, s8
	s_lshl_b64 s[24:25], s[24:25], 2
	s_mul_i32 s0, s15, s0
	s_mul_i32 s21, s21, s2
	v_cvt_f32_u32_e32 v3, s9
	v_rcp_iflag_f32_e32 v3, v3
	s_waitcnt lgkmcnt(0)
	s_add_u32 s2, s18, s24
	s_addc_u32 s15, s19, s25
	s_add_i32 s0, s0, s7
	s_add_i32 s5, s22, s21
	s_mul_i32 s0, s0, s1
	s_mul_i32 s1, s1, s20
	s_add_i32 s0, s5, s0
	s_mulk_i32 s1, 0x1200
	s_mulk_i32 s0, 0x48
	v_mul_f32_e32 v7, 0x4f7ffffe, v3
	v_add3_u32 v1, s1, s0, v0
	s_lshl_b32 s0, s6, 6
	s_add_i32 s0, s0, s8
	v_ashrrev_i32_e32 v2, 31, v1
	s_ashr_i32 s1, s0, 31
	s_lshl_b64 s[0:1], s[0:1], 3
	v_lshlrev_b64 v[1:2], 2, v[1:2]
	s_add_u32 s0, s18, s0
	s_addc_u32 s1, s19, s1
	s_load_dwordx2 s[0:1], s[0:1], 0x0
	v_add_co_u32 v1, vcc_lo, s16, v1
	v_add_co_ci_u32_e64 v2, null, s17, v2, vcc_lo
	s_add_i32 s17, s6, -1
	v_mad_u64_u32 v[3:4], null, 0x48, s8, v[0:1]
	global_load_dword v5, v[1:2], off
	v_cvt_u32_f32_e32 v0, v7
	s_sub_i32 s16, 0, s9
	s_waitcnt lgkmcnt(0)
	v_mov_b32_e32 v4, s1
	v_mov_b32_e32 v6, s0
.LBB55_9:                               ; =>This Inner Loop Header: Depth=1
	s_mul_hi_i32 s5, s17, s3
	s_mul_i32 s6, s17, s3
	s_cmp_lg_u64 s[4:5], 0
	s_mov_b32 s7, -1
                                        ; implicit-def: $sgpr0_sgpr1
	s_cbranch_scc0 .LBB55_11
; %bb.10:                               ;   in Loop: Header=BB55_9 Depth=1
	s_add_u32 s0, s9, 0
	s_addc_u32 s1, 0, 0
	s_xor_b64 s[0:1], s[0:1], 0
	v_cvt_f32_u32_e32 v7, s0
	v_cvt_f32_u32_e32 v8, s1
	s_sub_u32 s21, 0, s0
	s_subb_u32 s22, 0, s1
	v_fmac_f32_e32 v7, 0x4f800000, v8
	v_rcp_f32_e32 v7, v7
	v_mul_f32_e32 v7, 0x5f7ffffc, v7
	v_mul_f32_e32 v8, 0x2f800000, v7
	v_trunc_f32_e32 v8, v8
	v_fmac_f32_e32 v7, 0xcf800000, v8
	v_cvt_u32_f32_e32 v8, v8
	v_cvt_u32_f32_e32 v7, v7
	v_readfirstlane_b32 s7, v8
	v_readfirstlane_b32 s20, v7
	s_mul_i32 s23, s21, s7
	s_mul_hi_u32 s25, s21, s20
	s_mul_i32 s24, s22, s20
	s_add_i32 s23, s25, s23
	s_mul_i32 s26, s21, s20
	s_add_i32 s23, s23, s24
	s_mul_hi_u32 s25, s20, s26
	s_mul_i32 s28, s20, s23
	s_mul_hi_u32 s27, s7, s26
	s_mul_i32 s24, s7, s26
	s_mul_hi_u32 s26, s20, s23
	s_add_u32 s25, s25, s28
	s_addc_u32 s26, 0, s26
	s_mul_hi_u32 s29, s7, s23
	s_add_u32 s24, s25, s24
	s_mul_i32 s23, s7, s23
	s_addc_u32 s24, s26, s27
	s_addc_u32 s25, s29, 0
	s_add_u32 s23, s24, s23
	s_addc_u32 s24, 0, s25
	s_add_u32 s20, s20, s23
	s_cselect_b32 s23, -1, 0
	s_mul_hi_u32 s25, s21, s20
	s_cmp_lg_u32 s23, 0
	s_mul_i32 s23, s21, s20
	s_addc_u32 s7, s7, s24
	s_mul_i32 s22, s22, s20
	s_mul_i32 s21, s21, s7
	s_mul_hi_u32 s24, s20, s23
	s_add_i32 s21, s25, s21
	s_mul_hi_u32 s25, s7, s23
	s_add_i32 s21, s21, s22
	s_mul_i32 s22, s7, s23
	s_mul_i32 s27, s20, s21
	s_mul_hi_u32 s26, s20, s21
	s_add_u32 s24, s24, s27
	s_addc_u32 s26, 0, s26
	s_mul_hi_u32 s23, s7, s21
	s_add_u32 s22, s24, s22
	s_mul_i32 s21, s7, s21
	s_addc_u32 s22, s26, s25
	s_addc_u32 s23, s23, 0
	s_add_u32 s21, s22, s21
	s_addc_u32 s22, 0, s23
	s_add_u32 s24, s20, s21
	s_cselect_b32 s20, -1, 0
	s_cmp_lg_u32 s20, 0
	s_addc_u32 s7, s7, s22
	s_ashr_i32 s20, s5, 31
	s_add_u32 s22, s6, s20
	s_mov_b32 s21, s20
	s_addc_u32 s23, s5, s20
	s_xor_b64 s[22:23], s[22:23], s[20:21]
	s_mul_i32 s25, s22, s7
	s_mul_hi_u32 s26, s22, s24
	s_mul_hi_u32 s5, s22, s7
	;; [unrolled: 1-line block ×3, first 2 shown]
	s_mul_i32 s24, s23, s24
	s_add_u32 s25, s26, s25
	s_addc_u32 s5, 0, s5
	s_mul_hi_u32 s27, s23, s7
	s_add_u32 s24, s25, s24
	s_mul_i32 s7, s23, s7
	s_addc_u32 s5, s5, s28
	s_addc_u32 s24, s27, 0
	s_add_u32 s5, s5, s7
	s_addc_u32 s7, 0, s24
	s_mul_hi_u32 s24, s0, s5
	s_mul_i32 s25, s0, s7
	s_mul_i32 s26, s1, s5
	s_add_i32 s24, s24, s25
	s_mul_i32 s25, s0, s5
	s_add_i32 s24, s24, s26
	s_sub_i32 s26, s23, s24
	s_sub_u32 s22, s22, s25
	s_cselect_b32 s25, -1, 0
	s_cmp_lg_u32 s25, 0
	s_subb_u32 s26, s26, s1
	s_sub_u32 s27, s22, s0
	s_cselect_b32 s28, -1, 0
	s_cmp_lg_u32 s28, 0
	s_subb_u32 s26, s26, 0
	s_cmp_ge_u32 s26, s1
	s_cselect_b32 s28, -1, 0
	s_cmp_ge_u32 s27, s0
	s_cselect_b32 s27, -1, 0
	s_cmp_eq_u32 s26, s1
	s_cselect_b32 s26, s27, s28
	s_add_u32 s27, s5, 1
	s_addc_u32 s28, s7, 0
	s_add_u32 s29, s5, 2
	s_addc_u32 s30, s7, 0
	s_cmp_lg_u32 s26, 0
	s_cselect_b32 s26, s29, s27
	s_cselect_b32 s27, s30, s28
	s_cmp_lg_u32 s25, 0
	s_subb_u32 s23, s23, s24
	s_cmp_ge_u32 s23, s1
	s_cselect_b32 s24, -1, 0
	s_cmp_ge_u32 s22, s0
	s_cselect_b32 s0, -1, 0
	s_cmp_eq_u32 s23, s1
	s_cselect_b32 s0, s0, s24
	s_cmp_lg_u32 s0, 0
	s_cselect_b32 s1, s27, s7
	s_cselect_b32 s0, s26, s5
	s_xor_b64 s[20:21], s[20:21], 0
	s_mov_b32 s7, 0
	s_xor_b64 s[0:1], s[0:1], s[20:21]
	s_sub_u32 s0, s0, s20
.LBB55_11:                              ;   in Loop: Header=BB55_9 Depth=1
	s_andn2_b32 vcc_lo, exec_lo, s7
	s_cbranch_vccnz .LBB55_13
; %bb.12:                               ;   in Loop: Header=BB55_9 Depth=1
	v_readfirstlane_b32 s0, v0
	s_mul_i32 s1, s16, s0
	s_mul_hi_u32 s1, s0, s1
	s_add_i32 s0, s0, s1
	s_mul_hi_u32 s0, s6, s0
	s_mul_i32 s1, s0, s9
	s_add_i32 s5, s0, 1
	s_sub_i32 s1, s6, s1
	s_sub_i32 s6, s1, s9
	s_cmp_ge_u32 s1, s9
	s_cselect_b32 s0, s5, s0
	s_cselect_b32 s1, s6, s1
	s_add_i32 s5, s0, 1
	s_cmp_ge_u32 s1, s9
	s_cselect_b32 s0, s5, s0
.LBB55_13:                              ;   in Loop: Header=BB55_9 Depth=1
	s_cmp_lg_u32 s10, s0
	s_mov_b32 s6, -1
                                        ; implicit-def: $sgpr5
                                        ; implicit-def: $vgpr8
                                        ; implicit-def: $vgpr7
                                        ; implicit-def: $vgpr9
                                        ; implicit-def: $sgpr1
                                        ; implicit-def: $sgpr20
	s_cbranch_scc0 .LBB55_18
; %bb.14:                               ;   in Loop: Header=BB55_9 Depth=1
	s_add_i32 s1, s17, s9
	s_mov_b32 s7, s4
	s_lshl_b32 s1, s1, 6
	s_mov_b32 s20, s10
	s_add_i32 s6, s1, s8
	s_mul_hi_u32 s1, s0, s12
	s_lshl_b64 s[6:7], s[6:7], 3
	s_add_u32 s6, s18, s6
	s_addc_u32 s7, s19, s7
	s_add_i32 s1, s1, s0
	s_lshr_b32 s1, s1, s13
	s_mul_i32 s5, s1, s14
	s_cmp_eq_u32 s5, s0
	s_cselect_b32 s5, -1, 0
	s_cmp_lt_u32 s1, s11
	s_cselect_b32 s1, -1, 0
	s_or_b32 s1, s1, s5
	s_mov_b32 s5, -1
	s_and_b32 vcc_lo, exec_lo, s1
	s_mov_b32 s1, s17
	s_cbranch_vccnz .LBB55_16
; %bb.15:                               ;   in Loop: Header=BB55_9 Depth=1
	s_add_i32 s1, s17, -1
	s_mov_b32 s5, 0
	s_mov_b32 s20, s0
.LBB55_16:                              ;   in Loop: Header=BB55_9 Depth=1
	v_mad_u64_u32 v[7:8], null, 0x1200, s17, v[3:4]
	s_load_dwordx2 s[6:7], s[6:7], 0x0
	v_ashrrev_i32_e32 v8, 31, v7
	v_lshlrev_b64 v[7:8], 2, v[7:8]
	v_add_co_u32 v7, vcc_lo, s2, v7
	v_add_co_ci_u32_e64 v8, null, s15, v8, vcc_lo
	s_waitcnt lgkmcnt(0)
	v_max_f32_e64 v9, s6, s6
	global_load_dword v8, v[7:8], off
	v_max_f32_e32 v7, v6, v6
	v_max_f32_e32 v7, v7, v9
	v_sub_f32_e32 v9, s6, v7
	v_sub_f32_e32 v10, v6, v7
	v_mul_f32_e32 v11, 0x3fb8aa3b, v9
	v_mul_f32_e32 v12, 0x3fb8aa3b, v10
	v_cmp_ngt_f32_e32 vcc_lo, 0xc2ce8ed0, v9
	v_fma_f32 v13, 0x3fb8aa3b, v9, -v11
	v_rndne_f32_e32 v14, v11
	v_fma_f32 v15, 0x3fb8aa3b, v10, -v12
	v_rndne_f32_e32 v16, v12
	v_fmac_f32_e32 v13, 0x32a5705f, v9
	v_sub_f32_e32 v11, v11, v14
	v_fmac_f32_e32 v15, 0x32a5705f, v10
	v_sub_f32_e32 v12, v12, v16
	v_add_f32_e32 v11, v11, v13
	v_cvt_i32_f32_e32 v13, v14
	v_add_f32_e32 v12, v12, v15
	v_cvt_i32_f32_e32 v14, v16
	v_exp_f32_e32 v11, v11
	v_exp_f32_e32 v12, v12
	v_ldexp_f32 v11, v11, v13
	v_ldexp_f32 v12, v12, v14
	v_cndmask_b32_e32 v11, 0, v11, vcc_lo
	v_cmp_ngt_f32_e32 vcc_lo, 0xc2ce8ed0, v10
	v_cndmask_b32_e32 v12, 0, v12, vcc_lo
	v_cmp_nlt_f32_e32 vcc_lo, 0x42b17218, v9
	v_cndmask_b32_e32 v11, 0x7f800000, v11, vcc_lo
	v_cmp_nlt_f32_e32 vcc_lo, 0x42b17218, v10
	v_cndmask_b32_e32 v12, 0x7f800000, v12, vcc_lo
	v_cmp_le_f32_e32 vcc_lo, 0xc1a00000, v9
	v_cndmask_b32_e32 v9, 0, v11, vcc_lo
	v_cmp_le_f32_e32 vcc_lo, 0xc1a00000, v10
	v_cndmask_b32_e32 v10, 0, v12, vcc_lo
	s_waitcnt vmcnt(0)
	v_mul_f32_e32 v8, v8, v9
	v_mul_f32_e32 v9, s7, v9
	v_fmac_f32_e32 v8, v5, v10
	v_fmac_f32_e32 v9, v4, v10
	s_cbranch_execz .LBB55_19
.LBB55_17:                              ;   in Loop: Header=BB55_9 Depth=1
	s_andn2_b32 vcc_lo, exec_lo, s5
	s_cbranch_vccnz .LBB55_20
	s_branch .LBB55_23
.LBB55_18:                              ;   in Loop: Header=BB55_9 Depth=1
	s_andn2_b32 vcc_lo, exec_lo, s6
	s_cbranch_vccnz .LBB55_17
.LBB55_19:                              ;   in Loop: Header=BB55_9 Depth=1
	v_mov_b32_e32 v9, v4
	v_mov_b32_e32 v7, v6
	s_waitcnt vmcnt(0)
	v_mov_b32_e32 v8, v5
	s_add_i32 s1, s17, -1
	s_mov_b32 s20, s10
	s_cbranch_execz .LBB55_23
.LBB55_20:                              ;   in Loop: Header=BB55_9 Depth=1
	v_mov_b32_e32 v4, v9
	v_mov_b32_e32 v6, v7
	s_waitcnt vmcnt(0)
	v_mov_b32_e32 v5, v8
	s_mov_b32 s10, s20
	s_mov_b32 s17, s1
	s_branch .LBB55_9
.LBB55_21:
                                        ; implicit-def: $sgpr10_sgpr11
	s_load_dwordx4 s[12:15], s[4:5], 0x44
	s_branch .LBB55_2
.LBB55_22:
                                        ; implicit-def: $sgpr18_sgpr19
	s_branch .LBB55_5
.LBB55_23:
	v_div_scale_f32 v0, null, v9, v9, v8
	v_rcp_f32_e32 v3, v0
	v_fma_f32 v4, -v0, v3, 1.0
	v_fmac_f32_e32 v3, v4, v3
	v_div_scale_f32 v4, vcc_lo, v8, v9, v8
	s_waitcnt vmcnt(0)
	v_mul_f32_e32 v5, v4, v3
	v_fma_f32 v6, -v0, v5, v4
	v_fmac_f32_e32 v5, v6, v3
	v_fma_f32 v0, -v0, v5, v4
	v_div_fmas_f32 v0, v0, v3, v5
	v_div_fixup_f32 v0, v0, v9, v8
	global_store_dword v[1:2], v0, off
.LBB55_24:
	s_endpgm
	.section	.rodata,"a",@progbits
	.p2align	6, 0x0
	.amdhsa_kernel _ZL33flash_attn_stream_k_fixup_generalILi72ELi64ELi1EEvPfPK15HIP_vector_typeIfLj2EEiiiiS1_IjLj3EES5_S5_S5_
		.amdhsa_group_segment_fixed_size 0
		.amdhsa_private_segment_fixed_size 0
		.amdhsa_kernarg_size 336
		.amdhsa_user_sgpr_count 6
		.amdhsa_user_sgpr_private_segment_buffer 1
		.amdhsa_user_sgpr_dispatch_ptr 0
		.amdhsa_user_sgpr_queue_ptr 0
		.amdhsa_user_sgpr_kernarg_segment_ptr 1
		.amdhsa_user_sgpr_dispatch_id 0
		.amdhsa_user_sgpr_flat_scratch_init 0
		.amdhsa_user_sgpr_private_segment_size 0
		.amdhsa_wavefront_size32 1
		.amdhsa_uses_dynamic_stack 0
		.amdhsa_system_sgpr_private_segment_wavefront_offset 0
		.amdhsa_system_sgpr_workgroup_id_x 1
		.amdhsa_system_sgpr_workgroup_id_y 1
		.amdhsa_system_sgpr_workgroup_id_z 1
		.amdhsa_system_sgpr_workgroup_info 0
		.amdhsa_system_vgpr_workitem_id 0
		.amdhsa_next_free_vgpr 17
		.amdhsa_next_free_sgpr 31
		.amdhsa_reserve_vcc 1
		.amdhsa_reserve_flat_scratch 0
		.amdhsa_float_round_mode_32 0
		.amdhsa_float_round_mode_16_64 0
		.amdhsa_float_denorm_mode_32 3
		.amdhsa_float_denorm_mode_16_64 3
		.amdhsa_dx10_clamp 1
		.amdhsa_ieee_mode 1
		.amdhsa_fp16_overflow 0
		.amdhsa_workgroup_processor_mode 1
		.amdhsa_memory_ordered 1
		.amdhsa_forward_progress 1
		.amdhsa_shared_vgpr_count 0
		.amdhsa_exception_fp_ieee_invalid_op 0
		.amdhsa_exception_fp_denorm_src 0
		.amdhsa_exception_fp_ieee_div_zero 0
		.amdhsa_exception_fp_ieee_overflow 0
		.amdhsa_exception_fp_ieee_underflow 0
		.amdhsa_exception_fp_ieee_inexact 0
		.amdhsa_exception_int_div_zero 0
	.end_amdhsa_kernel
	.section	.text._ZL33flash_attn_stream_k_fixup_generalILi72ELi64ELi1EEvPfPK15HIP_vector_typeIfLj2EEiiiiS1_IjLj3EES5_S5_S5_,"axG",@progbits,_ZL33flash_attn_stream_k_fixup_generalILi72ELi64ELi1EEvPfPK15HIP_vector_typeIfLj2EEiiiiS1_IjLj3EES5_S5_S5_,comdat
.Lfunc_end55:
	.size	_ZL33flash_attn_stream_k_fixup_generalILi72ELi64ELi1EEvPfPK15HIP_vector_typeIfLj2EEiiiiS1_IjLj3EES5_S5_S5_, .Lfunc_end55-_ZL33flash_attn_stream_k_fixup_generalILi72ELi64ELi1EEvPfPK15HIP_vector_typeIfLj2EEiiiiS1_IjLj3EES5_S5_S5_
                                        ; -- End function
	.set _ZL33flash_attn_stream_k_fixup_generalILi72ELi64ELi1EEvPfPK15HIP_vector_typeIfLj2EEiiiiS1_IjLj3EES5_S5_S5_.num_vgpr, 17
	.set _ZL33flash_attn_stream_k_fixup_generalILi72ELi64ELi1EEvPfPK15HIP_vector_typeIfLj2EEiiiiS1_IjLj3EES5_S5_S5_.num_agpr, 0
	.set _ZL33flash_attn_stream_k_fixup_generalILi72ELi64ELi1EEvPfPK15HIP_vector_typeIfLj2EEiiiiS1_IjLj3EES5_S5_S5_.numbered_sgpr, 31
	.set _ZL33flash_attn_stream_k_fixup_generalILi72ELi64ELi1EEvPfPK15HIP_vector_typeIfLj2EEiiiiS1_IjLj3EES5_S5_S5_.num_named_barrier, 0
	.set _ZL33flash_attn_stream_k_fixup_generalILi72ELi64ELi1EEvPfPK15HIP_vector_typeIfLj2EEiiiiS1_IjLj3EES5_S5_S5_.private_seg_size, 0
	.set _ZL33flash_attn_stream_k_fixup_generalILi72ELi64ELi1EEvPfPK15HIP_vector_typeIfLj2EEiiiiS1_IjLj3EES5_S5_S5_.uses_vcc, 1
	.set _ZL33flash_attn_stream_k_fixup_generalILi72ELi64ELi1EEvPfPK15HIP_vector_typeIfLj2EEiiiiS1_IjLj3EES5_S5_S5_.uses_flat_scratch, 0
	.set _ZL33flash_attn_stream_k_fixup_generalILi72ELi64ELi1EEvPfPK15HIP_vector_typeIfLj2EEiiiiS1_IjLj3EES5_S5_S5_.has_dyn_sized_stack, 0
	.set _ZL33flash_attn_stream_k_fixup_generalILi72ELi64ELi1EEvPfPK15HIP_vector_typeIfLj2EEiiiiS1_IjLj3EES5_S5_S5_.has_recursion, 0
	.set _ZL33flash_attn_stream_k_fixup_generalILi72ELi64ELi1EEvPfPK15HIP_vector_typeIfLj2EEiiiiS1_IjLj3EES5_S5_S5_.has_indirect_call, 0
	.section	.AMDGPU.csdata,"",@progbits
; Kernel info:
; codeLenInByte = 2940
; TotalNumSgprs: 33
; NumVgprs: 17
; ScratchSize: 0
; MemoryBound: 0
; FloatMode: 240
; IeeeMode: 1
; LDSByteSize: 0 bytes/workgroup (compile time only)
; SGPRBlocks: 0
; VGPRBlocks: 2
; NumSGPRsForWavesPerEU: 33
; NumVGPRsForWavesPerEU: 17
; Occupancy: 16
; WaveLimiterHint : 0
; COMPUTE_PGM_RSRC2:SCRATCH_EN: 0
; COMPUTE_PGM_RSRC2:USER_SGPR: 6
; COMPUTE_PGM_RSRC2:TRAP_HANDLER: 0
; COMPUTE_PGM_RSRC2:TGID_X_EN: 1
; COMPUTE_PGM_RSRC2:TGID_Y_EN: 1
; COMPUTE_PGM_RSRC2:TGID_Z_EN: 1
; COMPUTE_PGM_RSRC2:TIDIG_COMP_CNT: 0
	.section	.text._ZL15flash_attn_tileILi72ELi72ELi32ELi1ELb0EEvPKcS1_S1_S1_S1_PKiPfP15HIP_vector_typeIfLj2EEffffjfiS5_IjLj3EEiiiiiiiiiiiliiliiiiil,"axG",@progbits,_ZL15flash_attn_tileILi72ELi72ELi32ELi1ELb0EEvPKcS1_S1_S1_S1_PKiPfP15HIP_vector_typeIfLj2EEffffjfiS5_IjLj3EEiiiiiiiiiiiliiliiiiil,comdat
	.globl	_ZL15flash_attn_tileILi72ELi72ELi32ELi1ELb0EEvPKcS1_S1_S1_S1_PKiPfP15HIP_vector_typeIfLj2EEffffjfiS5_IjLj3EEiiiiiiiiiiiliiliiiiil ; -- Begin function _ZL15flash_attn_tileILi72ELi72ELi32ELi1ELb0EEvPKcS1_S1_S1_S1_PKiPfP15HIP_vector_typeIfLj2EEffffjfiS5_IjLj3EEiiiiiiiiiiiliiliiiiil
	.p2align	8
	.type	_ZL15flash_attn_tileILi72ELi72ELi32ELi1ELb0EEvPKcS1_S1_S1_S1_PKiPfP15HIP_vector_typeIfLj2EEffffjfiS5_IjLj3EEiiiiiiiiiiiliiliiiiil,@function
_ZL15flash_attn_tileILi72ELi72ELi32ELi1ELb0EEvPKcS1_S1_S1_S1_PKiPfP15HIP_vector_typeIfLj2EEffffjfiS5_IjLj3EEiiiiiiiiiiiliiliiiiil: ; @_ZL15flash_attn_tileILi72ELi72ELi32ELi1ELb0EEvPKcS1_S1_S1_S1_PKiPfP15HIP_vector_typeIfLj2EEffffjfiS5_IjLj3EEiiiiiiiiiiiliiliiiiil
; %bb.0:
	s_add_u32 s6, s6, s11
	s_addc_u32 s7, s7, 0
	s_setreg_b32 hwreg(HW_REG_FLAT_SCR_LO), s6
	s_setreg_b32 hwreg(HW_REG_FLAT_SCR_HI), s7
	s_clause 0x1
	s_load_dwordx4 s[28:31], s[4:5], 0x5c
	s_load_dwordx2 s[42:43], s[4:5], 0x80
	s_add_u32 s0, s0, s11
	s_addc_u32 s1, s1, 0
	s_mov_b32 s34, s9
	s_mov_b64 s[40:41], 0
	s_waitcnt lgkmcnt(0)
	v_cvt_f32_u32_e32 v2, s31
	s_sub_i32 s7, 0, s31
	v_rcp_iflag_f32_e32 v2, v2
	v_mul_f32_e32 v2, 0x4f7ffffe, v2
	v_cvt_u32_f32_e32 v2, v2
	v_readfirstlane_b32 s6, v2
	s_mul_i32 s7, s7, s6
	s_mul_hi_u32 s7, s6, s7
	s_add_i32 s6, s6, s7
	s_mul_hi_u32 s6, s10, s6
	s_mul_i32 s7, s6, s31
	s_add_i32 s9, s6, 1
	s_sub_i32 s7, s10, s7
	s_sub_i32 s11, s7, s31
	s_cmp_ge_u32 s7, s31
	s_cselect_b32 s6, s9, s6
	s_cselect_b32 s7, s11, s7
	s_add_i32 s9, s6, 1
	s_cmp_ge_u32 s7, s31
	s_cselect_b32 s33, s9, s6
	s_abs_i32 s6, s43
	s_abs_i32 s11, s31
	v_cvt_f32_u32_e32 v2, s6
	s_sub_i32 s9, 0, s6
	v_rcp_iflag_f32_e32 v2, v2
	v_mul_f32_e32 v2, 0x4f7ffffe, v2
	v_cvt_u32_f32_e32 v2, v2
	v_readfirstlane_b32 s7, v2
	s_mul_i32 s9, s9, s7
	s_mul_hi_u32 s9, s7, s9
	s_add_i32 s7, s7, s9
	s_xor_b32 s9, s31, s43
	s_mul_hi_u32 s7, s11, s7
	s_ashr_i32 s9, s9, 31
	s_mul_i32 s12, s7, s6
	s_sub_i32 s11, s11, s12
	s_add_i32 s12, s7, 1
	s_sub_i32 s13, s11, s6
	s_cmp_ge_u32 s11, s6
	s_cselect_b32 s7, s12, s7
	s_cselect_b32 s11, s13, s11
	s_add_i32 s12, s7, 1
	s_cmp_ge_u32 s11, s6
	s_cselect_b32 s6, s12, s7
	s_clause 0x1
	s_load_dwordx16 s[12:27], s[4:5], 0x0
	s_load_dwordx2 s[44:45], s[4:5], 0xb8
	s_xor_b32 s6, s6, s9
	s_sub_i32 s46, s6, s9
	s_mul_i32 s6, s33, s31
	s_abs_i32 s43, s46
	v_cvt_f32_u32_e32 v2, s43
	v_rcp_iflag_f32_e32 v2, v2
	s_waitcnt lgkmcnt(0)
	s_cmp_eq_u64 s[18:19], 0
	v_mul_f32_e32 v2, 0x4f7ffffe, v2
	v_cvt_u32_f32_e32 v2, v2
	v_readfirstlane_b32 s47, v2
	s_cbranch_scc1 .LBB56_2
; %bb.1:
	s_abs_i32 s7, s44
	s_abs_i32 s35, s33
	v_cvt_f32_u32_e32 v2, s7
	s_sub_i32 s11, 0, s7
	s_load_dwordx2 s[36:37], s[4:5], 0xc8
	v_rcp_iflag_f32_e32 v2, v2
	v_mul_f32_e32 v2, 0x4f7ffffe, v2
	v_cvt_u32_f32_e32 v2, v2
	v_readfirstlane_b32 s9, v2
	s_mul_i32 s11, s11, s9
	s_mul_hi_u32 s11, s9, s11
	s_add_i32 s9, s9, s11
	s_ashr_i32 s11, s33, 31
	s_mul_hi_u32 s9, s35, s9
	s_mul_i32 s9, s9, s7
	s_sub_i32 s9, s35, s9
	s_sub_i32 s35, s9, s7
	s_cmp_ge_u32 s9, s7
	s_cselect_b32 s9, s35, s9
	s_sub_i32 s35, s9, s7
	s_cmp_ge_u32 s9, s7
	s_cselect_b32 s7, s35, s9
	s_xor_b32 s7, s7, s11
	s_sub_i32 s7, s7, s11
	s_ashr_i32 s9, s7, 31
	s_waitcnt lgkmcnt(0)
	s_mul_hi_u32 s11, s36, s7
	s_mul_i32 s9, s36, s9
	s_add_i32 s9, s11, s9
	s_mul_i32 s11, s37, s7
	s_mul_i32 s7, s36, s7
	s_add_i32 s9, s9, s11
	s_add_u32 s40, s18, s7
	s_addc_u32 s41, s19, s9
.LBB56_2:
	s_clause 0x1
	s_load_dwordx4 s[36:39], s[4:5], 0x40
	s_load_dword s7, s[4:5], 0x50
	v_mov_b32_e32 v36, 1.0
	s_sub_i32 s11, 0, s43
	s_sub_i32 s18, s10, s6
	s_waitcnt lgkmcnt(0)
	v_cmp_le_f32_e64 s9, s37, 0
	s_and_b32 vcc_lo, exec_lo, s9
	s_cbranch_vccnz .LBB56_4
; %bb.3:
	v_sub_co_u32 v3, vcc_lo, s18, s7
	v_mov_b32_e32 v2, s38
	s_add_i32 s6, s18, 1
	v_lshlrev_b32_e32 v3, 1, v3
	v_cndmask_b32_e32 v2, s39, v2, vcc_lo
	v_or_b32_e32 v3, 1, v3
	v_cndmask_b32_e64 v3, v3, s6, vcc_lo
	v_cmp_neq_f32_e32 vcc_lo, 1.0, v2
	s_mov_b32 s6, 0x3e76c4e1
	v_cvt_f32_i32_e32 v3, v3
	v_cndmask_b32_e32 v4, 1.0, v3, vcc_lo
	v_cmp_neq_f32_e32 vcc_lo, 0, v4
	v_cndmask_b32_e32 v5, 1.0, v2, vcc_lo
	v_frexp_mant_f32_e64 v2, |v5|
	v_cmp_eq_f32_e64 s9, 0, v5
	v_cmp_gt_f32_e32 vcc_lo, 0x3f2aaaab, v2
	v_cndmask_b32_e64 v3, 1.0, 2.0, vcc_lo
	v_mul_f32_e32 v2, v2, v3
	v_add_f32_e32 v3, 1.0, v2
	v_add_f32_e32 v7, -1.0, v2
	v_rcp_f32_e32 v6, v3
	v_add_f32_e32 v9, -1.0, v3
	v_sub_f32_e32 v2, v2, v9
	v_mul_f32_e32 v8, v7, v6
	v_mul_f32_e32 v10, v3, v8
	v_fma_f32 v3, v8, v3, -v10
	v_fmac_f32_e32 v3, v8, v2
	v_add_f32_e32 v2, v10, v3
	v_sub_f32_e32 v9, v7, v2
	v_sub_f32_e32 v10, v2, v10
	;; [unrolled: 1-line block ×5, first 2 shown]
	v_add_f32_e32 v2, v3, v2
	v_add_f32_e32 v2, v9, v2
	v_mul_f32_e32 v2, v6, v2
	v_add_f32_e32 v6, v8, v2
	v_sub_f32_e32 v3, v6, v8
	v_mul_f32_e32 v7, v6, v6
	v_sub_f32_e32 v8, v2, v3
	v_fma_f32 v2, v6, v6, -v7
	v_add_f32_e32 v3, v8, v8
	v_fmac_f32_e32 v2, v6, v3
	v_add_f32_e32 v9, v7, v2
	v_fmaak_f32 v3, s6, v9, 0x3e91f4c4
	v_sub_f32_e32 v7, v9, v7
	v_mul_f32_e32 v14, v6, v9
	v_fmaak_f32 v3, v9, v3, 0x3ecccdef
	v_sub_f32_e32 v7, v2, v7
	v_fma_f32 v15, v9, v6, -v14
	v_mul_f32_e32 v10, v9, v3
	v_fmac_f32_e32 v15, v9, v8
	v_ldexp_f32 v8, v8, 1
	v_fma_f32 v11, v9, v3, -v10
	v_fmac_f32_e32 v15, v7, v6
	v_fmac_f32_e32 v11, v7, v3
	v_cvt_f64_f32_e64 v[2:3], |v5|
	v_add_f32_e32 v12, v10, v11
	v_sub_f32_e32 v10, v12, v10
	v_add_f32_e32 v13, 0x3f2aaaaa, v12
	v_sub_f32_e32 v10, v11, v10
	v_add_f32_e32 v11, 0xbf2aaaaa, v13
	v_add_f32_e32 v10, 0x31739010, v10
	v_sub_f32_e32 v11, v12, v11
	v_frexp_exp_i32_f64_e32 v2, v[2:3]
	v_add_f32_e32 v9, v10, v11
	v_add_f32_e32 v10, v14, v15
	;; [unrolled: 1-line block ×3, first 2 shown]
	v_sub_f32_e32 v12, v10, v14
	v_sub_f32_e32 v3, v13, v7
	v_mul_f32_e32 v11, v10, v7
	v_sub_f32_e32 v12, v15, v12
	v_add_f32_e32 v3, v9, v3
	v_fma_f32 v9, v10, v7, -v11
	v_subrev_co_ci_u32_e64 v2, null, 0, v2, vcc_lo
	v_fmac_f32_e32 v9, v10, v3
	v_ldexp_f32 v3, v6, 1
	v_cvt_f32_i32_e32 v2, v2
	v_fmac_f32_e32 v9, v12, v7
	v_add_f32_e32 v6, v11, v9
	v_add_f32_e32 v7, v3, v6
	v_sub_f32_e32 v10, v6, v11
	v_mul_f32_e32 v11, 0x3f317218, v2
	v_sub_f32_e32 v3, v7, v3
	v_sub_f32_e32 v9, v9, v10
	v_fma_f32 v10, 0x3f317218, v2, -v11
	v_sub_f32_e32 v3, v6, v3
	v_add_f32_e32 v6, v8, v9
	v_fmamk_f32 v2, v2, 0xb102e308, v10
	v_add_f32_e32 v3, v6, v3
	v_add_f32_e32 v6, v11, v2
	;; [unrolled: 1-line block ×3, first 2 shown]
	v_sub_f32_e32 v11, v6, v11
	v_add_f32_e32 v9, v6, v8
	v_sub_f32_e32 v7, v8, v7
	v_sub_f32_e32 v2, v2, v11
	;; [unrolled: 1-line block ×6, first 2 shown]
	v_add_f32_e32 v8, v2, v3
	v_sub_f32_e32 v6, v6, v12
	v_add_f32_e32 v6, v7, v6
	v_sub_f32_e32 v7, v8, v2
	;; [unrolled: 2-line block ×3, first 2 shown]
	v_sub_f32_e32 v3, v3, v7
	v_add_f32_e32 v10, v9, v6
	v_sub_f32_e32 v2, v2, v8
	v_sub_f32_e32 v7, v10, v9
	v_add_f32_e32 v2, v3, v2
	v_sub_f32_e32 v3, v6, v7
	v_add_f32_e32 v2, v2, v3
	v_add_f32_e32 v3, v10, v2
	v_sub_f32_e32 v6, v3, v10
	v_mul_f32_e32 v7, v4, v3
	v_sub_f32_e32 v2, v2, v6
	v_fma_f32 v3, v4, v3, -v7
	v_cmp_class_f32_e64 vcc_lo, v7, 0x204
	v_fmac_f32_e32 v3, v4, v2
	v_add_f32_e32 v2, v7, v3
	v_cndmask_b32_e32 v6, v2, v7, vcc_lo
	v_sub_f32_e32 v2, v2, v7
	v_cmp_eq_f32_e32 vcc_lo, 0x42b17218, v6
	v_sub_f32_e32 v2, v3, v2
	v_cndmask_b32_e64 v8, 0, 0x37000000, vcc_lo
	v_cmp_neq_f32_e64 vcc_lo, 0x7f800000, |v6|
	v_sub_f32_e32 v9, v6, v8
	v_cndmask_b32_e32 v2, 0, v2, vcc_lo
	v_trunc_f32_e32 v6, v4
	v_mul_f32_e32 v10, 0x3fb8aa3b, v9
	v_cmp_ngt_f32_e32 vcc_lo, 0xc2ce8ed0, v9
	v_add_f32_e32 v2, v8, v2
	v_fma_f32 v11, 0x3fb8aa3b, v9, -v10
	v_rndne_f32_e32 v12, v10
	v_fmamk_f32 v11, v9, 0x32a5705f, v11
	v_sub_f32_e32 v10, v10, v12
	v_cvt_i32_f32_e32 v7, v12
	v_add_f32_e32 v10, v10, v11
	v_exp_f32_e32 v10, v10
	v_ldexp_f32 v3, v10, v7
	v_mul_f32_e32 v7, 0.5, v4
	v_cndmask_b32_e32 v3, 0, v3, vcc_lo
	v_cmp_nlt_f32_e32 vcc_lo, 0x42b17218, v9
	v_trunc_f32_e32 v10, v7
	v_cndmask_b32_e32 v3, 0x7f800000, v3, vcc_lo
	v_cmp_eq_f32_e32 vcc_lo, v6, v4
	v_cmp_neq_f32_e64 s6, v10, v7
	v_fma_f32 v2, v3, v2, v3
	v_cmp_class_f32_e64 s7, v3, 0x204
	s_and_b32 s6, vcc_lo, s6
	v_cndmask_b32_e64 v6, 1.0, v5, s6
	v_cndmask_b32_e64 v2, v2, v3, s7
	v_cmp_gt_f32_e64 s7, 0, v4
	v_bfi_b32 v2, 0x7fffffff, v2, v6
	s_xor_b32 s7, s7, s9
	v_cndmask_b32_e64 v6, 0, v5, s6
	v_cndmask_b32_e64 v3, 0x7f800000, 0, s7
	v_cmp_class_f32_e64 s6, v5, 0x204
	v_cndmask_b32_e32 v4, 0x7fc00000, v2, vcc_lo
	v_cmp_gt_f32_e32 vcc_lo, 0, v5
	v_bfi_b32 v3, 0x7fffffff, v3, v6
	v_cndmask_b32_e32 v2, v2, v4, vcc_lo
	s_or_b32 vcc_lo, s9, s6
	v_cndmask_b32_e32 v2, v2, v3, vcc_lo
	v_cmp_o_f32_e32 vcc_lo, v5, v5
	v_cndmask_b32_e32 v36, 0x7fc00000, v2, vcc_lo
.LBB56_4:
	s_load_dwordx4 s[48:51], s[4:5], 0x70
	s_lshl_b32 s35, s8, 5
	v_lshlrev_b32_e32 v3, 4, v0
	v_lshlrev_b32_e32 v26, 3, v0
	;; [unrolled: 1-line block ×3, first 2 shown]
	v_cmp_gt_u32_e64 s6, 18, v0
	v_add_nc_u32_e32 v2, 0x14e0, v26
	v_add_nc_u32_e32 v16, s35, v15
	s_waitcnt lgkmcnt(0)
	s_mul_i32 s7, s33, s50
	s_mul_i32 s9, s18, s49
	s_ashr_i32 s10, s7, 31
	s_add_u32 s7, s12, s7
	s_addc_u32 s10, s13, s10
	s_ashr_i32 s12, s9, 31
	s_add_u32 s7, s7, s9
	s_addc_u32 s9, s10, s12
	v_add_co_u32 v3, s7, s7, v3
	v_add_co_ci_u32_e64 v4, null, s9, 0, s7
	s_ashr_i32 s49, s48, 31
	s_mul_i32 s7, s11, s47
	s_lshr_b64 s[10:11], s[48:49], 2
	s_and_saveexec_b32 s9, s6
	s_cbranch_execz .LBB56_6
; %bb.5:
	v_mul_hi_u32 v5, v16, s28
	v_mad_u32_u24 v9, 0x240, v1, v2
	v_add_nc_u32_e32 v5, v16, v5
	v_lshrrev_b32_e32 v5, s29, v5
	v_mul_lo_u32 v5, v5, s30
	v_sub_nc_u32_e32 v7, v16, v5
	v_mad_u64_u32 v[5:6], null, s10, v7, 0
	v_mad_u64_u32 v[6:7], null, s11, v7, v[6:7]
	v_lshlrev_b64 v[5:6], 2, v[5:6]
	v_add_co_u32 v5, vcc_lo, v3, v5
	v_add_co_ci_u32_e64 v6, null, v4, v6, vcc_lo
	global_load_dwordx4 v[5:8], v[5:6], off
	s_waitcnt vmcnt(0)
	v_fma_mixlo_f16 v6, s36, v6, 0
	v_fma_mixlo_f16 v5, s36, v5, 0
	;; [unrolled: 1-line block ×4, first 2 shown]
	v_lshlrev_b32_e32 v6, 16, v6
	v_and_b32_e32 v5, 0xffff, v5
	v_and_b32_e32 v7, 0xffff, v7
	v_lshlrev_b32_e32 v8, 16, v8
	v_or_b32_e32 v5, v6, v5
	v_or3_b32 v6, v8, v7, 0
	v_or3_b32 v5, 0, 0, v5
	ds_write_b64 v9, v[5:6]
.LBB56_6:
	s_or_b32 exec_lo, exec_lo, s9
	v_or_b32_e32 v19, 1, v15
	s_mul_hi_u32 s9, s47, s7
	v_add_nc_u32_e32 v20, s35, v19
	s_and_saveexec_b32 s7, s6
	s_cbranch_execz .LBB56_8
; %bb.7:
	v_mul_hi_u32 v5, v20, s28
	v_mad_u32_u24 v9, 0x90, v19, v2
	v_add_nc_u32_e32 v5, v20, v5
	v_lshrrev_b32_e32 v5, s29, v5
	v_mul_lo_u32 v5, v5, s30
	v_sub_nc_u32_e32 v7, v20, v5
	v_mad_u64_u32 v[5:6], null, s10, v7, 0
	v_mad_u64_u32 v[6:7], null, s11, v7, v[6:7]
	v_lshlrev_b64 v[5:6], 2, v[5:6]
	v_add_co_u32 v5, vcc_lo, v3, v5
	v_add_co_ci_u32_e64 v6, null, v4, v6, vcc_lo
	global_load_dwordx4 v[5:8], v[5:6], off
	s_waitcnt vmcnt(0)
	v_fma_mixlo_f16 v6, s36, v6, 0
	v_fma_mixlo_f16 v5, s36, v5, 0
	;; [unrolled: 1-line block ×4, first 2 shown]
	v_lshlrev_b32_e32 v6, 16, v6
	v_and_b32_e32 v5, 0xffff, v5
	v_and_b32_e32 v7, 0xffff, v7
	v_lshlrev_b32_e32 v8, 16, v8
	v_or_b32_e32 v5, v6, v5
	v_or3_b32 v6, v8, v7, 0
	v_or3_b32 v5, 0, 0, v5
	ds_write_b64 v9, v[5:6]
.LBB56_8:
	s_or_b32 exec_lo, exec_lo, s7
	v_or_b32_e32 v18, 2, v15
	s_abs_i32 s7, s18
	s_add_i32 s47, s47, s9
	s_and_saveexec_b32 s9, s6
	s_cbranch_execz .LBB56_10
; %bb.9:
	v_add_nc_u32_e32 v5, s35, v18
	v_mad_u32_u24 v9, 0x90, v18, v2
	v_mul_hi_u32 v6, v5, s28
	v_add_nc_u32_e32 v6, v5, v6
	v_lshrrev_b32_e32 v6, s29, v6
	v_mul_lo_u32 v6, v6, s30
	v_sub_nc_u32_e32 v7, v5, v6
	v_mad_u64_u32 v[5:6], null, s10, v7, 0
	v_mad_u64_u32 v[6:7], null, s11, v7, v[6:7]
	v_lshlrev_b64 v[5:6], 2, v[5:6]
	v_add_co_u32 v5, vcc_lo, v3, v5
	v_add_co_ci_u32_e64 v6, null, v4, v6, vcc_lo
	global_load_dwordx4 v[5:8], v[5:6], off
	s_waitcnt vmcnt(0)
	v_fma_mixlo_f16 v6, s36, v6, 0
	v_fma_mixlo_f16 v5, s36, v5, 0
	;; [unrolled: 1-line block ×4, first 2 shown]
	v_lshlrev_b32_e32 v6, 16, v6
	v_and_b32_e32 v5, 0xffff, v5
	v_and_b32_e32 v7, 0xffff, v7
	v_lshlrev_b32_e32 v8, 16, v8
	v_or_b32_e32 v5, v6, v5
	v_or3_b32 v6, v8, v7, 0
	v_or3_b32 v5, 0, 0, v5
	ds_write_b64 v9, v[5:6]
.LBB56_10:
	s_or_b32 exec_lo, exec_lo, s9
	v_or_b32_e32 v17, 3, v15
	s_mul_hi_u32 s12, s7, s47
	s_and_saveexec_b32 s9, s6
	s_cbranch_execz .LBB56_12
; %bb.11:
	v_add_nc_u32_e32 v5, s35, v17
	v_mul_hi_u32 v6, v5, s28
	v_add_nc_u32_e32 v6, v5, v6
	v_lshrrev_b32_e32 v6, s29, v6
	v_mul_lo_u32 v6, v6, s30
	v_sub_nc_u32_e32 v7, v5, v6
	v_mad_u64_u32 v[5:6], null, s10, v7, 0
	v_mad_u64_u32 v[6:7], null, s11, v7, v[6:7]
	v_mad_u32_u24 v7, 0x90, v17, v2
	v_lshlrev_b64 v[5:6], 2, v[5:6]
	v_add_co_u32 v3, vcc_lo, v3, v5
	v_add_co_ci_u32_e64 v4, null, v4, v6, vcc_lo
	global_load_dwordx4 v[3:6], v[3:4], off
	s_waitcnt vmcnt(0)
	v_fma_mixlo_f16 v4, s36, v4, 0
	v_fma_mixlo_f16 v3, s36, v3, 0
	;; [unrolled: 1-line block ×4, first 2 shown]
	v_lshlrev_b32_e32 v4, 16, v4
	v_and_b32_e32 v3, 0xffff, v3
	v_and_b32_e32 v5, 0xffff, v5
	v_lshlrev_b32_e32 v6, 16, v6
	v_or_b32_e32 v4, v4, v3
	v_or3_b32 v3, v6, v5, 0
	v_or3_b32 v2, 0, 0, v4
	ds_write_b64 v7, v[2:3]
.LBB56_12:
	s_or_b32 exec_lo, exec_lo, s9
	s_ashr_i32 s19, s18, 31
	s_ashr_i32 s13, s46, 31
	s_cmp_eq_u64 s[22:23], 0
	s_waitcnt lgkmcnt(0)
	s_barrier
	buffer_gl0_inv
	s_cbranch_scc1 .LBB56_14
; %bb.13:
	s_load_dword s9, s[4:5], 0xd0
	s_waitcnt lgkmcnt(0)
	s_mul_i32 s9, s9, s33
	s_add_i32 s8, s9, s8
	s_mov_b32 s9, 0
	s_lshl_b64 s[8:9], s[8:9], 2
	s_add_u32 s8, s22, s8
	s_addc_u32 s9, s23, s9
	s_load_dword s42, s[8:9], 0x0
.LBB56_14:
	s_clause 0x1
	s_load_dwordx2 s[22:23], s[4:5], 0x8c
	s_load_dwordx4 s[8:11], s[4:5], 0x98
	s_ashr_i32 s44, s33, 31
	s_load_dwordx2 s[36:37], s[4:5], 0xa8
	s_ashr_i32 s38, s45, 1
	s_mul_i32 s45, s12, s43
	v_lshlrev_b32_e32 v14, 2, v0
	v_lshl_add_u32 v37, v1, 5, v0
	v_lshrrev_b32_e32 v39, 3, v0
	v_mul_u32_u24_e32 v38, 0xa0, v0
	v_lshl_add_u32 v31, v1, 8, 0x26e0
	v_and_b32_e32 v40, 28, v14
	v_mbcnt_lo_u32_b32 v21, -1, 0
	s_waitcnt lgkmcnt(0)
	s_ashr_i32 s39, s22, 2
	s_ashr_i32 s22, s10, 2
	s_mul_hi_u32 s10, s8, s33
	s_mul_i32 s46, s8, s44
	s_mul_i32 s9, s9, s33
	s_add_i32 s10, s10, s46
	s_mul_i32 s8, s8, s33
	s_add_i32 s10, s10, s9
	s_add_u32 s8, s14, s8
	s_addc_u32 s9, s15, s10
	s_sub_i32 s7, s7, s45
	s_xor_b32 s10, s19, s13
	s_add_i32 s13, s12, 1
	s_sub_i32 s14, s7, s43
	s_cmp_ge_u32 s7, s43
	s_mul_i32 s15, s36, s33
	s_cselect_b32 s12, s13, s12
	s_cselect_b32 s7, s14, s7
	s_add_i32 s13, s12, 1
	s_cmp_ge_u32 s7, s43
	s_cselect_b32 s7, s13, s12
	s_mul_hi_u32 s12, s36, s33
	s_xor_b32 s7, s7, s10
	s_mul_i32 s13, s36, s44
	s_sub_i32 s7, s7, s10
	s_mul_i32 s10, s37, s33
	s_mul_i32 s14, s7, s23
	;; [unrolled: 1-line block ×3, first 2 shown]
	s_ashr_i32 s23, s14, 31
	s_add_u32 s43, s8, s14
	s_addc_u32 s44, s9, s23
	s_add_i32 s8, s12, s13
	s_add_i32 s8, s8, s10
	s_add_u32 s9, s16, s15
	s_addc_u32 s8, s17, s8
	s_ashr_i32 s10, s7, 31
	s_add_u32 s23, s9, s7
	s_addc_u32 s36, s8, s10
	s_lshl_b32 s37, s34, 5
	s_sub_i32 s45, s42, 32
	s_cmp_ge_i32 s37, s45
	s_cbranch_scc1 .LBB56_30
; %bb.15:
	v_or_b32_e32 v8, 1, v16
	v_or_b32_e32 v9, 2, v16
	;; [unrolled: 1-line block ×3, first 2 shown]
	v_mul_hi_u32 v5, s28, v16
	v_add_nc_u32_e32 v6, v39, v15
	v_mul_hi_u32 v10, s28, v8
	v_mul_hi_u32 v12, s28, v9
	;; [unrolled: 1-line block ×3, first 2 shown]
	v_mul_lo_u32 v4, s39, v37
	v_mul_lo_u32 v2, s39, v6
	v_lshlrev_b32_e32 v7, 2, v40
	v_add_nc_u32_e32 v22, v16, v5
	s_movk_i32 s8, 0x80
	v_add_nc_u32_e32 v10, v8, v10
	v_add_nc_u32_e32 v12, v9, v12
	;; [unrolled: 1-line block ×3, first 2 shown]
	v_lshrrev_b32_e32 v22, s29, v22
	v_ashrrev_i32_e32 v3, 31, v2
	v_lshrrev_b32_e32 v10, s29, v10
	v_lshrrev_b32_e32 v12, s29, v12
	;; [unrolled: 1-line block ×3, first 2 shown]
	v_mul_lo_u32 v22, v22, s30
	v_ashrrev_i32_e32 v5, 31, v4
	v_mul_lo_u32 v10, v10, s30
	v_mul_lo_u32 v12, v12, s30
	v_mul_lo_u32 v13, v13, s30
	s_movk_i32 s9, 0x240
	v_mad_u32_u24 v42, 0xa0, v37, s8
	s_movk_i32 s8, 0x90
	v_sub_nc_u32_e32 v22, v16, v22
	v_mad_u32_u24 v41, 0xa0, v6, v7
	v_sub_nc_u32_e32 v8, v8, v10
	v_sub_nc_u32_e32 v9, v9, v12
	v_mul_lo_u32 v10, s22, v37
	v_mul_lo_u32 v12, s22, v6
	v_sub_nc_u32_e32 v11, v11, v13
	v_mul_lo_u32 v44, v22, s38
	v_mul_lo_u32 v45, v8, s38
	v_mul_lo_u32 v46, v9, s38
	v_mad_u32_u24 v49, 0x90, v6, v7
	v_mul_lo_u32 v47, v11, s38
	v_ashrrev_i32_e32 v11, 31, v10
	v_ashrrev_i32_e32 v13, 31, v12
	v_lshlrev_b64 v[6:7], 2, v[4:5]
	v_lshlrev_b64 v[8:9], 2, v[2:3]
	v_cmp_gt_u32_e64 s7, 32, v37
	v_lshlrev_b64 v[10:11], 2, v[10:11]
	v_lshlrev_b64 v[12:13], 2, v[12:13]
	v_mov_b32_e32 v23, 0
	v_mad_u32_u24 v43, v1, s9, 0x14e0
	s_cmp_lg_u64 s[40:41], 0
	v_mad_u32_u24 v48, v37, s8, 0x80
	v_mov_b32_e32 v58, 0xfeffffff
	v_lshlrev_b32_e32 v50, 2, v40
	v_mbcnt_lo_u32_b32 v51, -1, 0
	v_mov_b32_e32 v52, 0x10001
	v_mov_b32_e32 v25, 0
	;; [unrolled: 1-line block ×15, first 2 shown]
	s_cselect_b32 s46, -1, 0
	s_add_u32 s16, s4, 0xd0
	s_addc_u32 s17, s5, 0
.LBB56_16:                              ; =>This Inner Loop Header: Depth=1
	s_mul_hi_i32 s9, s37, s39
	s_mul_i32 s8, s37, s39
	s_lshl_b64 s[8:9], s[8:9], 2
	s_add_u32 s8, s43, s8
	s_addc_u32 s9, s44, s9
	s_and_saveexec_b32 s10, s7
	s_cbranch_execz .LBB56_18
; %bb.17:                               ;   in Loop: Header=BB56_16 Depth=1
	v_add_co_u32 v2, vcc_lo, s8, v6
	v_add_co_ci_u32_e64 v3, null, s9, v7, vcc_lo
	global_load_dwordx4 v[2:5], v[2:3], off offset:128
	s_waitcnt vmcnt(0)
	ds_write_b128 v42, v[2:5]
.LBB56_18:                              ;   in Loop: Header=BB56_16 Depth=1
	s_or_b32 exec_lo, exec_lo, s10
	v_add_co_u32 v2, vcc_lo, s8, v8
	v_add_co_ci_u32_e64 v3, null, s9, v9, vcc_lo
	v_add_co_u32 v2, vcc_lo, v2, v50
	v_add_co_ci_u32_e64 v3, null, 0, v3, vcc_lo
	s_andn2_b32 vcc_lo, exec_lo, s46
	global_load_dwordx4 v[2:5], v[2:3], off
	s_waitcnt vmcnt(0)
	ds_write_b128 v41, v[2:5]
	s_waitcnt lgkmcnt(0)
	s_barrier
	buffer_gl0_inv
	ds_read_b128 v[32:35], v38
	ds_read_b128 v[61:64], v43
	ds_read_b128 v[65:68], v43 offset:144
	ds_read_b128 v[69:72], v43 offset:288
	;; [unrolled: 1-line block ×3, first 2 shown]
	v_mov_b32_e32 v5, 0
	v_mov_b32_e32 v4, 0
	;; [unrolled: 1-line block ×4, first 2 shown]
	s_waitcnt lgkmcnt(3)
	;;#ASMSTART
	v_dot2_f32_f16 v5, v32, v61, v5
	;;#ASMEND
	;;#ASMSTART
	v_dot2_f32_f16 v5, v33, v62, v5
	;;#ASMEND
	;;#ASMSTART
	v_dot2_f32_f16 v5, v34, v63, v5
	;;#ASMEND
	;;#ASMSTART
	v_dot2_f32_f16 v5, v35, v64, v5
	;;#ASMEND
	s_waitcnt lgkmcnt(2)
	;;#ASMSTART
	v_dot2_f32_f16 v4, v32, v65, v4
	;;#ASMEND
	;;#ASMSTART
	v_dot2_f32_f16 v4, v33, v66, v4
	;;#ASMEND
	;;#ASMSTART
	v_dot2_f32_f16 v4, v34, v67, v4
	;;#ASMEND
	;;#ASMSTART
	v_dot2_f32_f16 v4, v35, v68, v4
	;;#ASMEND
	s_waitcnt lgkmcnt(1)
	;;#ASMSTART
	v_dot2_f32_f16 v3, v32, v69, v3
	;;#ASMEND
	;;#ASMSTART
	v_dot2_f32_f16 v3, v33, v70, v3
	;;#ASMEND
	;;#ASMSTART
	v_dot2_f32_f16 v3, v34, v71, v3
	;;#ASMEND
	;;#ASMSTART
	v_dot2_f32_f16 v3, v35, v72, v3
	;;#ASMEND
	s_waitcnt lgkmcnt(0)
	;;#ASMSTART
	v_dot2_f32_f16 v2, v32, v73, v2
	;;#ASMEND
	;;#ASMSTART
	v_dot2_f32_f16 v2, v33, v74, v2
	;;#ASMEND
	;;#ASMSTART
	v_dot2_f32_f16 v2, v34, v75, v2
	;;#ASMEND
	;;#ASMSTART
	v_dot2_f32_f16 v2, v35, v76, v2
	;;#ASMEND
	ds_read_b128 v[32:35], v38 offset:16
	ds_read_b128 v[61:64], v43 offset:16
	ds_read_b128 v[65:68], v43 offset:160
	ds_read_b128 v[69:72], v43 offset:304
	ds_read_b128 v[73:76], v43 offset:448
	s_waitcnt lgkmcnt(3)
	;;#ASMSTART
	v_dot2_f32_f16 v5, v32, v61, v5
	;;#ASMEND
	;;#ASMSTART
	v_dot2_f32_f16 v5, v33, v62, v5
	;;#ASMEND
	;;#ASMSTART
	v_dot2_f32_f16 v5, v34, v63, v5
	;;#ASMEND
	;;#ASMSTART
	v_dot2_f32_f16 v5, v35, v64, v5
	;;#ASMEND
	s_waitcnt lgkmcnt(2)
	;;#ASMSTART
	v_dot2_f32_f16 v4, v32, v65, v4
	;;#ASMEND
	;;#ASMSTART
	v_dot2_f32_f16 v4, v33, v66, v4
	;;#ASMEND
	;;#ASMSTART
	v_dot2_f32_f16 v4, v34, v67, v4
	;;#ASMEND
	;;#ASMSTART
	v_dot2_f32_f16 v4, v35, v68, v4
	;;#ASMEND
	s_waitcnt lgkmcnt(1)
	;;#ASMSTART
	v_dot2_f32_f16 v3, v32, v69, v3
	;;#ASMEND
	;;#ASMSTART
	v_dot2_f32_f16 v3, v33, v70, v3
	;;#ASMEND
	;;#ASMSTART
	v_dot2_f32_f16 v3, v34, v71, v3
	;;#ASMEND
	;;#ASMSTART
	v_dot2_f32_f16 v3, v35, v72, v3
	;;#ASMEND
	s_waitcnt lgkmcnt(0)
	;;#ASMSTART
	v_dot2_f32_f16 v2, v32, v73, v2
	;;#ASMEND
	;;#ASMSTART
	v_dot2_f32_f16 v2, v33, v74, v2
	;;#ASMEND
	;;#ASMSTART
	v_dot2_f32_f16 v2, v34, v75, v2
	;;#ASMEND
	;;#ASMSTART
	v_dot2_f32_f16 v2, v35, v76, v2
	;;#ASMEND
	ds_read_b128 v[32:35], v38 offset:32
	ds_read_b128 v[61:64], v43 offset:32
	ds_read_b128 v[65:68], v43 offset:176
	ds_read_b128 v[69:72], v43 offset:320
	ds_read_b128 v[73:76], v43 offset:464
	;; [unrolled: 57-line block ×8, first 2 shown]
	s_waitcnt lgkmcnt(3)
	;;#ASMSTART
	v_dot2_f32_f16 v5, v61, v65, v5
	;;#ASMEND
	;;#ASMSTART
	v_dot2_f32_f16 v5, v62, v66, v5
	;;#ASMEND
	;; [unrolled: 3-line block ×4, first 2 shown]
	s_waitcnt lgkmcnt(2)
	;;#ASMSTART
	v_dot2_f32_f16 v4, v61, v69, v4
	;;#ASMEND
	;;#ASMSTART
	v_dot2_f32_f16 v4, v62, v70, v4
	;;#ASMEND
	;; [unrolled: 3-line block ×4, first 2 shown]
	s_waitcnt lgkmcnt(1)
	;;#ASMSTART
	v_dot2_f32_f16 v3, v61, v73, v3
	;;#ASMEND
	v_add_nc_u32_e32 v33, s37, v0
	v_mov_b32_e32 v32, 0
	v_mov_b32_e32 v34, 0
	;;#ASMSTART
	v_dot2_f32_f16 v3, v62, v74, v3
	;;#ASMEND
	;;#ASMSTART
	v_dot2_f32_f16 v3, v63, v75, v3
	;;#ASMEND
	;; [unrolled: 3-line block ×3, first 2 shown]
	s_waitcnt lgkmcnt(0)
	;;#ASMSTART
	v_dot2_f32_f16 v2, v61, v77, v2
	;;#ASMEND
	;;#ASMSTART
	v_dot2_f32_f16 v2, v62, v78, v2
	;;#ASMEND
	;; [unrolled: 3-line block ×4, first 2 shown]
	s_cbranch_vccnz .LBB56_20
; %bb.19:                               ;   in Loop: Header=BB56_16 Depth=1
	v_add_nc_u32_e32 v34, v33, v44
	v_ashrrev_i32_e32 v35, 31, v34
	v_lshlrev_b64 v[34:35], 1, v[34:35]
	v_add_co_u32 v34, vcc_lo, s40, v34
	v_add_co_ci_u32_e64 v35, null, s41, v35, vcc_lo
	global_load_ushort v34, v[34:35], off
	s_waitcnt vmcnt(0)
	v_cvt_f32_f16_e32 v34, v34
	v_mul_f32_e32 v34, v36, v34
.LBB56_20:                              ;   in Loop: Header=BB56_16 Depth=1
	v_xor_b32_e32 v35, 16, v51
	v_add_f32_e32 v5, v5, v34
	v_max_f32_e32 v34, v58, v58
	v_xor_b32_e32 v62, 8, v51
	v_cmp_gt_i32_e32 vcc_lo, 32, v35
	v_add_f32_e32 v61, 0x40051340, v5
	v_cndmask_b32_e32 v35, v51, v35, vcc_lo
	v_max_f32_e32 v34, v34, v61
	v_cmp_gt_i32_e32 vcc_lo, 32, v62
	v_lshlrev_b32_e32 v35, 2, v35
	v_cndmask_b32_e32 v62, v51, v62, vcc_lo
	ds_bpermute_b32 v61, v35, v34
	s_waitcnt lgkmcnt(0)
	v_max_f32_e32 v63, v61, v61
	v_lshlrev_b32_e32 v61, 2, v62
	v_max_f32_e32 v34, v34, v63
	v_xor_b32_e32 v63, 4, v51
	ds_bpermute_b32 v62, v61, v34
	v_cmp_gt_i32_e32 vcc_lo, 32, v63
	v_cndmask_b32_e32 v63, v51, v63, vcc_lo
	s_waitcnt lgkmcnt(0)
	v_max_f32_e32 v64, v62, v62
	v_lshlrev_b32_e32 v62, 2, v63
	v_max_f32_e32 v34, v34, v64
	v_xor_b32_e32 v64, 2, v51
	ds_bpermute_b32 v63, v62, v34
	v_cmp_gt_i32_e32 vcc_lo, 32, v64
	v_cndmask_b32_e32 v64, v51, v64, vcc_lo
	s_waitcnt lgkmcnt(0)
	v_max_f32_e32 v65, v63, v63
	v_lshlrev_b32_e32 v63, 2, v64
	v_max_f32_e32 v34, v34, v65
	v_xor_b32_e32 v65, 1, v51
	ds_bpermute_b32 v64, v63, v34
	v_cmp_gt_i32_e32 vcc_lo, 32, v65
	v_cndmask_b32_e32 v65, v51, v65, vcc_lo
	s_andn2_b32 vcc_lo, exec_lo, s46
	v_lshlrev_b32_e32 v66, 2, v65
	s_waitcnt lgkmcnt(0)
	v_max_f32_e32 v64, v64, v64
	v_max_f32_e32 v64, v34, v64
	ds_bpermute_b32 v65, v66, v64
	s_cbranch_vccnz .LBB56_22
; %bb.21:                               ;   in Loop: Header=BB56_16 Depth=1
	v_add_nc_u32_e32 v67, v33, v45
	v_ashrrev_i32_e32 v68, 31, v67
	v_lshlrev_b64 v[67:68], 1, v[67:68]
	v_add_co_u32 v67, vcc_lo, s40, v67
	v_add_co_ci_u32_e64 v68, null, s41, v68, vcc_lo
	global_load_ushort v32, v[67:68], off
	s_waitcnt vmcnt(0)
	v_cvt_f32_f16_e32 v32, v32
	v_mul_f32_e32 v32, v36, v32
.LBB56_22:                              ;   in Loop: Header=BB56_16 Depth=1
	v_add_f32_e32 v32, v4, v32
	v_max_f32_e32 v34, v59, v59
	v_mov_b32_e32 v68, 0
	s_andn2_b32 vcc_lo, exec_lo, s46
	v_add_f32_e32 v4, 0x40051340, v32
	v_max_f32_e32 v4, v34, v4
	ds_bpermute_b32 v34, v35, v4
	s_waitcnt lgkmcnt(0)
	v_max_f32_e32 v34, v34, v34
	v_max_f32_e32 v4, v4, v34
	ds_bpermute_b32 v34, v61, v4
	s_waitcnt lgkmcnt(0)
	v_max_f32_e32 v34, v34, v34
	;; [unrolled: 4-line block ×4, first 2 shown]
	v_max_f32_e32 v4, v4, v34
	v_mov_b32_e32 v34, 0
	ds_bpermute_b32 v67, v66, v4
	s_cbranch_vccnz .LBB56_24
; %bb.23:                               ;   in Loop: Header=BB56_16 Depth=1
	v_add_nc_u32_e32 v69, v33, v46
	v_ashrrev_i32_e32 v70, 31, v69
	v_lshlrev_b64 v[69:70], 1, v[69:70]
	v_add_co_u32 v69, vcc_lo, s40, v69
	v_add_co_ci_u32_e64 v70, null, s41, v70, vcc_lo
	global_load_ushort v34, v[69:70], off
	s_waitcnt vmcnt(0)
	v_cvt_f32_f16_e32 v34, v34
	v_mul_f32_e32 v34, v36, v34
.LBB56_24:                              ;   in Loop: Header=BB56_16 Depth=1
	v_add_f32_e32 v34, v3, v34
	v_max_f32_e32 v69, v60, v60
	s_andn2_b32 vcc_lo, exec_lo, s46
	v_add_f32_e32 v3, 0x40051340, v34
	v_max_f32_e32 v3, v69, v3
	ds_bpermute_b32 v69, v35, v3
	s_waitcnt lgkmcnt(0)
	v_max_f32_e32 v69, v69, v69
	v_max_f32_e32 v3, v3, v69
	ds_bpermute_b32 v69, v61, v3
	s_waitcnt lgkmcnt(0)
	v_max_f32_e32 v69, v69, v69
	;; [unrolled: 4-line block ×4, first 2 shown]
	v_max_f32_e32 v3, v3, v69
	ds_bpermute_b32 v69, v66, v3
	s_cbranch_vccnz .LBB56_26
; %bb.25:                               ;   in Loop: Header=BB56_16 Depth=1
	v_add_nc_u32_e32 v70, v33, v47
	v_ashrrev_i32_e32 v71, 31, v70
	v_lshlrev_b64 v[70:71], 1, v[70:71]
	v_add_co_u32 v70, vcc_lo, s40, v70
	v_add_co_ci_u32_e64 v71, null, s41, v71, vcc_lo
	global_load_ushort v33, v[70:71], off
	s_waitcnt vmcnt(0)
	v_cvt_f32_f16_e32 v33, v33
	v_mul_f32_e32 v68, v36, v33
.LBB56_26:                              ;   in Loop: Header=BB56_16 Depth=1
	v_add_f32_e32 v33, v2, v68
	v_max_f32_e32 v2, v57, v57
	v_max_f32_e32 v64, v64, v64
	;; [unrolled: 1-line block ×3, first 2 shown]
	s_mul_hi_i32 s49, s37, s22
	v_add_f32_e32 v68, 0x40051340, v33
	s_mul_i32 s48, s37, s22
	s_waitcnt lgkmcnt(0)
	s_lshl_b64 s[48:49], s[48:49], 2
	s_barrier
	v_max_f32_e32 v2, v2, v68
	s_add_u32 s47, s23, s48
	s_addc_u32 s48, s36, s49
	buffer_gl0_inv
	ds_bpermute_b32 v35, v35, v2
	s_waitcnt lgkmcnt(0)
	v_max_f32_e32 v35, v35, v35
	v_max_f32_e32 v2, v2, v35
	ds_bpermute_b32 v35, v61, v2
	s_waitcnt lgkmcnt(0)
	v_max_f32_e32 v35, v35, v35
	v_max_f32_e32 v2, v2, v35
	ds_bpermute_b32 v35, v62, v2
	v_max_f32_e32 v62, v69, v69
	s_waitcnt lgkmcnt(0)
	v_max_f32_e32 v35, v35, v35
	v_max_f32_e32 v2, v2, v35
	ds_bpermute_b32 v35, v63, v2
	v_max_f32_e32 v63, v3, v3
	v_max_f32_e32 v3, v67, v67
	;; [unrolled: 1-line block ×4, first 2 shown]
	v_sub_f32_e32 v63, v32, v3
	v_sub_f32_e32 v32, v34, v4
	;; [unrolled: 1-line block ×4, first 2 shown]
	v_cmp_ngt_f32_e64 s12, 0xc2ce8ed0, v59
	s_waitcnt lgkmcnt(0)
	v_max_f32_e32 v35, v35, v35
	v_cmp_nlt_f32_e64 s11, 0x42b17218, v59
	v_cmp_ngt_f32_e64 s13, 0xc2ce8ed0, v60
	v_cmp_nlt_f32_e64 s14, 0x42b17218, v60
	v_max_f32_e32 v35, v2, v35
	v_max_f32_e32 v2, v65, v65
	v_add_nc_u32_e32 v65, v31, v26
	ds_bpermute_b32 v61, v66, v35
	v_max_f32_e32 v2, v64, v2
	v_sub_f32_e32 v62, v5, v2
	v_sub_f32_e32 v58, v58, v2
	v_mul_f32_e32 v34, 0x3fb8aa3b, v62
	v_cmp_ngt_f32_e32 vcc_lo, 0xc2ce8ed0, v62
	v_cmp_ngt_f32_e64 s10, 0xc2ce8ed0, v58
	v_cmp_nlt_f32_e64 s9, 0x42b17218, v58
	v_fma_f32 v64, 0x3fb8aa3b, v62, -v34
	v_rndne_f32_e32 v66, v34
	s_waitcnt lgkmcnt(0)
	v_max_f32_e32 v5, v61, v61
	v_mul_f32_e32 v61, 0x3fb8aa3b, v32
	v_fmac_f32_e32 v64, 0x32a5705f, v62
	v_sub_f32_e32 v34, v34, v66
	v_max_f32_e32 v5, v35, v5
	v_mul_f32_e32 v35, 0x3fb8aa3b, v63
	v_fma_f32 v69, 0x3fb8aa3b, v32, -v61
	v_rndne_f32_e32 v70, v61
	v_add_f32_e32 v34, v34, v64
	v_sub_f32_e32 v67, v33, v5
	v_fma_f32 v33, 0x3fb8aa3b, v63, -v35
	v_rndne_f32_e32 v68, v35
	v_fmac_f32_e32 v69, 0x32a5705f, v32
	v_sub_f32_e32 v61, v61, v70
	v_mul_f32_e32 v71, 0x3fb8aa3b, v67
	v_fmac_f32_e32 v33, 0x32a5705f, v63
	v_sub_f32_e32 v35, v35, v68
	v_exp_f32_e32 v34, v34
	v_sub_f32_e32 v57, v57, v5
	v_fma_f32 v72, 0x3fb8aa3b, v67, -v71
	v_rndne_f32_e32 v73, v71
	v_add_f32_e32 v33, v35, v33
	v_add_f32_e32 v35, v61, v69
	v_cmp_nlt_f32_e64 s8, 0x42b17218, v57
	v_fmac_f32_e32 v72, 0x32a5705f, v67
	v_sub_f32_e32 v64, v71, v73
	v_exp_f32_e32 v33, v33
	v_exp_f32_e32 v35, v35
	v_add_f32_e32 v61, v64, v72
	v_cvt_i32_f32_e32 v64, v66
	v_cvt_i32_f32_e32 v66, v68
	;; [unrolled: 1-line block ×3, first 2 shown]
	v_exp_f32_e32 v61, v61
	v_ldexp_f32 v34, v34, v64
	v_cvt_i32_f32_e32 v64, v73
	v_ldexp_f32 v33, v33, v66
	v_ldexp_f32 v35, v35, v68
	v_cndmask_b32_e32 v34, 0, v34, vcc_lo
	v_cmp_ngt_f32_e32 vcc_lo, 0xc2ce8ed0, v63
	v_ldexp_f32 v61, v61, v64
	v_cndmask_b32_e32 v64, 0, v33, vcc_lo
	v_cmp_ngt_f32_e32 vcc_lo, 0xc2ce8ed0, v32
	v_cndmask_b32_e32 v33, 0, v35, vcc_lo
	v_cmp_ngt_f32_e32 vcc_lo, 0xc2ce8ed0, v67
	v_cndmask_b32_e32 v35, 0, v61, vcc_lo
	v_cmp_nlt_f32_e32 vcc_lo, 0x42b17218, v62
	v_cndmask_b32_e32 v34, 0x7f800000, v34, vcc_lo
	v_cmp_nlt_f32_e32 vcc_lo, 0x42b17218, v32
	v_cvt_f16_f32_e32 v61, v34
	v_cndmask_b32_e32 v33, 0x7f800000, v33, vcc_lo
	v_cmp_nlt_f32_e32 vcc_lo, 0x42b17218, v67
	v_cvt_f16_f32_e32 v62, v33
	v_cndmask_b32_e32 v32, 0x7f800000, v35, vcc_lo
	v_cmp_nlt_f32_e32 vcc_lo, 0x42b17218, v63
	v_cvt_f16_f32_e32 v63, v32
	v_cndmask_b32_e32 v35, 0x7f800000, v64, vcc_lo
	v_cmp_ngt_f32_e32 vcc_lo, 0xc2ce8ed0, v57
	v_pack_b32_f16 v62, v62, v63
	v_cvt_f16_f32_e32 v64, v35
	v_pack_b32_f16 v61, v61, v64
	ds_write_b64 v65, v[61:62]
	s_and_saveexec_b32 s49, s7
	s_cbranch_execz .LBB56_28
; %bb.27:                               ;   in Loop: Header=BB56_16 Depth=1
	v_add_co_u32 v61, s15, s47, v10
	v_add_co_ci_u32_e64 v62, null, s48, v11, s15
	global_load_dwordx4 v[61:64], v[61:62], off offset:128
	s_waitcnt vmcnt(0)
	ds_write_b128 v48, v[61:64]
.LBB56_28:                              ;   in Loop: Header=BB56_16 Depth=1
	s_or_b32 exec_lo, exec_lo, s49
	v_add_co_u32 v61, s15, s47, v12
	v_add_co_ci_u32_e64 v62, null, s48, v13, s15
	v_mul_f32_e32 v65, 0x3fb8aa3b, v58
	v_add_co_u32 v61, s15, v61, v50
	v_add_co_ci_u32_e64 v62, null, 0, v62, s15
	v_mul_f32_e32 v66, 0x3fb8aa3b, v59
	v_mul_f32_e32 v67, 0x3fb8aa3b, v60
	v_fma_f32 v68, 0x3fb8aa3b, v58, -v65
	global_load_dwordx4 v[61:64], v[61:62], off
	v_rndne_f32_e32 v71, v65
	v_fma_f32 v69, 0x3fb8aa3b, v59, -v66
	v_fma_f32 v70, 0x3fb8aa3b, v60, -v67
	v_rndne_f32_e32 v72, v66
	v_rndne_f32_e32 v73, v67
	v_fmac_f32_e32 v68, 0x32a5705f, v58
	v_fmac_f32_e32 v69, 0x32a5705f, v59
	;; [unrolled: 1-line block ×3, first 2 shown]
	v_sub_f32_e32 v58, v65, v71
	v_sub_f32_e32 v59, v66, v72
	;; [unrolled: 1-line block ×3, first 2 shown]
	v_mul_f32_e32 v65, 0x3fb8aa3b, v57
	v_add_f32_e32 v58, v58, v68
	v_add_f32_e32 v59, v59, v69
	;; [unrolled: 1-line block ×3, first 2 shown]
	v_fma_f32 v66, 0x3fb8aa3b, v57, -v65
	v_rndne_f32_e32 v67, v65
	v_exp_f32_e32 v58, v58
	v_exp_f32_e32 v59, v59
	v_exp_f32_e32 v60, v60
	v_fmac_f32_e32 v66, 0x32a5705f, v57
	v_cvt_i32_f32_e32 v57, v71
	v_cvt_i32_f32_e32 v68, v72
	;; [unrolled: 1-line block ×3, first 2 shown]
	v_sub_f32_e32 v65, v65, v67
	v_ldexp_f32 v57, v58, v57
	v_ldexp_f32 v58, v59, v68
	;; [unrolled: 1-line block ×3, first 2 shown]
	v_add_f32_e32 v60, v65, v66
	v_cvt_i32_f32_e32 v65, v67
	v_cndmask_b32_e64 v57, 0, v57, s10
	v_cndmask_b32_e64 v58, 0, v58, s12
	;; [unrolled: 1-line block ×3, first 2 shown]
	v_exp_f32_e32 v60, v60
	v_cndmask_b32_e64 v57, 0x7f800000, v57, s9
	v_cndmask_b32_e64 v58, 0x7f800000, v58, s11
	;; [unrolled: 1-line block ×3, first 2 shown]
	v_fmac_f32_e32 v34, v54, v57
	v_fmac_f32_e32 v35, v55, v58
	;; [unrolled: 1-line block ×3, first 2 shown]
	v_ldexp_f32 v60, v60, v65
	v_cvt_f16_f32_e32 v57, v57
	v_cvt_f16_f32_e32 v58, v58
	;; [unrolled: 1-line block ×3, first 2 shown]
	v_cndmask_b32_e32 v60, 0, v60, vcc_lo
	v_mul_u32_u24_sdwa v57, v57, v52 dst_sel:DWORD dst_unused:UNUSED_PAD src0_sel:WORD_0 src1_sel:DWORD
	v_mul_u32_u24_sdwa v58, v58, v52 dst_sel:DWORD dst_unused:UNUSED_PAD src0_sel:WORD_0 src1_sel:DWORD
	;; [unrolled: 1-line block ×3, first 2 shown]
	v_cndmask_b32_e64 v60, 0x7f800000, v60, s8
	v_pk_mul_f16 v30, v30, v57
	v_pk_mul_f16 v29, v29, v58
	;; [unrolled: 1-line block ×3, first 2 shown]
	v_fmac_f32_e32 v32, v53, v60
	v_cvt_f16_f32_e32 v53, v60
	v_mul_u32_u24_sdwa v53, v53, v52 dst_sel:DWORD dst_unused:UNUSED_PAD src0_sel:WORD_0 src1_sel:DWORD
	s_waitcnt vmcnt(0)
	ds_write_b128 v49, v[61:64]
	s_waitcnt lgkmcnt(0)
	s_barrier
	buffer_gl0_inv
	ds_read_b128 v[61:64], v31
	ds_read_b128 v[65:68], v31 offset:16
	ds_read_b128 v[69:72], v31 offset:32
	;; [unrolled: 1-line block ×15, first 2 shown]
	s_waitcnt lgkmcnt(14)
	v_mul_u32_u24_sdwa v130, v65, v52 dst_sel:DWORD dst_unused:UNUSED_PAD src0_sel:WORD_0 src1_sel:DWORD
	s_waitcnt lgkmcnt(13)
	v_mul_u32_u24_sdwa v136, v71, v52 dst_sel:DWORD dst_unused:UNUSED_PAD src0_sel:WORD_0 src1_sel:DWORD
	v_mul_u32_u24_sdwa v137, v71, v52 dst_sel:DWORD dst_unused:UNUSED_PAD src0_sel:WORD_1 src1_sel:DWORD
	v_mul_u32_u24_sdwa v138, v72, v52 dst_sel:DWORD dst_unused:UNUSED_PAD src0_sel:WORD_0 src1_sel:DWORD
	v_mul_u32_u24_sdwa v71, v72, v52 dst_sel:DWORD dst_unused:UNUSED_PAD src0_sel:WORD_1 src1_sel:DWORD
	v_pk_mul_f16 v72, v25, v53
	v_pk_mul_f16 v53, v23, v53
	v_mul_u32_u24_sdwa v65, v65, v52 dst_sel:DWORD dst_unused:UNUSED_PAD src0_sel:WORD_1 src1_sel:DWORD
	v_mul_u32_u24_sdwa v131, v66, v52 dst_sel:DWORD dst_unused:UNUSED_PAD src0_sel:WORD_0 src1_sel:DWORD
	v_mul_u32_u24_sdwa v66, v66, v52 dst_sel:DWORD dst_unused:UNUSED_PAD src0_sel:WORD_1 src1_sel:DWORD
	v_mul_u32_u24_sdwa v132, v67, v52 dst_sel:DWORD dst_unused:UNUSED_PAD src0_sel:WORD_0 src1_sel:DWORD
	;; [unrolled: 2-line block ×3, first 2 shown]
	v_mul_u32_u24_sdwa v54, v61, v52 dst_sel:DWORD dst_unused:UNUSED_PAD src0_sel:WORD_0 src1_sel:DWORD
	v_mul_u32_u24_sdwa v55, v61, v52 dst_sel:DWORD dst_unused:UNUSED_PAD src0_sel:WORD_1 src1_sel:DWORD
	v_mul_u32_u24_sdwa v56, v62, v52 dst_sel:DWORD dst_unused:UNUSED_PAD src0_sel:WORD_0 src1_sel:DWORD
	v_mul_u32_u24_sdwa v125, v62, v52 dst_sel:DWORD dst_unused:UNUSED_PAD src0_sel:WORD_1 src1_sel:DWORD
	;; [unrolled: 2-line block ×4, first 2 shown]
	ds_read2_b64 v[61:64], v26 offset1:18
	v_mul_u32_u24_sdwa v68, v68, v52 dst_sel:DWORD dst_unused:UNUSED_PAD src0_sel:WORD_1 src1_sel:DWORD
	s_waitcnt lgkmcnt(13)
	v_mul_u32_u24_sdwa v142, v75, v52 dst_sel:DWORD dst_unused:UNUSED_PAD src0_sel:WORD_0 src1_sel:DWORD
	v_mul_u32_u24_sdwa v143, v75, v52 dst_sel:DWORD dst_unused:UNUSED_PAD src0_sel:WORD_1 src1_sel:DWORD
	v_mul_u32_u24_sdwa v134, v69, v52 dst_sel:DWORD dst_unused:UNUSED_PAD src0_sel:WORD_0 src1_sel:DWORD
	v_mul_u32_u24_sdwa v69, v69, v52 dst_sel:DWORD dst_unused:UNUSED_PAD src0_sel:WORD_1 src1_sel:DWORD
	v_mul_u32_u24_sdwa v135, v70, v52 dst_sel:DWORD dst_unused:UNUSED_PAD src0_sel:WORD_0 src1_sel:DWORD
	v_mul_u32_u24_sdwa v70, v70, v52 dst_sel:DWORD dst_unused:UNUSED_PAD src0_sel:WORD_1 src1_sel:DWORD
	v_mul_u32_u24_sdwa v139, v73, v52 dst_sel:DWORD dst_unused:UNUSED_PAD src0_sel:WORD_0 src1_sel:DWORD
	v_mul_u32_u24_sdwa v140, v73, v52 dst_sel:DWORD dst_unused:UNUSED_PAD src0_sel:WORD_1 src1_sel:DWORD
	v_mul_u32_u24_sdwa v141, v74, v52 dst_sel:DWORD dst_unused:UNUSED_PAD src0_sel:WORD_0 src1_sel:DWORD
	v_mul_u32_u24_sdwa v73, v74, v52 dst_sel:DWORD dst_unused:UNUSED_PAD src0_sel:WORD_1 src1_sel:DWORD
	v_mul_u32_u24_sdwa v144, v76, v52 dst_sel:DWORD dst_unused:UNUSED_PAD src0_sel:WORD_0 src1_sel:DWORD
	v_mul_u32_u24_sdwa v145, v76, v52 dst_sel:DWORD dst_unused:UNUSED_PAD src0_sel:WORD_1 src1_sel:DWORD
	s_waitcnt lgkmcnt(12)
	v_mul_u32_u24_sdwa v146, v77, v52 dst_sel:DWORD dst_unused:UNUSED_PAD src0_sel:WORD_0 src1_sel:DWORD
	v_mul_u32_u24_sdwa v147, v77, v52 dst_sel:DWORD dst_unused:UNUSED_PAD src0_sel:WORD_1 src1_sel:DWORD
	v_mul_u32_u24_sdwa v148, v78, v52 dst_sel:DWORD dst_unused:UNUSED_PAD src0_sel:WORD_0 src1_sel:DWORD
	v_mul_u32_u24_sdwa v149, v78, v52 dst_sel:DWORD dst_unused:UNUSED_PAD src0_sel:WORD_1 src1_sel:DWORD
	;; [unrolled: 2-line block ×3, first 2 shown]
	s_waitcnt lgkmcnt(0)
	v_pk_mul_f16 v60, v61, v54
	v_pk_fma_f16 v30, v62, v54, v30
	v_pk_fma_f16 v29, v62, v55, v29
	;; [unrolled: 1-line block ×5, first 2 shown]
	v_pk_mul_f16 v57, v61, v55
	v_pk_mul_f16 v60, v61, v56
	v_pk_fma_f16 v55, v62, v56, v28
	v_pk_fma_f16 v61, v64, v127, v29
	v_pk_fma_f16 v72, v63, v126, v27
	v_pk_fma_f16 v57, v24, v58, v57
	v_pk_fma_f16 v58, v22, v59, v60
	ds_read2_b64 v[22:25], v26 offset0:36 offset1:54
	v_pk_fma_f16 v60, v64, v126, v30
	ds_read2_b64 v[27:30], v26 offset0:72 offset1:90
	v_pk_fma_f16 v59, v63, v129, v54
	v_pk_fma_f16 v62, v64, v129, v53
	;; [unrolled: 1-line block ×5, first 2 shown]
	ds_read2_b64 v[53:56], v26 offset0:108 offset1:126
	v_add_nc_u32_e32 v74, 0x400, v26
	v_mul_u32_u24_sdwa v152, v80, v52 dst_sel:DWORD dst_unused:UNUSED_PAD src0_sel:WORD_0 src1_sel:DWORD
	v_mul_u32_u24_sdwa v153, v80, v52 dst_sel:DWORD dst_unused:UNUSED_PAD src0_sel:WORD_1 src1_sel:DWORD
	v_mul_u32_u24_sdwa v156, v82, v52 dst_sel:DWORD dst_unused:UNUSED_PAD src0_sel:WORD_0 src1_sel:DWORD
	v_mul_u32_u24_sdwa v157, v82, v52 dst_sel:DWORD dst_unused:UNUSED_PAD src0_sel:WORD_1 src1_sel:DWORD
	;; [unrolled: 2-line block ×5, first 2 shown]
	s_waitcnt lgkmcnt(2)
	v_pk_fma_f16 v75, v22, v66, v59
	v_pk_fma_f16 v62, v23, v66, v62
	;; [unrolled: 1-line block ×16, first 2 shown]
	ds_read2_b64 v[57:60], v26 offset0:144 offset1:162
	s_waitcnt lgkmcnt(2)
	v_pk_fma_f16 v75, v27, v70, v75
	v_pk_fma_f16 v70, v28, v70, v68
	;; [unrolled: 1-line block ×4, first 2 shown]
	ds_read2_b64 v[65:68], v74 offset0:124 offset1:142
	v_pk_fma_f16 v74, v28, v69, v76
	v_pk_fma_f16 v28, v28, v135, v78
	;; [unrolled: 1-line block ×12, first 2 shown]
	v_mul_u32_u24_sdwa v166, v87, v52 dst_sel:DWORD dst_unused:UNUSED_PAD src0_sel:WORD_0 src1_sel:DWORD
	v_mul_u32_u24_sdwa v167, v87, v52 dst_sel:DWORD dst_unused:UNUSED_PAD src0_sel:WORD_1 src1_sel:DWORD
	ds_read2_b64 v[61:64], v26 offset0:180 offset1:198
	s_waitcnt lgkmcnt(3)
	v_pk_fma_f16 v86, v53, v73, v75
	v_pk_fma_f16 v78, v54, v73, v78
	;; [unrolled: 1-line block ×8, first 2 shown]
	v_mul_u32_u24_sdwa v168, v88, v52 dst_sel:DWORD dst_unused:UNUSED_PAD src0_sel:WORD_0 src1_sel:DWORD
	v_mul_u32_u24_sdwa v169, v88, v52 dst_sel:DWORD dst_unused:UNUSED_PAD src0_sel:WORD_1 src1_sel:DWORD
	v_mul_u32_u24_sdwa v172, v90, v52 dst_sel:DWORD dst_unused:UNUSED_PAD src0_sel:WORD_0 src1_sel:DWORD
	v_mul_u32_u24_sdwa v173, v90, v52 dst_sel:DWORD dst_unused:UNUSED_PAD src0_sel:WORD_1 src1_sel:DWORD
	;; [unrolled: 2-line block ×4, first 2 shown]
	v_pk_fma_f16 v83, v55, v145, v86
	v_pk_fma_f16 v84, v56, v145, v78
	;; [unrolled: 1-line block ×8, first 2 shown]
	ds_read2_b64 v[22:25], v26 offset0:216 offset1:234
	s_waitcnt lgkmcnt(3)
	v_pk_fma_f16 v125, v57, v149, v83
	v_pk_fma_f16 v126, v58, v149, v84
	;; [unrolled: 1-line block ×8, first 2 shown]
	v_mul_u32_u24_sdwa v154, v81, v52 dst_sel:DWORD dst_unused:UNUSED_PAD src0_sel:WORD_0 src1_sel:DWORD
	v_mul_u32_u24_sdwa v155, v81, v52 dst_sel:DWORD dst_unused:UNUSED_PAD src0_sel:WORD_1 src1_sel:DWORD
	v_pk_fma_f16 v125, v59, v153, v125
	v_pk_fma_f16 v127, v60, v150, v127
	;; [unrolled: 1-line block ×8, first 2 shown]
	s_waitcnt lgkmcnt(1)
	v_pk_fma_f16 v59, v61, v157, v125
	v_pk_fma_f16 v60, v62, v157, v126
	;; [unrolled: 1-line block ×8, first 2 shown]
	v_mul_u32_u24_sdwa v162, v85, v52 dst_sel:DWORD dst_unused:UNUSED_PAD src0_sel:WORD_0 src1_sel:DWORD
	v_mul_u32_u24_sdwa v163, v85, v52 dst_sel:DWORD dst_unused:UNUSED_PAD src0_sel:WORD_1 src1_sel:DWORD
	v_add_nc_u32_e32 v81, 0x800, v26
	v_pk_fma_f16 v59, v63, v161, v59
	v_pk_fma_f16 v61, v64, v158, v125
	;; [unrolled: 1-line block ×8, first 2 shown]
	ds_read2_b64 v[69:72], v81 offset0:32 offset1:50
	s_waitcnt lgkmcnt(1)
	v_pk_fma_f16 v59, v22, v165, v59
	v_pk_fma_f16 v61, v23, v162, v61
	;; [unrolled: 1-line block ×8, first 2 shown]
	v_mul_u32_u24_sdwa v170, v89, v52 dst_sel:DWORD dst_unused:UNUSED_PAD src0_sel:WORD_0 src1_sel:DWORD
	v_mul_u32_u24_sdwa v171, v89, v52 dst_sel:DWORD dst_unused:UNUSED_PAD src0_sel:WORD_1 src1_sel:DWORD
	v_pk_fma_f16 v57, v24, v169, v59
	v_pk_fma_f16 v23, v25, v169, v23
	;; [unrolled: 1-line block ×8, first 2 shown]
	ds_read2_b64 v[27:30], v81 offset0:68 offset1:86
	v_pk_fma_f16 v24, v65, v173, v57
	v_pk_fma_f16 v57, v66, v170, v59
	v_pk_fma_f16 v59, v66, v171, v61
	v_pk_fma_f16 v25, v66, v172, v25
	v_pk_fma_f16 v23, v66, v173, v23
	v_pk_fma_f16 v58, v65, v170, v58
	v_pk_fma_f16 v60, v65, v171, v60
	v_pk_fma_f16 v22, v65, v172, v22
	v_mul_u32_u24_sdwa v178, v93, v52 dst_sel:DWORD dst_unused:UNUSED_PAD src0_sel:WORD_0 src1_sel:DWORD
	v_mul_u32_u24_sdwa v93, v93, v52 dst_sel:DWORD dst_unused:UNUSED_PAD src0_sel:WORD_1 src1_sel:DWORD
	v_mul_u32_u24_sdwa v179, v94, v52 dst_sel:DWORD dst_unused:UNUSED_PAD src0_sel:WORD_0 src1_sel:DWORD
	v_mul_u32_u24_sdwa v94, v94, v52 dst_sel:DWORD dst_unused:UNUSED_PAD src0_sel:WORD_1 src1_sel:DWORD
	v_pk_fma_f16 v24, v67, v177, v24
	v_pk_fma_f16 v23, v68, v177, v23
	v_pk_fma_f16 v57, v68, v174, v57
	v_pk_fma_f16 v59, v68, v175, v59
	v_pk_fma_f16 v25, v68, v176, v25
	v_pk_fma_f16 v58, v67, v174, v58
	v_pk_fma_f16 v60, v67, v175, v60
	v_pk_fma_f16 v22, v67, v176, v22
	v_mul_u32_u24_sdwa v180, v95, v52 dst_sel:DWORD dst_unused:UNUSED_PAD src0_sel:WORD_0 src1_sel:DWORD
	v_mul_u32_u24_sdwa v95, v95, v52 dst_sel:DWORD dst_unused:UNUSED_PAD src0_sel:WORD_1 src1_sel:DWORD
	v_mul_u32_u24_sdwa v181, v96, v52 dst_sel:DWORD dst_unused:UNUSED_PAD src0_sel:WORD_0 src1_sel:DWORD
	v_mul_u32_u24_sdwa v96, v96, v52 dst_sel:DWORD dst_unused:UNUSED_PAD src0_sel:WORD_1 src1_sel:DWORD
	ds_read2_b64 v[73:76], v81 offset0:104 offset1:122
	s_waitcnt lgkmcnt(2)
	v_pk_fma_f16 v24, v69, v94, v24
	v_pk_fma_f16 v57, v70, v178, v57
	v_pk_fma_f16 v23, v70, v94, v23
	v_pk_fma_f16 v59, v70, v93, v59
	v_pk_fma_f16 v25, v70, v179, v25
	v_pk_fma_f16 v58, v69, v178, v58
	v_pk_fma_f16 v60, v69, v93, v60
	v_pk_fma_f16 v22, v69, v179, v22
	v_mul_u32_u24_sdwa v182, v97, v52 dst_sel:DWORD dst_unused:UNUSED_PAD src0_sel:WORD_0 src1_sel:DWORD
	v_mul_u32_u24_sdwa v97, v97, v52 dst_sel:DWORD dst_unused:UNUSED_PAD src0_sel:WORD_1 src1_sel:DWORD
	v_mul_u32_u24_sdwa v183, v98, v52 dst_sel:DWORD dst_unused:UNUSED_PAD src0_sel:WORD_0 src1_sel:DWORD
	v_mul_u32_u24_sdwa v98, v98, v52 dst_sel:DWORD dst_unused:UNUSED_PAD src0_sel:WORD_1 src1_sel:DWORD
	v_pk_fma_f16 v24, v71, v96, v24
	v_pk_fma_f16 v57, v72, v180, v57
	v_pk_fma_f16 v23, v72, v96, v23
	v_pk_fma_f16 v59, v72, v95, v59
	v_pk_fma_f16 v25, v72, v181, v25
	v_pk_fma_f16 v58, v71, v180, v58
	v_pk_fma_f16 v60, v71, v95, v60
	v_pk_fma_f16 v22, v71, v181, v22
	v_mul_u32_u24_sdwa v184, v99, v52 dst_sel:DWORD dst_unused:UNUSED_PAD src0_sel:WORD_0 src1_sel:DWORD
	v_mul_u32_u24_sdwa v99, v99, v52 dst_sel:DWORD dst_unused:UNUSED_PAD src0_sel:WORD_1 src1_sel:DWORD
	v_mul_u32_u24_sdwa v185, v100, v52 dst_sel:DWORD dst_unused:UNUSED_PAD src0_sel:WORD_0 src1_sel:DWORD
	v_mul_u32_u24_sdwa v100, v100, v52 dst_sel:DWORD dst_unused:UNUSED_PAD src0_sel:WORD_1 src1_sel:DWORD
	ds_read2_b64 v[77:80], v81 offset0:140 offset1:158
	s_waitcnt lgkmcnt(2)
	;; [unrolled: 26-line block ×4, first 2 shown]
	v_pk_fma_f16 v24, v77, v106, v24
	v_pk_fma_f16 v27, v78, v190, v27
	;; [unrolled: 1-line block ×8, first 2 shown]
	v_mul_u32_u24_sdwa v194, v109, v52 dst_sel:DWORD dst_unused:UNUSED_PAD src0_sel:WORD_0 src1_sel:DWORD
	v_mul_u32_u24_sdwa v109, v109, v52 dst_sel:DWORD dst_unused:UNUSED_PAD src0_sel:WORD_1 src1_sel:DWORD
	v_mul_u32_u24_sdwa v195, v110, v52 dst_sel:DWORD dst_unused:UNUSED_PAD src0_sel:WORD_0 src1_sel:DWORD
	v_mul_u32_u24_sdwa v110, v110, v52 dst_sel:DWORD dst_unused:UNUSED_PAD src0_sel:WORD_1 src1_sel:DWORD
	v_add_nc_u32_e32 v85, 0xc00, v26
	v_pk_fma_f16 v24, v79, v108, v24
	v_pk_fma_f16 v27, v80, v192, v27
	;; [unrolled: 1-line block ×8, first 2 shown]
	v_mul_u32_u24_sdwa v196, v111, v52 dst_sel:DWORD dst_unused:UNUSED_PAD src0_sel:WORD_0 src1_sel:DWORD
	v_mul_u32_u24_sdwa v111, v111, v52 dst_sel:DWORD dst_unused:UNUSED_PAD src0_sel:WORD_1 src1_sel:DWORD
	v_mul_u32_u24_sdwa v197, v112, v52 dst_sel:DWORD dst_unused:UNUSED_PAD src0_sel:WORD_0 src1_sel:DWORD
	v_mul_u32_u24_sdwa v112, v112, v52 dst_sel:DWORD dst_unused:UNUSED_PAD src0_sel:WORD_1 src1_sel:DWORD
	ds_read2_b64 v[85:88], v85 offset0:120 offset1:138
	s_waitcnt lgkmcnt(2)
	v_pk_fma_f16 v24, v53, v110, v24
	v_pk_fma_f16 v27, v54, v194, v27
	;; [unrolled: 1-line block ×8, first 2 shown]
	v_mul_u32_u24_sdwa v198, v113, v52 dst_sel:DWORD dst_unused:UNUSED_PAD src0_sel:WORD_0 src1_sel:DWORD
	v_mul_u32_u24_sdwa v113, v113, v52 dst_sel:DWORD dst_unused:UNUSED_PAD src0_sel:WORD_1 src1_sel:DWORD
	v_mul_u32_u24_sdwa v199, v114, v52 dst_sel:DWORD dst_unused:UNUSED_PAD src0_sel:WORD_0 src1_sel:DWORD
	v_mul_u32_u24_sdwa v114, v114, v52 dst_sel:DWORD dst_unused:UNUSED_PAD src0_sel:WORD_1 src1_sel:DWORD
	v_add_nc_u32_e32 v89, 0x1000, v26
	v_pk_fma_f16 v24, v55, v112, v24
	v_pk_fma_f16 v27, v56, v196, v27
	;; [unrolled: 1-line block ×8, first 2 shown]
	v_mul_u32_u24_sdwa v200, v115, v52 dst_sel:DWORD dst_unused:UNUSED_PAD src0_sel:WORD_0 src1_sel:DWORD
	v_mul_u32_u24_sdwa v115, v115, v52 dst_sel:DWORD dst_unused:UNUSED_PAD src0_sel:WORD_1 src1_sel:DWORD
	v_mul_u32_u24_sdwa v201, v116, v52 dst_sel:DWORD dst_unused:UNUSED_PAD src0_sel:WORD_0 src1_sel:DWORD
	v_mul_u32_u24_sdwa v116, v116, v52 dst_sel:DWORD dst_unused:UNUSED_PAD src0_sel:WORD_1 src1_sel:DWORD
	ds_read2_b64 v[89:92], v89 offset0:28 offset1:46
	s_waitcnt lgkmcnt(2)
	v_pk_fma_f16 v24, v81, v114, v24
	v_pk_fma_f16 v27, v82, v198, v27
	;; [unrolled: 1-line block ×8, first 2 shown]
	s_waitcnt lgkmcnt(0)
	s_barrier
	buffer_gl0_inv
	s_load_dword s8, s[16:17], 0x4
	v_mul_u32_u24_sdwa v202, v117, v52 dst_sel:DWORD dst_unused:UNUSED_PAD src0_sel:WORD_0 src1_sel:DWORD
	v_mul_u32_u24_sdwa v117, v117, v52 dst_sel:DWORD dst_unused:UNUSED_PAD src0_sel:WORD_1 src1_sel:DWORD
	v_mul_u32_u24_sdwa v203, v118, v52 dst_sel:DWORD dst_unused:UNUSED_PAD src0_sel:WORD_0 src1_sel:DWORD
	v_mul_u32_u24_sdwa v118, v118, v52 dst_sel:DWORD dst_unused:UNUSED_PAD src0_sel:WORD_1 src1_sel:DWORD
	v_pk_fma_f16 v24, v83, v116, v24
	v_pk_fma_f16 v27, v84, v200, v27
	v_pk_fma_f16 v29, v84, v115, v29
	v_pk_fma_f16 v25, v84, v201, v25
	v_pk_fma_f16 v23, v84, v116, v23
	v_pk_fma_f16 v28, v83, v200, v28
	v_pk_fma_f16 v30, v83, v115, v30
	v_pk_fma_f16 v22, v83, v201, v22
	v_mul_u32_u24_sdwa v204, v119, v52 dst_sel:DWORD dst_unused:UNUSED_PAD src0_sel:WORD_0 src1_sel:DWORD
	v_mul_u32_u24_sdwa v119, v119, v52 dst_sel:DWORD dst_unused:UNUSED_PAD src0_sel:WORD_1 src1_sel:DWORD
	v_mul_u32_u24_sdwa v205, v120, v52 dst_sel:DWORD dst_unused:UNUSED_PAD src0_sel:WORD_0 src1_sel:DWORD
	v_mul_u32_u24_sdwa v120, v120, v52 dst_sel:DWORD dst_unused:UNUSED_PAD src0_sel:WORD_1 src1_sel:DWORD
	v_pk_fma_f16 v24, v85, v118, v24
	v_pk_fma_f16 v27, v86, v202, v27
	v_pk_fma_f16 v29, v86, v117, v29
	v_pk_fma_f16 v25, v86, v203, v25
	v_pk_fma_f16 v23, v86, v118, v23
	v_pk_fma_f16 v28, v85, v202, v28
	v_pk_fma_f16 v30, v85, v117, v30
	v_pk_fma_f16 v22, v85, v203, v22
	;; [unrolled: 12-line block ×4, first 2 shown]
	s_waitcnt lgkmcnt(0)
	s_lshl_b32 s8, s8, 5
	v_pk_fma_f16 v25, v91, v124, v24
	v_pk_fma_f16 v30, v92, v208, v27
	;; [unrolled: 1-line block ×8, first 2 shown]
	s_add_i32 s37, s8, s37
	s_cmp_lt_i32 s37, s45
	s_cbranch_scc0 .LBB56_31
; %bb.29:                               ;   in Loop: Header=BB56_16 Depth=1
	v_mov_b32_e32 v58, v2
	v_mov_b32_e32 v59, v3
	;; [unrolled: 1-line block ×8, first 2 shown]
	s_branch .LBB56_16
.LBB56_30:
	v_mov_b32_e32 v2, 0xfeffffff
	v_mov_b32_e32 v27, 0
	v_mov_b32_e32 v32, 0
	v_mov_b32_e32 v33, 0
	v_mov_b32_e32 v35, 0
	v_mov_b32_e32 v3, v2
	v_mov_b32_e32 v4, v2
	v_mov_b32_e32 v5, v2
	v_mov_b32_e32 v34, 0
	v_mov_b32_e32 v30, 0
	v_mov_b32_e32 v24, 0
	v_mov_b32_e32 v29, 0
	v_mov_b32_e32 v22, 0
	v_mov_b32_e32 v28, 0
	v_mov_b32_e32 v25, 0
	v_mov_b32_e32 v23, 0
.LBB56_31:
	s_cmp_gt_i32 s42, s37
	s_cbranch_scc1 .LBB56_34
; %bb.32:
	v_mbcnt_lo_u32_b32 v6, -1, 0
	v_mov_b32_e32 v41, 32
	v_xor_b32_e32 v46, 16, v6
	v_xor_b32_e32 v45, 8, v6
	;; [unrolled: 1-line block ×5, first 2 shown]
	s_cbranch_execz .LBB56_35
; %bb.33:
	v_mov_b32_e32 v21, v6
	s_branch .LBB56_59
.LBB56_34:
                                        ; implicit-def: $vgpr6
                                        ; implicit-def: $vgpr41
                                        ; implicit-def: $vgpr46
                                        ; implicit-def: $vgpr45
                                        ; implicit-def: $vgpr44
                                        ; implicit-def: $vgpr43
                                        ; implicit-def: $vgpr42
.LBB56_35:
	s_mul_hi_i32 s9, s37, s39
	s_mul_i32 s8, s37, s39
	s_sub_i32 s11, s42, s37
	s_lshl_b64 s[12:13], s[8:9], 2
	v_cmp_gt_u32_e64 s9, 32, v37
	v_cmp_gt_i32_e64 s8, s11, v37
	s_add_u32 s7, s43, s12
	s_addc_u32 s10, s44, s13
	s_and_saveexec_b32 s12, s9
	s_cbranch_execz .LBB56_37
; %bb.36:
	v_mul_lo_u32 v6, s39, v37
	s_mov_b64 s[14:15], src_private_base
	v_mov_b32_e32 v8, 0
	v_mul_u32_u24_e32 v10, 0xa0, v37
	buffer_store_dword v8, off, s[0:3], 0
	buffer_store_dword v8, off, s[0:3], 0 offset:4
	buffer_store_dword v8, off, s[0:3], 0 offset:8
	;; [unrolled: 1-line block ×3, first 2 shown]
	v_ashrrev_i32_e32 v7, 31, v6
	v_lshlrev_b64 v[6:7], 2, v[6:7]
	v_add_co_u32 v6, vcc_lo, s7, v6
	v_add_co_ci_u32_e64 v7, null, s10, v7, vcc_lo
	v_add_co_u32 v6, vcc_lo, 0x80, v6
	v_add_co_ci_u32_e64 v7, null, 0, v7, vcc_lo
	v_cndmask_b32_e64 v6, 0, v6, s8
	v_cndmask_b32_e64 v7, s15, v7, s8
	flat_load_dwordx4 v[6:9], v[6:7]
	s_waitcnt vmcnt(0) lgkmcnt(0)
	ds_write_b128 v10, v[6:9] offset:128
.LBB56_37:
	s_or_b32 exec_lo, exec_lo, s12
	v_add_nc_u32_e32 v39, v39, v15
	v_lshlrev_b32_e32 v40, 2, v40
	s_mov_b64 s[12:13], src_private_base
	v_mov_b32_e32 v41, 0
	v_mul_u32_u24_e32 v1, 0x240, v1
	v_mul_lo_u32 v6, s39, v39
	buffer_store_dword v41, off, s[0:3], 0
	buffer_store_dword v41, off, s[0:3], 0 offset:4
	buffer_store_dword v41, off, s[0:3], 0 offset:8
	;; [unrolled: 1-line block ×3, first 2 shown]
	v_mad_u32_u24 v10, 0xa0, v39, v40
	v_mov_b32_e32 v13, 0
	v_mov_b32_e32 v12, 0
	;; [unrolled: 1-line block ×3, first 2 shown]
	v_ashrrev_i32_e32 v7, 31, v6
	s_cmp_lg_u64 s[40:41], 0
	v_lshlrev_b64 v[6:7], 2, v[6:7]
	v_add_co_u32 v6, vcc_lo, s7, v6
	v_add_co_ci_u32_e64 v7, null, s10, v7, vcc_lo
	v_cmp_gt_i32_e64 s7, s11, v39
	v_add_co_u32 v6, vcc_lo, v6, v40
	v_add_co_ci_u32_e64 v7, null, 0, v7, vcc_lo
	v_cmp_gt_i32_e64 s10, s11, v0
	v_cndmask_b32_e64 v6, 0, v6, s7
	v_cndmask_b32_e64 v7, s13, v7, s7
	s_cselect_b32 s13, -1, 0
	flat_load_dwordx4 v[6:9], v[6:7]
	s_waitcnt vmcnt(0) lgkmcnt(0)
	ds_write_b128 v10, v[6:9]
	s_waitcnt lgkmcnt(0)
	s_waitcnt_vscnt null, 0x0
	s_barrier
	buffer_gl0_inv
	ds_read_b128 v[6:9], v38
	ds_read_b128 v[42:45], v1 offset:5344
	ds_read_b128 v[46:49], v1 offset:5488
	;; [unrolled: 1-line block ×4, first 2 shown]
	v_mov_b32_e32 v10, 0
	s_waitcnt lgkmcnt(3)
	;;#ASMSTART
	v_dot2_f32_f16 v13, v6, v42, v13
	;;#ASMEND
	;;#ASMSTART
	v_dot2_f32_f16 v13, v7, v43, v13
	;;#ASMEND
	;;#ASMSTART
	v_dot2_f32_f16 v13, v8, v44, v13
	;;#ASMEND
	;;#ASMSTART
	v_dot2_f32_f16 v13, v9, v45, v13
	;;#ASMEND
	s_waitcnt lgkmcnt(2)
	;;#ASMSTART
	v_dot2_f32_f16 v12, v6, v46, v12
	;;#ASMEND
	;;#ASMSTART
	v_dot2_f32_f16 v12, v7, v47, v12
	;;#ASMEND
	;;#ASMSTART
	v_dot2_f32_f16 v12, v8, v48, v12
	;;#ASMEND
	;;#ASMSTART
	v_dot2_f32_f16 v12, v9, v49, v12
	;;#ASMEND
	s_waitcnt lgkmcnt(1)
	;;#ASMSTART
	v_dot2_f32_f16 v11, v6, v50, v11
	;;#ASMEND
	;;#ASMSTART
	v_dot2_f32_f16 v11, v7, v51, v11
	;;#ASMEND
	;;#ASMSTART
	v_dot2_f32_f16 v11, v8, v52, v11
	;;#ASMEND
	;;#ASMSTART
	v_dot2_f32_f16 v11, v9, v53, v11
	;;#ASMEND
	s_waitcnt lgkmcnt(0)
	;;#ASMSTART
	v_dot2_f32_f16 v10, v6, v54, v10
	;;#ASMEND
	;;#ASMSTART
	v_dot2_f32_f16 v10, v7, v55, v10
	;;#ASMEND
	;;#ASMSTART
	v_dot2_f32_f16 v10, v8, v56, v10
	;;#ASMEND
	;;#ASMSTART
	v_dot2_f32_f16 v10, v9, v57, v10
	;;#ASMEND
	ds_read_b128 v[6:9], v38 offset:16
	ds_read_b128 v[42:45], v1 offset:5360
	ds_read_b128 v[46:49], v1 offset:5504
	ds_read_b128 v[50:53], v1 offset:5648
	ds_read_b128 v[54:57], v1 offset:5792
	s_waitcnt lgkmcnt(3)
	;;#ASMSTART
	v_dot2_f32_f16 v13, v6, v42, v13
	;;#ASMEND
	;;#ASMSTART
	v_dot2_f32_f16 v13, v7, v43, v13
	;;#ASMEND
	;;#ASMSTART
	v_dot2_f32_f16 v13, v8, v44, v13
	;;#ASMEND
	;;#ASMSTART
	v_dot2_f32_f16 v13, v9, v45, v13
	;;#ASMEND
	s_waitcnt lgkmcnt(2)
	;;#ASMSTART
	v_dot2_f32_f16 v12, v6, v46, v12
	;;#ASMEND
	;;#ASMSTART
	v_dot2_f32_f16 v12, v7, v47, v12
	;;#ASMEND
	;;#ASMSTART
	v_dot2_f32_f16 v12, v8, v48, v12
	;;#ASMEND
	;;#ASMSTART
	v_dot2_f32_f16 v12, v9, v49, v12
	;;#ASMEND
	s_waitcnt lgkmcnt(1)
	;;#ASMSTART
	v_dot2_f32_f16 v11, v6, v50, v11
	;;#ASMEND
	;;#ASMSTART
	v_dot2_f32_f16 v11, v7, v51, v11
	;;#ASMEND
	;;#ASMSTART
	v_dot2_f32_f16 v11, v8, v52, v11
	;;#ASMEND
	;;#ASMSTART
	v_dot2_f32_f16 v11, v9, v53, v11
	;;#ASMEND
	s_waitcnt lgkmcnt(0)
	;;#ASMSTART
	v_dot2_f32_f16 v10, v6, v54, v10
	;;#ASMEND
	;;#ASMSTART
	v_dot2_f32_f16 v10, v7, v55, v10
	;;#ASMEND
	;;#ASMSTART
	v_dot2_f32_f16 v10, v8, v56, v10
	;;#ASMEND
	;;#ASMSTART
	v_dot2_f32_f16 v10, v9, v57, v10
	;;#ASMEND
	ds_read_b128 v[6:9], v38 offset:32
	ds_read_b128 v[42:45], v1 offset:5376
	ds_read_b128 v[46:49], v1 offset:5520
	ds_read_b128 v[50:53], v1 offset:5664
	ds_read_b128 v[54:57], v1 offset:5808
	;; [unrolled: 57-line block ×8, first 2 shown]
	s_waitcnt lgkmcnt(3)
	;;#ASMSTART
	v_dot2_f32_f16 v13, v42, v46, v13
	;;#ASMEND
	;;#ASMSTART
	v_dot2_f32_f16 v13, v43, v47, v13
	;;#ASMEND
	;; [unrolled: 3-line block ×4, first 2 shown]
	s_waitcnt lgkmcnt(2)
	;;#ASMSTART
	v_dot2_f32_f16 v12, v42, v50, v12
	;;#ASMEND
	;;#ASMSTART
	v_dot2_f32_f16 v12, v43, v51, v12
	;;#ASMEND
	;; [unrolled: 3-line block ×3, first 2 shown]
	v_mov_b32_e32 v9, v5
	;;#ASMSTART
	v_dot2_f32_f16 v12, v45, v53, v12
	;;#ASMEND
	s_waitcnt lgkmcnt(1)
	;;#ASMSTART
	v_dot2_f32_f16 v11, v42, v54, v11
	;;#ASMEND
	v_add_nc_u32_e32 v1, s37, v0
	v_mov_b32_e32 v8, v4
	v_mov_b32_e32 v7, v3
	;; [unrolled: 1-line block ×3, first 2 shown]
	v_cndmask_b32_e64 v38, 0, 1, s13
	;;#ASMSTART
	v_dot2_f32_f16 v11, v43, v55, v11
	;;#ASMEND
	;;#ASMSTART
	v_dot2_f32_f16 v11, v44, v56, v11
	;;#ASMEND
	;; [unrolled: 3-line block ×3, first 2 shown]
	s_waitcnt lgkmcnt(0)
	;;#ASMSTART
	v_dot2_f32_f16 v10, v42, v58, v10
	;;#ASMEND
	;;#ASMSTART
	v_dot2_f32_f16 v10, v43, v59, v10
	;;#ASMEND
	;; [unrolled: 3-line block ×4, first 2 shown]
	s_and_saveexec_b32 s12, s10
	s_cbranch_execz .LBB56_41
; %bb.38:
	s_andn2_b32 vcc_lo, exec_lo, s13
	s_cbranch_vccnz .LBB56_40
; %bb.39:
	v_mul_hi_u32 v6, s28, v16
	v_add_nc_u32_e32 v6, v16, v6
	v_lshrrev_b32_e32 v6, s29, v6
	v_mul_lo_u32 v6, v6, s30
	v_sub_nc_u32_e32 v6, v16, v6
	v_mad_u64_u32 v[6:7], null, v6, s38, v[1:2]
	v_ashrrev_i32_e32 v7, 31, v6
	v_lshlrev_b64 v[6:7], 1, v[6:7]
	v_add_co_u32 v6, vcc_lo, s40, v6
	v_add_co_ci_u32_e64 v7, null, s41, v7, vcc_lo
	global_load_ushort v6, v[6:7], off
	s_waitcnt vmcnt(0)
	v_cvt_f32_f16_e32 v6, v6
	v_mul_f32_e32 v41, v36, v6
.LBB56_40:
	v_add_f32_e32 v13, v13, v41
	v_max_f32_e32 v41, v2, v2
	v_mov_b32_e32 v9, v5
	v_mov_b32_e32 v6, v2
	;; [unrolled: 1-line block ×3, first 2 shown]
	v_add_f32_e32 v42, 0x40051340, v13
	v_mov_b32_e32 v7, v3
	v_max_f32_e32 v6, v41, v42
.LBB56_41:
	s_or_b32 exec_lo, exec_lo, s12
	v_xor_b32_e32 v46, 16, v21
	v_xor_b32_e32 v45, 8, v21
	;; [unrolled: 1-line block ×4, first 2 shown]
	v_cmp_gt_i32_e32 vcc_lo, 32, v46
	v_cndmask_b32_e32 v41, v21, v46, vcc_lo
	v_cmp_gt_i32_e32 vcc_lo, 32, v45
	v_lshlrev_b32_e32 v47, 2, v41
	v_cndmask_b32_e32 v42, v21, v45, vcc_lo
	v_cmp_gt_i32_e32 vcc_lo, 32, v44
	ds_bpermute_b32 v41, v47, v6
	v_max_f32_e32 v6, v6, v6
	v_lshlrev_b32_e32 v48, 2, v42
	v_cndmask_b32_e32 v42, v21, v44, vcc_lo
	v_cmp_gt_i32_e32 vcc_lo, 32, v43
	v_lshlrev_b32_e32 v49, 2, v42
	v_cndmask_b32_e32 v42, v21, v43, vcc_lo
	v_lshlrev_b32_e32 v50, 2, v42
	v_xor_b32_e32 v42, 1, v21
	v_cmp_gt_i32_e32 vcc_lo, 32, v42
	s_waitcnt lgkmcnt(0)
	v_max_f32_e32 v41, v41, v41
	v_cndmask_b32_e32 v51, v21, v42, vcc_lo
	v_max_f32_e32 v6, v6, v41
	v_lshlrev_b32_e32 v51, 2, v51
	ds_bpermute_b32 v41, v48, v6
	s_waitcnt lgkmcnt(0)
	v_max_f32_e32 v41, v41, v41
	v_max_f32_e32 v6, v6, v41
	ds_bpermute_b32 v41, v49, v6
	s_waitcnt lgkmcnt(0)
	v_max_f32_e32 v41, v41, v41
	v_max_f32_e32 v6, v6, v41
	;; [unrolled: 4-line block ×3, first 2 shown]
	ds_bpermute_b32 v41, v51, v6
	s_waitcnt lgkmcnt(0)
	v_max_f32_e32 v52, v41, v41
	v_mov_b32_e32 v41, 32
	v_max_f32_e32 v6, v6, v52
	s_and_saveexec_b32 s12, s10
	s_cbranch_execz .LBB56_46
; %bb.42:
	v_cmp_ne_u32_e32 vcc_lo, 1, v38
	s_cbranch_vccnz .LBB56_44
; %bb.43:
	v_or_b32_e32 v52, 1, v16
	v_mul_hi_u32 v53, s28, v52
	v_add_nc_u32_e32 v53, v52, v53
	v_lshrrev_b32_e32 v53, s29, v53
	v_mul_lo_u32 v53, v53, s30
	v_sub_nc_u32_e32 v52, v52, v53
	v_mad_u64_u32 v[52:53], null, v52, s38, v[1:2]
	v_ashrrev_i32_e32 v53, 31, v52
	v_lshlrev_b64 v[52:53], 1, v[52:53]
	v_add_co_u32 v52, vcc_lo, s40, v52
	v_add_co_ci_u32_e64 v53, null, s41, v53, vcc_lo
	global_load_ushort v52, v[52:53], off
	s_waitcnt vmcnt(0)
	v_cvt_f32_f16_e32 v52, v52
	v_mul_f32_e32 v52, v36, v52
	s_branch .LBB56_45
.LBB56_44:
	v_mov_b32_e32 v52, 0
.LBB56_45:
	v_add_f32_e32 v12, v12, v52
	v_max_f32_e32 v7, v7, v7
	v_add_f32_e32 v52, 0x40051340, v12
	v_max_f32_e32 v7, v7, v52
.LBB56_46:
	s_or_b32 exec_lo, exec_lo, s12
	ds_bpermute_b32 v52, v47, v7
	v_max_f32_e32 v7, v7, v7
	s_waitcnt lgkmcnt(0)
	v_max_f32_e32 v52, v52, v52
	v_max_f32_e32 v7, v7, v52
	ds_bpermute_b32 v52, v48, v7
	s_waitcnt lgkmcnt(0)
	v_max_f32_e32 v52, v52, v52
	v_max_f32_e32 v7, v7, v52
	ds_bpermute_b32 v52, v49, v7
	;; [unrolled: 4-line block ×4, first 2 shown]
	s_waitcnt lgkmcnt(0)
	v_max_f32_e32 v52, v52, v52
	v_max_f32_e32 v7, v7, v52
	s_and_saveexec_b32 s12, s10
	s_cbranch_execz .LBB56_51
; %bb.47:
	v_cmp_ne_u32_e32 vcc_lo, 1, v38
	s_cbranch_vccnz .LBB56_49
; %bb.48:
	v_or_b32_e32 v52, 2, v16
	v_mul_hi_u32 v53, s28, v52
	v_add_nc_u32_e32 v53, v52, v53
	v_lshrrev_b32_e32 v53, s29, v53
	v_mul_lo_u32 v53, v53, s30
	v_sub_nc_u32_e32 v52, v52, v53
	v_mad_u64_u32 v[52:53], null, v52, s38, v[1:2]
	v_ashrrev_i32_e32 v53, 31, v52
	v_lshlrev_b64 v[52:53], 1, v[52:53]
	v_add_co_u32 v52, vcc_lo, s40, v52
	v_add_co_ci_u32_e64 v53, null, s41, v53, vcc_lo
	global_load_ushort v52, v[52:53], off
	s_waitcnt vmcnt(0)
	v_cvt_f32_f16_e32 v52, v52
	v_mul_f32_e32 v52, v36, v52
	s_branch .LBB56_50
.LBB56_49:
	v_mov_b32_e32 v52, 0
.LBB56_50:
	v_add_f32_e32 v11, v11, v52
	v_max_f32_e32 v8, v8, v8
	v_add_f32_e32 v52, 0x40051340, v11
	v_max_f32_e32 v8, v8, v52
.LBB56_51:
	s_or_b32 exec_lo, exec_lo, s12
	ds_bpermute_b32 v52, v47, v8
	v_max_f32_e32 v8, v8, v8
	s_waitcnt lgkmcnt(0)
	v_max_f32_e32 v52, v52, v52
	v_max_f32_e32 v8, v8, v52
	ds_bpermute_b32 v52, v48, v8
	s_waitcnt lgkmcnt(0)
	v_max_f32_e32 v52, v52, v52
	v_max_f32_e32 v8, v8, v52
	ds_bpermute_b32 v52, v49, v8
	s_waitcnt lgkmcnt(0)
	v_max_f32_e32 v52, v52, v52
	v_max_f32_e32 v8, v8, v52
	ds_bpermute_b32 v52, v50, v8
	s_waitcnt lgkmcnt(0)
	v_max_f32_e32 v52, v52, v52
	v_max_f32_e32 v8, v8, v52
	ds_bpermute_b32 v52, v51, v8
	s_waitcnt lgkmcnt(0)
	v_max_f32_e32 v52, v52, v52
	v_max_f32_e32 v8, v8, v52
	s_and_saveexec_b32 s12, s10
	s_cbranch_execz .LBB56_56
; %bb.52:
	v_cmp_ne_u32_e32 vcc_lo, 1, v38
	s_cbranch_vccnz .LBB56_54
; %bb.53:
	v_or_b32_e32 v38, 3, v16
	v_mul_hi_u32 v52, s28, v38
	v_add_nc_u32_e32 v52, v38, v52
	v_lshrrev_b32_e32 v52, s29, v52
	v_mul_lo_u32 v52, v52, s30
	v_sub_nc_u32_e32 v38, v38, v52
	v_mad_u64_u32 v[52:53], null, v38, s38, v[1:2]
	v_ashrrev_i32_e32 v53, 31, v52
	v_lshlrev_b64 v[52:53], 1, v[52:53]
	v_add_co_u32 v52, vcc_lo, s40, v52
	v_add_co_ci_u32_e64 v53, null, s41, v53, vcc_lo
	global_load_ushort v1, v[52:53], off
	s_waitcnt vmcnt(0)
	v_cvt_f32_f16_e32 v1, v1
	v_mul_f32_e32 v1, v36, v1
	s_branch .LBB56_55
.LBB56_54:
	v_mov_b32_e32 v1, 0
.LBB56_55:
	v_add_f32_e32 v10, v10, v1
	v_max_f32_e32 v9, v9, v9
	v_add_f32_e32 v1, 0x40051340, v10
	v_max_f32_e32 v9, v9, v1
.LBB56_56:
	s_or_b32 exec_lo, exec_lo, s12
	ds_bpermute_b32 v1, v47, v9
	v_max_f32_e32 v9, v9, v9
	v_sub_f32_e32 v13, v13, v6
	v_sub_f32_e32 v12, v12, v7
	;; [unrolled: 1-line block ×3, first 2 shown]
	s_waitcnt lgkmcnt(0)
	s_barrier
	v_mul_f32_e32 v36, 0x3fb8aa3b, v13
	v_mul_f32_e32 v38, 0x3fb8aa3b, v12
	;; [unrolled: 1-line block ×3, first 2 shown]
	v_cmp_ngt_f32_e32 vcc_lo, 0xc2ce8ed0, v13
	v_cmp_nlt_f32_e64 s10, 0x42b17218, v11
	buffer_gl0_inv
	v_rndne_f32_e32 v52, v47
	v_max_f32_e32 v1, v1, v1
	v_max_f32_e32 v1, v9, v1
	ds_bpermute_b32 v9, v48, v1
	v_rndne_f32_e32 v48, v36
	s_waitcnt lgkmcnt(0)
	v_max_f32_e32 v9, v9, v9
	v_max_f32_e32 v1, v1, v9
	ds_bpermute_b32 v9, v49, v1
	v_fma_f32 v49, 0x3fb8aa3b, v12, -v38
	v_fmac_f32_e32 v49, 0x32a5705f, v12
	s_waitcnt lgkmcnt(0)
	v_max_f32_e32 v9, v9, v9
	v_max_f32_e32 v1, v1, v9
	ds_bpermute_b32 v9, v50, v1
	v_rndne_f32_e32 v50, v38
	v_sub_f32_e32 v38, v38, v50
	s_waitcnt lgkmcnt(0)
	v_max_f32_e32 v9, v9, v9
	v_max_f32_e32 v1, v1, v9
	ds_bpermute_b32 v9, v51, v1
	v_fma_f32 v51, 0x3fb8aa3b, v11, -v47
	v_sub_f32_e32 v47, v47, v52
	v_fmac_f32_e32 v51, 0x32a5705f, v11
	s_waitcnt lgkmcnt(0)
	v_max_f32_e32 v9, v9, v9
	v_max_f32_e32 v9, v1, v9
	v_fma_f32 v1, 0x3fb8aa3b, v13, -v36
	v_sub_f32_e32 v36, v36, v48
	v_cvt_i32_f32_e32 v48, v48
	v_sub_f32_e32 v10, v10, v9
	v_fmac_f32_e32 v1, 0x32a5705f, v13
	v_mul_f32_e32 v53, 0x3fb8aa3b, v10
	v_add_f32_e32 v1, v36, v1
	v_add_f32_e32 v36, v38, v49
	;; [unrolled: 1-line block ×3, first 2 shown]
	v_cvt_i32_f32_e32 v49, v50
	v_fma_f32 v54, 0x3fb8aa3b, v10, -v53
	v_exp_f32_e32 v1, v1
	v_rndne_f32_e32 v55, v53
	v_exp_f32_e32 v36, v36
	v_exp_f32_e32 v38, v38
	v_fmac_f32_e32 v54, 0x32a5705f, v10
	v_cvt_i32_f32_e32 v50, v52
	v_sub_f32_e32 v47, v53, v55
	v_ldexp_f32 v1, v1, v48
	v_add_f32_e32 v47, v47, v54
	v_ldexp_f32 v36, v36, v49
	v_ldexp_f32 v38, v38, v50
	v_cvt_i32_f32_e32 v48, v55
	v_cndmask_b32_e32 v1, 0, v1, vcc_lo
	v_cmp_ngt_f32_e32 vcc_lo, 0xc2ce8ed0, v12
	v_exp_f32_e32 v47, v47
	v_cndmask_b32_e32 v36, 0, v36, vcc_lo
	v_cmp_ngt_f32_e32 vcc_lo, 0xc2ce8ed0, v11
	v_cndmask_b32_e32 v38, 0, v38, vcc_lo
	v_cmp_nlt_f32_e32 vcc_lo, 0x42b17218, v13
	v_ldexp_f32 v47, v47, v48
	v_cndmask_b32_e64 v11, 0x7f800000, v38, s10
	v_cndmask_b32_e32 v1, 0x7f800000, v1, vcc_lo
	v_cmp_ngt_f32_e32 vcc_lo, 0xc2ce8ed0, v10
	v_cmp_nlt_f32_e64 s10, 0x42b17218, v10
	v_cndmask_b32_e32 v13, 0, v47, vcc_lo
	v_cmp_gt_u32_e32 vcc_lo, s11, v0
	s_mul_hi_i32 s11, s37, s22
	v_cndmask_b32_e64 v10, 0x7f800000, v13, s10
	v_cmp_nlt_f32_e64 s10, 0x42b17218, v12
	v_cndmask_b32_e32 v38, 0, v11, vcc_lo
	v_add_nc_u32_e32 v13, v31, v26
	v_cndmask_b32_e32 v48, 0, v10, vcc_lo
	v_cndmask_b32_e64 v12, 0x7f800000, v36, s10
	v_cndmask_b32_e32 v36, 0, v1, vcc_lo
	v_cvt_f16_f32_e32 v10, v38
	s_mul_i32 s10, s37, s22
	v_cvt_f16_f32_e32 v11, v48
	v_cndmask_b32_e32 v47, 0, v12, vcc_lo
	v_cvt_f16_f32_e32 v1, v36
	s_lshl_b64 s[10:11], s[10:11], 2
	v_pack_b32_f16 v11, v10, v11
	v_cvt_f16_f32_e32 v12, v47
	s_add_u32 s10, s23, s10
	s_addc_u32 s11, s36, s11
	v_pack_b32_f16 v10, v1, v12
	ds_write_b64 v13, v[10:11]
	s_and_saveexec_b32 s12, s9
	s_cbranch_execz .LBB56_58
; %bb.57:
	v_mul_lo_u32 v10, s22, v37
	s_mov_b64 s[14:15], src_private_base
	v_mov_b32_e32 v12, 0
	buffer_store_dword v12, off, s[0:3], 0
	buffer_store_dword v12, off, s[0:3], 0 offset:4
	buffer_store_dword v12, off, s[0:3], 0 offset:8
	;; [unrolled: 1-line block ×3, first 2 shown]
	v_ashrrev_i32_e32 v11, 31, v10
	v_lshlrev_b64 v[10:11], 2, v[10:11]
	v_add_co_u32 v1, vcc_lo, s10, v10
	v_add_co_ci_u32_e64 v10, null, s11, v11, vcc_lo
	v_add_co_u32 v1, vcc_lo, 0x80, v1
	v_add_co_ci_u32_e64 v10, null, 0, v10, vcc_lo
	v_cndmask_b32_e64 v11, s15, v10, s8
	v_cndmask_b32_e64 v10, 0, v1, s8
	v_mul_u32_u24_e32 v1, 0x90, v37
	flat_load_dwordx4 v[10:13], v[10:11]
	s_waitcnt vmcnt(0) lgkmcnt(0)
	ds_write_b128 v1, v[10:13] offset:128
.LBB56_58:
	s_or_b32 exec_lo, exec_lo, s12
	v_mul_lo_u32 v10, s22, v39
	s_mov_b64 s[8:9], src_private_base
	v_mov_b32_e32 v12, 0
	v_sub_f32_e32 v37, v2, v6
	v_sub_f32_e32 v49, v3, v7
	buffer_store_dword v12, off, s[0:3], 0
	buffer_store_dword v12, off, s[0:3], 0 offset:4
	buffer_store_dword v12, off, s[0:3], 0 offset:8
	;; [unrolled: 1-line block ×3, first 2 shown]
	v_ashrrev_i32_e32 v11, 31, v10
	v_sub_f32_e32 v3, v5, v9
	v_mul_f32_e32 v5, 0x3fb8aa3b, v37
	v_sub_f32_e32 v4, v4, v8
	v_mad_u32_u24 v2, 0x90, v39, v40
	v_lshlrev_b64 v[10:11], 2, v[10:11]
	v_mul_f32_e32 v39, 0x3fb8aa3b, v49
	v_fma_f32 v51, 0x3fb8aa3b, v37, -v5
	v_rndne_f32_e32 v52, v5
	v_mul_f32_e32 v50, 0x3fb8aa3b, v3
	v_add_nc_u32_e32 v123, 0x400, v26
	v_add_co_u32 v1, vcc_lo, s10, v10
	v_add_co_ci_u32_e64 v10, null, s11, v11, vcc_lo
	v_fma_f32 v53, 0x3fb8aa3b, v49, -v39
	v_add_co_u32 v1, vcc_lo, v1, v40
	v_add_co_ci_u32_e64 v11, null, 0, v10, vcc_lo
	v_mul_f32_e32 v40, 0x3fb8aa3b, v4
	v_cndmask_b32_e64 v10, 0, v1, s7
	v_rndne_f32_e32 v54, v39
	v_cndmask_b32_e64 v11, s9, v11, s7
	v_fmac_f32_e32 v51, 0x32a5705f, v37
	v_sub_f32_e32 v5, v5, v52
	v_fma_f32 v55, 0x3fb8aa3b, v4, -v40
	v_rndne_f32_e32 v56, v40
	flat_load_dwordx4 v[10:13], v[10:11]
	v_fmac_f32_e32 v53, 0x32a5705f, v49
	v_sub_f32_e32 v39, v39, v54
	v_add_f32_e32 v5, v5, v51
	v_fma_f32 v57, 0x3fb8aa3b, v3, -v50
	v_rndne_f32_e32 v58, v50
	v_fmac_f32_e32 v55, 0x32a5705f, v4
	v_sub_f32_e32 v40, v40, v56
	v_add_f32_e32 v39, v39, v53
	v_exp_f32_e32 v5, v5
	v_fmac_f32_e32 v57, 0x32a5705f, v3
	v_sub_f32_e32 v50, v50, v58
	v_add_f32_e32 v40, v40, v55
	v_exp_f32_e32 v39, v39
	v_cvt_i32_f32_e32 v51, v52
	v_cvt_i32_f32_e32 v52, v54
	v_add_f32_e32 v50, v50, v57
	v_exp_f32_e32 v40, v40
	v_cmp_ngt_f32_e32 vcc_lo, 0xc2ce8ed0, v37
	v_ldexp_f32 v5, v5, v51
	v_cvt_i32_f32_e32 v53, v56
	v_exp_f32_e32 v50, v50
	v_cvt_i32_f32_e32 v54, v58
	v_ldexp_f32 v39, v39, v52
	v_cndmask_b32_e32 v5, 0, v5, vcc_lo
	v_cmp_ngt_f32_e32 vcc_lo, 0xc2ce8ed0, v49
	v_mov_b32_e32 v1, 0x10001
	v_ldexp_f32 v40, v40, v53
	v_add_nc_u32_e32 v135, 0x800, v26
	v_add_nc_u32_e32 v136, 0xc00, v26
	v_cndmask_b32_e32 v39, 0, v39, vcc_lo
	v_cmp_ngt_f32_e32 vcc_lo, 0xc2ce8ed0, v4
	v_ldexp_f32 v50, v50, v54
	v_add_nc_u32_e32 v137, 0x1000, v26
	v_cndmask_b32_e32 v40, 0, v40, vcc_lo
	v_cmp_ngt_f32_e32 vcc_lo, 0xc2ce8ed0, v3
	v_cndmask_b32_e32 v50, 0, v50, vcc_lo
	v_cmp_nlt_f32_e32 vcc_lo, 0x42b17218, v37
	v_cndmask_b32_e32 v5, 0x7f800000, v5, vcc_lo
	v_cmp_nlt_f32_e32 vcc_lo, 0x42b17218, v49
	v_fmac_f32_e32 v36, v34, v5
	v_cndmask_b32_e32 v37, 0x7f800000, v39, vcc_lo
	v_cmp_nlt_f32_e32 vcc_lo, 0x42b17218, v4
	v_cvt_f16_f32_e32 v5, v5
	v_cvt_f16_f32_e32 v34, v37
	v_cndmask_b32_e32 v4, 0x7f800000, v40, vcc_lo
	v_cmp_nlt_f32_e32 vcc_lo, 0x42b17218, v3
	v_fmac_f32_e32 v47, v35, v37
	v_mul_u32_u24_sdwa v40, v5, v1 dst_sel:DWORD dst_unused:UNUSED_PAD src0_sel:WORD_0 src1_sel:DWORD
	v_mul_u32_u24_sdwa v138, v34, v1 dst_sel:DWORD dst_unused:UNUSED_PAD src0_sel:WORD_0 src1_sel:DWORD
	v_fmac_f32_e32 v38, v33, v4
	v_cndmask_b32_e32 v3, 0x7f800000, v50, vcc_lo
	v_cvt_f16_f32_e32 v4, v4
	v_mov_b32_e32 v35, v47
	v_mov_b32_e32 v34, v36
	v_pk_mul_f16 v140, v30, v40
	v_cvt_f16_f32_e32 v33, v3
	v_fmac_f32_e32 v48, v32, v3
	v_mul_u32_u24_sdwa v139, v4, v1 dst_sel:DWORD dst_unused:UNUSED_PAD src0_sel:WORD_0 src1_sel:DWORD
	v_pk_mul_f16 v141, v29, v138
	v_mul_u32_u24_sdwa v3, v33, v1 dst_sel:DWORD dst_unused:UNUSED_PAD src0_sel:WORD_0 src1_sel:DWORD
	v_mov_b32_e32 v32, v48
	v_mov_b32_e32 v33, v38
	v_pk_mul_f16 v142, v28, v139
	v_pk_mul_f16 v25, v25, v3
	;; [unrolled: 1-line block ×3, first 2 shown]
	s_waitcnt vmcnt(0) lgkmcnt(0)
	ds_write_b128 v2, v[10:13]
	s_waitcnt lgkmcnt(0)
	s_waitcnt_vscnt null, 0x0
	s_barrier
	buffer_gl0_inv
	ds_read_b128 v[2:5], v31
	ds_read_b128 v[10:13], v31 offset:16
	ds_read_b128 v[36:39], v31 offset:32
	;; [unrolled: 1-line block ×11, first 2 shown]
	ds_read2_b64 v[83:86], v26 offset1:18
	ds_read_b128 v[87:90], v31 offset:192
	ds_read_b128 v[91:94], v31 offset:208
	ds_read2_b64 v[95:98], v26 offset0:36 offset1:54
	ds_read2_b64 v[99:102], v26 offset0:72 offset1:90
	ds_read_b128 v[103:106], v31 offset:224
	ds_read_b128 v[28:31], v31 offset:240
	ds_read2_b64 v[107:110], v26 offset0:108 offset1:126
	ds_read2_b64 v[111:114], v26 offset0:144 offset1:162
	;; [unrolled: 1-line block ×7, first 2 shown]
	s_waitcnt lgkmcnt(25)
	v_mul_u32_u24_sdwa v26, v2, v1 dst_sel:DWORD dst_unused:UNUSED_PAD src0_sel:WORD_0 src1_sel:DWORD
	v_mul_u32_u24_sdwa v143, v2, v1 dst_sel:DWORD dst_unused:UNUSED_PAD src0_sel:WORD_1 src1_sel:DWORD
	v_mul_u32_u24_sdwa v144, v3, v1 dst_sel:DWORD dst_unused:UNUSED_PAD src0_sel:WORD_0 src1_sel:DWORD
	v_mul_u32_u24_sdwa v145, v3, v1 dst_sel:DWORD dst_unused:UNUSED_PAD src0_sel:WORD_1 src1_sel:DWORD
	s_waitcnt lgkmcnt(24)
	v_mul_u32_u24_sdwa v150, v10, v1 dst_sel:DWORD dst_unused:UNUSED_PAD src0_sel:WORD_0 src1_sel:DWORD
	v_mul_u32_u24_sdwa v151, v10, v1 dst_sel:DWORD dst_unused:UNUSED_PAD src0_sel:WORD_1 src1_sel:DWORD
	s_waitcnt lgkmcnt(23)
	v_mul_u32_u24_sdwa v158, v36, v1 dst_sel:DWORD dst_unused:UNUSED_PAD src0_sel:WORD_0 src1_sel:DWORD
	v_mul_u32_u24_sdwa v159, v36, v1 dst_sel:DWORD dst_unused:UNUSED_PAD src0_sel:WORD_1 src1_sel:DWORD
	v_mul_u32_u24_sdwa v160, v37, v1 dst_sel:DWORD dst_unused:UNUSED_PAD src0_sel:WORD_0 src1_sel:DWORD
	v_mul_u32_u24_sdwa v161, v37, v1 dst_sel:DWORD dst_unused:UNUSED_PAD src0_sel:WORD_1 src1_sel:DWORD
	s_waitcnt lgkmcnt(13)
	v_pk_mul_f16 v10, v83, v26
	v_pk_fma_f16 v36, v83, v145, v25
	v_pk_fma_f16 v37, v84, v145, v23
	v_pk_mul_f16 v23, v83, v143
	v_pk_mul_f16 v25, v83, v144
	v_mul_u32_u24_sdwa v146, v4, v1 dst_sel:DWORD dst_unused:UNUSED_PAD src0_sel:WORD_0 src1_sel:DWORD
	v_mul_u32_u24_sdwa v147, v4, v1 dst_sel:DWORD dst_unused:UNUSED_PAD src0_sel:WORD_1 src1_sel:DWORD
	v_mul_u32_u24_sdwa v148, v5, v1 dst_sel:DWORD dst_unused:UNUSED_PAD src0_sel:WORD_0 src1_sel:DWORD
	v_mul_u32_u24_sdwa v149, v5, v1 dst_sel:DWORD dst_unused:UNUSED_PAD src0_sel:WORD_1 src1_sel:DWORD
	;; [unrolled: 2-line block ×5, first 2 shown]
	v_pk_fma_f16 v26, v84, v26, v140
	v_pk_fma_f16 v38, v84, v143, v141
	;; [unrolled: 1-line block ×6, first 2 shown]
	v_mul_u32_u24_sdwa v152, v11, v1 dst_sel:DWORD dst_unused:UNUSED_PAD src0_sel:WORD_0 src1_sel:DWORD
	v_mul_u32_u24_sdwa v153, v11, v1 dst_sel:DWORD dst_unused:UNUSED_PAD src0_sel:WORD_1 src1_sel:DWORD
	v_mul_u32_u24_sdwa v168, v48, v1 dst_sel:DWORD dst_unused:UNUSED_PAD src0_sel:WORD_0 src1_sel:DWORD
	v_mul_u32_u24_sdwa v169, v48, v1 dst_sel:DWORD dst_unused:UNUSED_PAD src0_sel:WORD_1 src1_sel:DWORD
	;; [unrolled: 2-line block ×6, first 2 shown]
	v_pk_fma_f16 v48, v85, v149, v36
	v_pk_fma_f16 v49, v86, v149, v37
	;; [unrolled: 1-line block ×8, first 2 shown]
	v_mul_u32_u24_sdwa v154, v12, v1 dst_sel:DWORD dst_unused:UNUSED_PAD src0_sel:WORD_0 src1_sel:DWORD
	v_mul_u32_u24_sdwa v155, v12, v1 dst_sel:DWORD dst_unused:UNUSED_PAD src0_sel:WORD_1 src1_sel:DWORD
	v_mul_u32_u24_sdwa v156, v13, v1 dst_sel:DWORD dst_unused:UNUSED_PAD src0_sel:WORD_0 src1_sel:DWORD
	v_mul_u32_u24_sdwa v157, v13, v1 dst_sel:DWORD dst_unused:UNUSED_PAD src0_sel:WORD_1 src1_sel:DWORD
	v_mul_u32_u24_sdwa v172, v50, v1 dst_sel:DWORD dst_unused:UNUSED_PAD src0_sel:WORD_0 src1_sel:DWORD
	v_mul_u32_u24_sdwa v173, v50, v1 dst_sel:DWORD dst_unused:UNUSED_PAD src0_sel:WORD_1 src1_sel:DWORD
	v_mul_u32_u24_sdwa v180, v54, v1 dst_sel:DWORD dst_unused:UNUSED_PAD src0_sel:WORD_0 src1_sel:DWORD
	v_mul_u32_u24_sdwa v181, v54, v1 dst_sel:DWORD dst_unused:UNUSED_PAD src0_sel:WORD_1 src1_sel:DWORD
	ds_read2_b64 v[2:5], v135 offset0:104 offset1:122
	ds_read2_b64 v[10:13], v135 offset0:140 offset1:158
	;; [unrolled: 1-line block ×4, first 2 shown]
	s_waitcnt lgkmcnt(14)
	v_pk_fma_f16 v54, v95, v153, v48
	v_pk_fma_f16 v135, v96, v153, v49
	;; [unrolled: 1-line block ×4, first 2 shown]
	ds_read2_b64 v[47:50], v136 offset0:120 offset1:138
	v_pk_fma_f16 v136, v96, v151, v51
	v_pk_fma_f16 v96, v96, v152, v52
	;; [unrolled: 1-line block ×12, first 2 shown]
	v_mul_u32_u24_sdwa v182, v55, v1 dst_sel:DWORD dst_unused:UNUSED_PAD src0_sel:WORD_0 src1_sel:DWORD
	v_mul_u32_u24_sdwa v55, v55, v1 dst_sel:DWORD dst_unused:UNUSED_PAD src0_sel:WORD_1 src1_sel:DWORD
	v_mul_u32_u24_sdwa v183, v56, v1 dst_sel:DWORD dst_unused:UNUSED_PAD src0_sel:WORD_0 src1_sel:DWORD
	v_mul_u32_u24_sdwa v56, v56, v1 dst_sel:DWORD dst_unused:UNUSED_PAD src0_sel:WORD_1 src1_sel:DWORD
	;; [unrolled: 2-line block ×36, first 2 shown]
	s_waitcnt lgkmcnt(13)
	v_mul_u32_u24_sdwa v83, v103, v1 dst_sel:DWORD dst_unused:UNUSED_PAD src0_sel:WORD_0 src1_sel:DWORD
	v_mul_u32_u24_sdwa v84, v103, v1 dst_sel:DWORD dst_unused:UNUSED_PAD src0_sel:WORD_1 src1_sel:DWORD
	v_mul_u32_u24_sdwa v103, v104, v1 dst_sel:DWORD dst_unused:UNUSED_PAD src0_sel:WORD_0 src1_sel:DWORD
	v_mul_u32_u24_sdwa v85, v104, v1 dst_sel:DWORD dst_unused:UNUSED_PAD src0_sel:WORD_1 src1_sel:DWORD
	;; [unrolled: 2-line block ×4, first 2 shown]
	ds_read2_b64 v[51:54], v137 offset0:28 offset1:46
	s_waitcnt lgkmcnt(13)
	v_mul_u32_u24_sdwa v137, v28, v1 dst_sel:DWORD dst_unused:UNUSED_PAD src0_sel:WORD_0 src1_sel:DWORD
	v_mul_u32_u24_sdwa v28, v28, v1 dst_sel:DWORD dst_unused:UNUSED_PAD src0_sel:WORD_1 src1_sel:DWORD
	v_mul_u32_u24_sdwa v97, v29, v1 dst_sel:DWORD dst_unused:UNUSED_PAD src0_sel:WORD_0 src1_sel:DWORD
	v_mul_u32_u24_sdwa v29, v29, v1 dst_sel:DWORD dst_unused:UNUSED_PAD src0_sel:WORD_1 src1_sel:DWORD
	;; [unrolled: 2-line block ×4, first 2 shown]
	v_pk_fma_f16 v30, v99, v161, v138
	v_pk_fma_f16 v31, v100, v161, v135
	v_pk_fma_f16 v26, v100, v158, v26
	v_pk_fma_f16 v135, v100, v159, v136
	v_pk_fma_f16 v96, v100, v160, v96
	v_pk_fma_f16 v27, v99, v158, v27
	v_pk_fma_f16 v40, v99, v159, v40
	v_pk_fma_f16 v95, v99, v160, v95
	v_pk_fma_f16 v30, v101, v165, v30
	v_pk_fma_f16 v31, v102, v165, v31
	v_pk_fma_f16 v26, v102, v162, v26
	v_pk_fma_f16 v99, v102, v163, v135
	v_pk_fma_f16 v96, v102, v164, v96
	v_pk_fma_f16 v27, v101, v162, v27
	v_pk_fma_f16 v40, v101, v163, v40
	v_pk_fma_f16 v95, v101, v164, v95
	s_waitcnt lgkmcnt(12)
	v_pk_fma_f16 v30, v107, v169, v30
	v_pk_fma_f16 v31, v108, v169, v31
	v_pk_fma_f16 v26, v108, v166, v26
	v_pk_fma_f16 v99, v108, v167, v99
	v_pk_fma_f16 v96, v108, v168, v96
	v_pk_fma_f16 v27, v107, v166, v27
	v_pk_fma_f16 v40, v107, v167, v40
	v_pk_fma_f16 v95, v107, v168, v95
	v_pk_fma_f16 v30, v109, v173, v30
	v_pk_fma_f16 v31, v110, v173, v31
	v_pk_fma_f16 v26, v110, v170, v26
	v_pk_fma_f16 v99, v110, v171, v99
	v_pk_fma_f16 v96, v110, v172, v96
	v_pk_fma_f16 v27, v109, v170, v27
	v_pk_fma_f16 v40, v109, v171, v40
	v_pk_fma_f16 v95, v109, v172, v95
	s_waitcnt lgkmcnt(11)
	;; [unrolled: 17-line block ×13, first 2 shown]
	v_pk_fma_f16 v4, v51, v29, v4
	v_pk_fma_f16 v3, v52, v29, v3
	;; [unrolled: 1-line block ×12, first 2 shown]
	v_mov_b32_e32 v2, v6
	v_pk_fma_f16 v30, v54, v98, v10
	v_pk_fma_f16 v29, v54, v139, v12
	;; [unrolled: 1-line block ×4, first 2 shown]
	v_mov_b32_e32 v3, v7
	v_mov_b32_e32 v4, v8
	v_mov_b32_e32 v5, v9
	s_barrier
	buffer_gl0_inv
.LBB56_59:
	v_cmp_lt_i32_e32 vcc_lo, v46, v41
	s_cmp_eq_u64 s[20:21], 0
	s_cselect_b32 s7, -1, 0
	s_cmp_lg_u32 s34, 0
	v_cndmask_b32_e32 v1, v21, v46, vcc_lo
	v_cmp_lt_i32_e32 vcc_lo, v45, v41
	s_cselect_b32 s8, -1, 0
	s_or_b32 s7, s8, s7
	v_lshlrev_b32_e32 v1, 2, v1
	v_cndmask_b32_e32 v9, v21, v45, vcc_lo
	v_cmp_lt_i32_e32 vcc_lo, v44, v41
	ds_bpermute_b32 v6, v1, v34
	ds_bpermute_b32 v7, v1, v35
	;; [unrolled: 1-line block ×4, first 2 shown]
	v_lshlrev_b32_e32 v9, 2, v9
	v_cndmask_b32_e32 v13, v21, v44, vcc_lo
	v_cmp_lt_i32_e32 vcc_lo, v43, v41
	v_lshlrev_b32_e32 v13, 2, v13
	s_waitcnt lgkmcnt(3)
	v_add_f32_e32 v6, v34, v6
	s_waitcnt lgkmcnt(2)
	v_add_f32_e32 v7, v35, v7
	;; [unrolled: 2-line block ×4, first 2 shown]
	ds_bpermute_b32 v10, v9, v6
	ds_bpermute_b32 v11, v9, v7
	;; [unrolled: 1-line block ×4, first 2 shown]
	s_waitcnt lgkmcnt(3)
	v_add_f32_e32 v6, v6, v10
	s_waitcnt lgkmcnt(2)
	v_add_f32_e32 v7, v7, v11
	s_waitcnt lgkmcnt(1)
	v_add_f32_e32 v8, v8, v12
	s_waitcnt lgkmcnt(0)
	v_add_f32_e32 v1, v1, v9
	ds_bpermute_b32 v9, v13, v6
	ds_bpermute_b32 v10, v13, v7
	;; [unrolled: 1-line block ×4, first 2 shown]
	v_cndmask_b32_e32 v13, v21, v43, vcc_lo
	v_cmp_lt_i32_e32 vcc_lo, v42, v41
	v_lshlrev_b32_e32 v13, 2, v13
	s_waitcnt lgkmcnt(3)
	v_add_f32_e32 v6, v6, v9
	s_waitcnt lgkmcnt(2)
	v_add_f32_e32 v7, v7, v10
	;; [unrolled: 2-line block ×4, first 2 shown]
	ds_bpermute_b32 v9, v13, v6
	ds_bpermute_b32 v10, v13, v7
	;; [unrolled: 1-line block ×4, first 2 shown]
	v_cndmask_b32_e32 v13, v21, v42, vcc_lo
	s_and_b32 vcc_lo, exec_lo, s7
	v_lshlrev_b32_e32 v13, 2, v13
	s_waitcnt lgkmcnt(3)
	v_add_f32_e32 v6, v6, v9
	s_waitcnt lgkmcnt(2)
	v_add_f32_e32 v7, v7, v10
	;; [unrolled: 2-line block ×4, first 2 shown]
	ds_bpermute_b32 v9, v13, v6
	ds_bpermute_b32 v10, v13, v7
	;; [unrolled: 1-line block ×4, first 2 shown]
	s_waitcnt lgkmcnt(3)
	v_add_f32_e32 v6, v6, v9
	s_waitcnt lgkmcnt(2)
	v_add_f32_e32 v7, v7, v10
	;; [unrolled: 2-line block ×4, first 2 shown]
	s_cbranch_vccnz .LBB56_62
; %bb.60:
	s_lshl_b64 s[8:9], s[18:19], 2
	v_mov_b32_e32 v1, 0
	s_add_u32 s8, s20, s8
	s_addc_u32 s9, s21, s9
	v_max_f32_e32 v10, v2, v2
	v_max_f32_e32 v12, v3, v3
	global_load_dword v1, v1, s[8:9]
	v_max_f32_e32 v13, v4, v4
	v_max_f32_e32 v21, v5, v5
	v_mov_b32_e32 v26, 0x10001
	s_waitcnt vmcnt(0)
	v_max_f32_e32 v11, v1, v1
	v_max_f32_e32 v31, v10, v11
	;; [unrolled: 1-line block ×5, first 2 shown]
	v_sub_f32_e32 v2, v2, v31
	v_sub_f32_e32 v10, v1, v31
	v_sub_f32_e32 v3, v3, v32
	v_sub_f32_e32 v11, v1, v32
	v_sub_f32_e32 v4, v4, v33
	v_mul_f32_e32 v13, 0x3fb8aa3b, v2
	v_mul_f32_e32 v21, 0x3fb8aa3b, v10
	;; [unrolled: 1-line block ×4, first 2 shown]
	v_sub_f32_e32 v12, v1, v33
	v_fma_f32 v41, 0x3fb8aa3b, v2, -v13
	v_rndne_f32_e32 v42, v13
	v_fma_f32 v43, 0x3fb8aa3b, v10, -v21
	v_rndne_f32_e32 v44, v21
	v_fma_f32 v45, 0x3fb8aa3b, v3, -v35
	v_fmac_f32_e32 v41, 0x32a5705f, v2
	v_sub_f32_e32 v13, v13, v42
	v_rndne_f32_e32 v46, v35
	v_fmac_f32_e32 v43, 0x32a5705f, v10
	v_sub_f32_e32 v21, v21, v44
	v_mul_f32_e32 v37, 0x3fb8aa3b, v4
	v_add_f32_e32 v13, v13, v41
	v_fma_f32 v47, 0x3fb8aa3b, v11, -v36
	v_rndne_f32_e32 v48, v36
	v_fmac_f32_e32 v45, 0x32a5705f, v3
	v_sub_f32_e32 v35, v35, v46
	v_add_f32_e32 v21, v21, v43
	v_exp_f32_e32 v13, v13
	v_sub_f32_e32 v5, v5, v34
	v_mul_f32_e32 v38, 0x3fb8aa3b, v12
	v_fma_f32 v49, 0x3fb8aa3b, v4, -v37
	v_rndne_f32_e32 v50, v37
	v_cvt_i32_f32_e32 v42, v42
	v_fmac_f32_e32 v47, 0x32a5705f, v11
	v_sub_f32_e32 v36, v36, v48
	v_add_f32_e32 v35, v35, v45
	v_exp_f32_e32 v21, v21
	v_sub_f32_e32 v1, v1, v34
	v_mul_f32_e32 v39, 0x3fb8aa3b, v5
	v_fma_f32 v51, 0x3fb8aa3b, v12, -v38
	v_rndne_f32_e32 v52, v38
	v_cvt_i32_f32_e32 v44, v44
	v_fmac_f32_e32 v49, 0x32a5705f, v4
	v_sub_f32_e32 v37, v37, v50
	v_add_f32_e32 v36, v36, v47
	v_exp_f32_e32 v35, v35
	v_ldexp_f32 v13, v13, v42
	v_cmp_ngt_f32_e32 vcc_lo, 0xc2ce8ed0, v2
	v_mul_f32_e32 v40, 0x3fb8aa3b, v1
	v_fma_f32 v53, 0x3fb8aa3b, v5, -v39
	v_rndne_f32_e32 v54, v39
	v_cvt_i32_f32_e32 v46, v46
	v_fmac_f32_e32 v51, 0x32a5705f, v12
	v_sub_f32_e32 v38, v38, v52
	v_add_f32_e32 v37, v37, v49
	v_exp_f32_e32 v36, v36
	v_ldexp_f32 v21, v21, v44
	v_cndmask_b32_e32 v13, 0, v13, vcc_lo
	v_cmp_ngt_f32_e32 vcc_lo, 0xc2ce8ed0, v10
	v_fma_f32 v55, 0x3fb8aa3b, v1, -v40
	v_rndne_f32_e32 v56, v40
	v_cvt_i32_f32_e32 v48, v48
	v_fmac_f32_e32 v53, 0x32a5705f, v5
	v_sub_f32_e32 v39, v39, v54
	v_add_f32_e32 v38, v38, v51
	v_exp_f32_e32 v37, v37
	v_ldexp_f32 v35, v35, v46
	v_cndmask_b32_e32 v21, 0, v21, vcc_lo
	v_cmp_ngt_f32_e32 vcc_lo, 0xc2ce8ed0, v3
	v_cvt_i32_f32_e32 v50, v50
	v_fmac_f32_e32 v55, 0x32a5705f, v1
	v_sub_f32_e32 v40, v40, v56
	v_add_f32_e32 v39, v39, v53
	v_exp_f32_e32 v38, v38
	v_ldexp_f32 v36, v36, v48
	v_cndmask_b32_e32 v35, 0, v35, vcc_lo
	v_cmp_ngt_f32_e32 vcc_lo, 0xc2ce8ed0, v11
	v_cvt_i32_f32_e32 v52, v52
	v_add_f32_e32 v40, v40, v55
	v_exp_f32_e32 v39, v39
	v_ldexp_f32 v37, v37, v50
	v_cndmask_b32_e32 v36, 0, v36, vcc_lo
	v_cmp_ngt_f32_e32 vcc_lo, 0xc2ce8ed0, v4
	v_exp_f32_e32 v40, v40
	v_cvt_i32_f32_e32 v41, v54
	v_ldexp_f32 v38, v38, v52
	v_cvt_i32_f32_e32 v43, v56
	v_cndmask_b32_e32 v37, 0, v37, vcc_lo
	v_cmp_ngt_f32_e32 vcc_lo, 0xc2ce8ed0, v12
	v_ldexp_f32 v39, v39, v41
	v_cndmask_b32_e32 v38, 0, v38, vcc_lo
	v_cmp_ngt_f32_e32 vcc_lo, 0xc2ce8ed0, v5
	v_ldexp_f32 v40, v40, v43
	v_cndmask_b32_e32 v39, 0, v39, vcc_lo
	v_cmp_ngt_f32_e32 vcc_lo, 0xc2ce8ed0, v1
	v_cndmask_b32_e32 v40, 0, v40, vcc_lo
	v_cmp_nlt_f32_e32 vcc_lo, 0x42b17218, v2
	v_cndmask_b32_e32 v2, 0x7f800000, v13, vcc_lo
	v_cmp_nlt_f32_e32 vcc_lo, 0x42b17218, v10
	;; [unrolled: 2-line block ×3, first 2 shown]
	v_fmac_f32_e32 v10, v6, v2
	v_cndmask_b32_e32 v3, 0x7f800000, v35, vcc_lo
	v_cmp_nlt_f32_e32 vcc_lo, 0x42b17218, v11
	v_cndmask_b32_e32 v11, 0x7f800000, v36, vcc_lo
	v_cmp_nlt_f32_e32 vcc_lo, 0x42b17218, v4
	v_fmac_f32_e32 v11, v7, v3
	v_cndmask_b32_e32 v4, 0x7f800000, v37, vcc_lo
	v_cmp_nlt_f32_e32 vcc_lo, 0x42b17218, v12
	v_cndmask_b32_e32 v12, 0x7f800000, v38, vcc_lo
	v_cmp_nlt_f32_e32 vcc_lo, 0x42b17218, v5
	v_fmac_f32_e32 v12, v8, v4
	v_cndmask_b32_e32 v5, 0x7f800000, v39, vcc_lo
	v_cmp_nlt_f32_e32 vcc_lo, 0x42b17218, v1
	v_cvt_f16_f32_e32 v1, v2
	v_cvt_f16_f32_e32 v2, v3
	;; [unrolled: 1-line block ×4, first 2 shown]
	v_cndmask_b32_e32 v13, 0x7f800000, v40, vcc_lo
	v_mul_u32_u24_sdwa v1, v1, v26 dst_sel:DWORD dst_unused:UNUSED_PAD src0_sel:WORD_0 src1_sel:DWORD
	v_mul_u32_u24_sdwa v2, v2, v26 dst_sel:DWORD dst_unused:UNUSED_PAD src0_sel:WORD_0 src1_sel:DWORD
	v_mul_u32_u24_sdwa v3, v3, v26 dst_sel:DWORD dst_unused:UNUSED_PAD src0_sel:WORD_0 src1_sel:DWORD
	v_mul_u32_u24_sdwa v4, v4, v26 dst_sel:DWORD dst_unused:UNUSED_PAD src0_sel:WORD_0 src1_sel:DWORD
	v_fmac_f32_e32 v13, v9, v5
	v_mov_b32_e32 v6, v10
	v_pk_mul_f16 v24, v24, v2
	v_pk_mul_f16 v29, v29, v2
	;; [unrolled: 1-line block ×6, first 2 shown]
	v_mov_b32_e32 v2, v31
	v_mov_b32_e32 v7, v11
	;; [unrolled: 1-line block ×4, first 2 shown]
	v_pk_mul_f16 v27, v27, v1
	v_pk_mul_f16 v30, v30, v1
	v_mov_b32_e32 v3, v32
	v_mov_b32_e32 v4, v33
	;; [unrolled: 1-line block ×3, first 2 shown]
	s_mov_b32 s7, exec_lo
	v_cmpx_gt_i32_e64 s30, v16
	s_cbranch_execnz .LBB56_63
.LBB56_61:
	s_endpgm
.LBB56_62:
	v_mov_b32_e32 v10, v6
	v_mov_b32_e32 v11, v7
	;; [unrolled: 1-line block ×4, first 2 shown]
	s_mov_b32 s7, exec_lo
	v_cmpx_gt_i32_e64 s30, v16
	s_cbranch_execz .LBB56_61
.LBB56_63:
	s_load_dword s4, s[4:5], 0xd4
	v_mov_b32_e32 v1, 1.0
	s_waitcnt lgkmcnt(0)
	s_cmp_lg_u32 s4, 1
	s_cselect_b32 s7, -1, 0
	s_cmp_eq_u32 s4, 1
	s_cselect_b32 s8, -1, 0
	s_and_b32 vcc_lo, exec_lo, s7
	s_cbranch_vccnz .LBB56_65
; %bb.64:
	v_div_scale_f32 v1, null, v10, v10, 1.0
	v_rcp_f32_e32 v16, v1
	v_fma_f32 v21, -v1, v16, 1.0
	v_fmac_f32_e32 v16, v21, v16
	v_div_scale_f32 v21, vcc_lo, 1.0, v10, 1.0
	v_mul_f32_e32 v26, v21, v16
	v_fma_f32 v31, -v1, v26, v21
	v_fmac_f32_e32 v26, v31, v16
	v_fma_f32 v1, -v1, v26, v21
	v_div_fmas_f32 v1, v1, v16, v26
	v_div_fixup_f32 v1, v1, v10, 1.0
.LBB56_65:
	s_mul_i32 s5, s33, s30
	s_add_i32 s5, s5, s35
	v_add_nc_u32_e32 v10, s5, v15
	v_mad_u64_u32 v[15:16], null, v10, s31, s[18:19]
	v_mad_u64_u32 v[15:16], null, s4, v15, s[34:35]
	s_and_saveexec_b32 s9, s6
	s_cbranch_execz .LBB56_67
; %bb.66:
	v_mad_u64_u32 v[31:32], null, 0x48, v15, v[14:15]
	v_mov_b32_e32 v32, 0
	v_cvt_f32_f16_sdwa v10, v30 dst_sel:DWORD dst_unused:UNUSED_PAD src0_sel:WORD_1
	v_cvt_f32_f16_e32 v16, v30
	v_cvt_f32_f16_sdwa v21, v27 dst_sel:DWORD dst_unused:UNUSED_PAD src0_sel:WORD_1
	v_cvt_f32_f16_e32 v30, v27
	v_mul_f32_e32 v33, v1, v10
	v_lshlrev_b64 v[34:35], 2, v[31:32]
	v_mul_f32_e32 v32, v1, v16
	v_mul_f32_e32 v31, v1, v21
	;; [unrolled: 1-line block ×3, first 2 shown]
	v_add_co_u32 v26, vcc_lo, s24, v34
	v_add_co_ci_u32_e64 v27, null, s25, v35, vcc_lo
	global_store_dwordx4 v[26:27], v[30:33], off
.LBB56_67:
	s_or_b32 exec_lo, exec_lo, s9
	v_cmp_eq_u32_e32 vcc_lo, 0, v0
	s_and_b32 s7, vcc_lo, s7
	s_and_saveexec_b32 s9, s7
	s_cbranch_execz .LBB56_69
; %bb.68:
	v_ashrrev_i32_e32 v16, 31, v15
	v_lshlrev_b64 v[0:1], 3, v[15:16]
	v_mov_b32_e32 v15, v2
	v_mov_b32_e32 v16, v6
	v_add_co_u32 v0, vcc_lo, s26, v0
	v_add_co_ci_u32_e64 v1, null, s27, v1, vcc_lo
	global_store_dwordx2 v[0:1], v[15:16], off
.LBB56_69:
	s_or_b32 exec_lo, exec_lo, s9
	v_cmp_gt_i32_e32 vcc_lo, s30, v20
	s_and_b32 exec_lo, exec_lo, vcc_lo
	s_cbranch_execz .LBB56_61
; %bb.70:
	v_cndmask_b32_e64 v2, 0, 1, s8
	v_mov_b32_e32 v6, 1.0
	s_andn2_b32 vcc_lo, exec_lo, s8
	s_cbranch_vccnz .LBB56_72
; %bb.71:
	v_div_scale_f32 v0, null, v11, v11, 1.0
	v_rcp_f32_e32 v1, v0
	v_fma_f32 v6, -v0, v1, 1.0
	v_fmac_f32_e32 v1, v6, v1
	v_div_scale_f32 v6, vcc_lo, 1.0, v11, 1.0
	v_mul_f32_e32 v10, v6, v1
	v_fma_f32 v15, -v0, v10, v6
	v_fmac_f32_e32 v10, v15, v1
	v_fma_f32 v0, -v0, v10, v6
	v_div_fmas_f32 v0, v0, v1, v10
	v_div_fixup_f32 v6, v0, v11, 1.0
.LBB56_72:
	v_add_nc_u32_e32 v0, s5, v19
	v_mad_u64_u32 v[0:1], null, v0, s31, s[18:19]
	v_mad_u64_u32 v[0:1], null, s4, v0, s[34:35]
	s_and_saveexec_b32 s8, s6
	s_cbranch_execz .LBB56_74
; %bb.73:
	v_mad_u64_u32 v[10:11], null, 0x48, v0, v[14:15]
	v_mov_b32_e32 v11, 0
	v_cvt_f32_f16_sdwa v1, v29 dst_sel:DWORD dst_unused:UNUSED_PAD src0_sel:WORD_1
	v_cvt_f32_f16_e32 v15, v29
	v_cvt_f32_f16_sdwa v16, v24 dst_sel:DWORD dst_unused:UNUSED_PAD src0_sel:WORD_1
	v_cvt_f32_f16_e32 v19, v24
	v_mul_f32_e32 v32, v6, v1
	v_lshlrev_b64 v[10:11], 2, v[10:11]
	v_mul_f32_e32 v31, v6, v15
	v_mul_f32_e32 v30, v6, v16
	;; [unrolled: 1-line block ×3, first 2 shown]
	v_add_co_u32 v10, vcc_lo, s24, v10
	v_add_co_ci_u32_e64 v11, null, s25, v11, vcc_lo
	global_store_dwordx4 v[10:11], v[29:32], off
.LBB56_74:
	s_or_b32 exec_lo, exec_lo, s8
	s_and_saveexec_b32 s8, s7
	s_cbranch_execz .LBB56_76
; %bb.75:
	v_ashrrev_i32_e32 v1, 31, v0
	v_mov_b32_e32 v6, v3
	v_lshlrev_b64 v[0:1], 3, v[0:1]
	v_add_co_u32 v0, vcc_lo, s26, v0
	v_add_co_ci_u32_e64 v1, null, s27, v1, vcc_lo
	global_store_dwordx2 v[0:1], v[6:7], off
.LBB56_76:
	s_or_b32 exec_lo, exec_lo, s8
	v_add_nc_u32_e32 v0, s35, v18
	v_cmp_gt_i32_e32 vcc_lo, s30, v0
	s_and_b32 exec_lo, exec_lo, vcc_lo
	s_cbranch_execz .LBB56_61
; %bb.77:
	v_cmp_ne_u32_e32 vcc_lo, 1, v2
	v_mov_b32_e32 v3, 1.0
	s_cbranch_vccnz .LBB56_79
; %bb.78:
	v_div_scale_f32 v0, null, v12, v12, 1.0
	v_rcp_f32_e32 v1, v0
	v_fma_f32 v3, -v0, v1, 1.0
	v_fmac_f32_e32 v1, v3, v1
	v_div_scale_f32 v3, vcc_lo, 1.0, v12, 1.0
	v_mul_f32_e32 v6, v3, v1
	v_fma_f32 v7, -v0, v6, v3
	v_fmac_f32_e32 v6, v7, v1
	v_fma_f32 v0, -v0, v6, v3
	v_div_fmas_f32 v0, v0, v1, v6
	v_div_fixup_f32 v3, v0, v12, 1.0
.LBB56_79:
	v_add_nc_u32_e32 v0, s5, v18
	v_mad_u64_u32 v[0:1], null, v0, s31, s[18:19]
	v_mad_u64_u32 v[0:1], null, s4, v0, s[34:35]
	s_and_saveexec_b32 s8, s6
	s_cbranch_execz .LBB56_81
; %bb.80:
	v_mad_u64_u32 v[6:7], null, 0x48, v0, v[14:15]
	v_mov_b32_e32 v7, 0
	v_cvt_f32_f16_sdwa v1, v28 dst_sel:DWORD dst_unused:UNUSED_PAD src0_sel:WORD_1
	v_cvt_f32_f16_e32 v10, v28
	v_cvt_f32_f16_sdwa v11, v22 dst_sel:DWORD dst_unused:UNUSED_PAD src0_sel:WORD_1
	v_cvt_f32_f16_e32 v12, v22
	v_mul_f32_e32 v21, v3, v1
	v_lshlrev_b64 v[6:7], 2, v[6:7]
	v_mul_f32_e32 v20, v3, v10
	v_mul_f32_e32 v19, v3, v11
	;; [unrolled: 1-line block ×3, first 2 shown]
	v_add_co_u32 v6, vcc_lo, s24, v6
	v_add_co_ci_u32_e64 v7, null, s25, v7, vcc_lo
	global_store_dwordx4 v[6:7], v[18:21], off
.LBB56_81:
	s_or_b32 exec_lo, exec_lo, s8
	s_and_saveexec_b32 s8, s7
	s_cbranch_execz .LBB56_83
; %bb.82:
	v_ashrrev_i32_e32 v1, 31, v0
	v_mov_b32_e32 v7, v4
	v_lshlrev_b64 v[0:1], 3, v[0:1]
	v_add_co_u32 v0, vcc_lo, s26, v0
	v_add_co_ci_u32_e64 v1, null, s27, v1, vcc_lo
	global_store_dwordx2 v[0:1], v[7:8], off
.LBB56_83:
	s_or_b32 exec_lo, exec_lo, s8
	v_add_nc_u32_e32 v0, s35, v17
	v_cmp_gt_i32_e32 vcc_lo, s30, v0
	s_and_b32 exec_lo, exec_lo, vcc_lo
	s_cbranch_execz .LBB56_61
; %bb.84:
	v_cmp_ne_u32_e32 vcc_lo, 1, v2
	v_mov_b32_e32 v2, 1.0
	s_cbranch_vccnz .LBB56_86
; %bb.85:
	v_div_scale_f32 v0, null, v13, v13, 1.0
	v_rcp_f32_e32 v1, v0
	v_fma_f32 v2, -v0, v1, 1.0
	v_fmac_f32_e32 v1, v2, v1
	v_div_scale_f32 v2, vcc_lo, 1.0, v13, 1.0
	v_mul_f32_e32 v3, v2, v1
	v_fma_f32 v4, -v0, v3, v2
	v_fmac_f32_e32 v3, v4, v1
	v_fma_f32 v0, -v0, v3, v2
	v_div_fmas_f32 v0, v0, v1, v3
	v_div_fixup_f32 v2, v0, v13, 1.0
.LBB56_86:
	v_add_nc_u32_e32 v0, s5, v17
	v_mad_u64_u32 v[0:1], null, v0, s31, s[18:19]
	v_mad_u64_u32 v[0:1], null, s4, v0, s[34:35]
	s_and_saveexec_b32 s4, s6
	s_cbranch_execz .LBB56_88
; %bb.87:
	v_mad_u64_u32 v[3:4], null, 0x48, v0, v[14:15]
	v_mov_b32_e32 v4, 0
	v_cvt_f32_f16_sdwa v1, v23 dst_sel:DWORD dst_unused:UNUSED_PAD src0_sel:WORD_1
	v_cvt_f32_f16_e32 v6, v23
	v_cvt_f32_f16_sdwa v7, v25 dst_sel:DWORD dst_unused:UNUSED_PAD src0_sel:WORD_1
	v_cvt_f32_f16_e32 v8, v25
	v_mul_f32_e32 v13, v2, v1
	v_lshlrev_b64 v[3:4], 2, v[3:4]
	v_mul_f32_e32 v12, v2, v6
	v_mul_f32_e32 v11, v2, v7
	v_mul_f32_e32 v10, v2, v8
	v_add_co_u32 v3, vcc_lo, s24, v3
	v_add_co_ci_u32_e64 v4, null, s25, v4, vcc_lo
	global_store_dwordx4 v[3:4], v[10:13], off
.LBB56_88:
	s_or_b32 exec_lo, exec_lo, s4
	s_and_b32 exec_lo, exec_lo, s7
	s_cbranch_execz .LBB56_61
; %bb.89:
	v_ashrrev_i32_e32 v1, 31, v0
	v_mov_b32_e32 v8, v5
	v_lshlrev_b64 v[0:1], 3, v[0:1]
	v_add_co_u32 v0, vcc_lo, s26, v0
	v_add_co_ci_u32_e64 v1, null, s27, v1, vcc_lo
	global_store_dwordx2 v[0:1], v[8:9], off
	s_endpgm
	.section	.rodata,"a",@progbits
	.p2align	6, 0x0
	.amdhsa_kernel _ZL15flash_attn_tileILi72ELi72ELi32ELi1ELb0EEvPKcS1_S1_S1_S1_PKiPfP15HIP_vector_typeIfLj2EEffffjfiS5_IjLj3EEiiiiiiiiiiiliiliiiiil
		.amdhsa_group_segment_fixed_size 12000
		.amdhsa_private_segment_fixed_size 32
		.amdhsa_kernarg_size 464
		.amdhsa_user_sgpr_count 8
		.amdhsa_user_sgpr_private_segment_buffer 1
		.amdhsa_user_sgpr_dispatch_ptr 0
		.amdhsa_user_sgpr_queue_ptr 0
		.amdhsa_user_sgpr_kernarg_segment_ptr 1
		.amdhsa_user_sgpr_dispatch_id 0
		.amdhsa_user_sgpr_flat_scratch_init 1
		.amdhsa_user_sgpr_private_segment_size 0
		.amdhsa_wavefront_size32 1
		.amdhsa_uses_dynamic_stack 0
		.amdhsa_system_sgpr_private_segment_wavefront_offset 1
		.amdhsa_system_sgpr_workgroup_id_x 1
		.amdhsa_system_sgpr_workgroup_id_y 1
		.amdhsa_system_sgpr_workgroup_id_z 1
		.amdhsa_system_sgpr_workgroup_info 0
		.amdhsa_system_vgpr_workitem_id 1
		.amdhsa_next_free_vgpr 218
		.amdhsa_next_free_sgpr 52
		.amdhsa_reserve_vcc 1
		.amdhsa_reserve_flat_scratch 1
		.amdhsa_float_round_mode_32 0
		.amdhsa_float_round_mode_16_64 0
		.amdhsa_float_denorm_mode_32 3
		.amdhsa_float_denorm_mode_16_64 3
		.amdhsa_dx10_clamp 1
		.amdhsa_ieee_mode 1
		.amdhsa_fp16_overflow 0
		.amdhsa_workgroup_processor_mode 1
		.amdhsa_memory_ordered 1
		.amdhsa_forward_progress 1
		.amdhsa_shared_vgpr_count 0
		.amdhsa_exception_fp_ieee_invalid_op 0
		.amdhsa_exception_fp_denorm_src 0
		.amdhsa_exception_fp_ieee_div_zero 0
		.amdhsa_exception_fp_ieee_overflow 0
		.amdhsa_exception_fp_ieee_underflow 0
		.amdhsa_exception_fp_ieee_inexact 0
		.amdhsa_exception_int_div_zero 0
	.end_amdhsa_kernel
	.section	.text._ZL15flash_attn_tileILi72ELi72ELi32ELi1ELb0EEvPKcS1_S1_S1_S1_PKiPfP15HIP_vector_typeIfLj2EEffffjfiS5_IjLj3EEiiiiiiiiiiiliiliiiiil,"axG",@progbits,_ZL15flash_attn_tileILi72ELi72ELi32ELi1ELb0EEvPKcS1_S1_S1_S1_PKiPfP15HIP_vector_typeIfLj2EEffffjfiS5_IjLj3EEiiiiiiiiiiiliiliiiiil,comdat
.Lfunc_end56:
	.size	_ZL15flash_attn_tileILi72ELi72ELi32ELi1ELb0EEvPKcS1_S1_S1_S1_PKiPfP15HIP_vector_typeIfLj2EEffffjfiS5_IjLj3EEiiiiiiiiiiiliiliiiiil, .Lfunc_end56-_ZL15flash_attn_tileILi72ELi72ELi32ELi1ELb0EEvPKcS1_S1_S1_S1_PKiPfP15HIP_vector_typeIfLj2EEffffjfiS5_IjLj3EEiiiiiiiiiiiliiliiiiil
                                        ; -- End function
	.set _ZL15flash_attn_tileILi72ELi72ELi32ELi1ELb0EEvPKcS1_S1_S1_S1_PKiPfP15HIP_vector_typeIfLj2EEffffjfiS5_IjLj3EEiiiiiiiiiiiliiliiiiil.num_vgpr, 218
	.set _ZL15flash_attn_tileILi72ELi72ELi32ELi1ELb0EEvPKcS1_S1_S1_S1_PKiPfP15HIP_vector_typeIfLj2EEffffjfiS5_IjLj3EEiiiiiiiiiiiliiliiiiil.num_agpr, 0
	.set _ZL15flash_attn_tileILi72ELi72ELi32ELi1ELb0EEvPKcS1_S1_S1_S1_PKiPfP15HIP_vector_typeIfLj2EEffffjfiS5_IjLj3EEiiiiiiiiiiiliiliiiiil.numbered_sgpr, 52
	.set _ZL15flash_attn_tileILi72ELi72ELi32ELi1ELb0EEvPKcS1_S1_S1_S1_PKiPfP15HIP_vector_typeIfLj2EEffffjfiS5_IjLj3EEiiiiiiiiiiiliiliiiiil.num_named_barrier, 0
	.set _ZL15flash_attn_tileILi72ELi72ELi32ELi1ELb0EEvPKcS1_S1_S1_S1_PKiPfP15HIP_vector_typeIfLj2EEffffjfiS5_IjLj3EEiiiiiiiiiiiliiliiiiil.private_seg_size, 32
	.set _ZL15flash_attn_tileILi72ELi72ELi32ELi1ELb0EEvPKcS1_S1_S1_S1_PKiPfP15HIP_vector_typeIfLj2EEffffjfiS5_IjLj3EEiiiiiiiiiiiliiliiiiil.uses_vcc, 1
	.set _ZL15flash_attn_tileILi72ELi72ELi32ELi1ELb0EEvPKcS1_S1_S1_S1_PKiPfP15HIP_vector_typeIfLj2EEffffjfiS5_IjLj3EEiiiiiiiiiiiliiliiiiil.uses_flat_scratch, 1
	.set _ZL15flash_attn_tileILi72ELi72ELi32ELi1ELb0EEvPKcS1_S1_S1_S1_PKiPfP15HIP_vector_typeIfLj2EEffffjfiS5_IjLj3EEiiiiiiiiiiiliiliiiiil.has_dyn_sized_stack, 0
	.set _ZL15flash_attn_tileILi72ELi72ELi32ELi1ELb0EEvPKcS1_S1_S1_S1_PKiPfP15HIP_vector_typeIfLj2EEffffjfiS5_IjLj3EEiiiiiiiiiiiliiliiiiil.has_recursion, 0
	.set _ZL15flash_attn_tileILi72ELi72ELi32ELi1ELb0EEvPKcS1_S1_S1_S1_PKiPfP15HIP_vector_typeIfLj2EEffffjfiS5_IjLj3EEiiiiiiiiiiiliiliiiiil.has_indirect_call, 0
	.section	.AMDGPU.csdata,"",@progbits
; Kernel info:
; codeLenInByte = 24304
; TotalNumSgprs: 54
; NumVgprs: 218
; ScratchSize: 32
; MemoryBound: 0
; FloatMode: 240
; IeeeMode: 1
; LDSByteSize: 12000 bytes/workgroup (compile time only)
; SGPRBlocks: 0
; VGPRBlocks: 27
; NumSGPRsForWavesPerEU: 54
; NumVGPRsForWavesPerEU: 218
; Occupancy: 4
; WaveLimiterHint : 1
; COMPUTE_PGM_RSRC2:SCRATCH_EN: 1
; COMPUTE_PGM_RSRC2:USER_SGPR: 8
; COMPUTE_PGM_RSRC2:TRAP_HANDLER: 0
; COMPUTE_PGM_RSRC2:TGID_X_EN: 1
; COMPUTE_PGM_RSRC2:TGID_Y_EN: 1
; COMPUTE_PGM_RSRC2:TGID_Z_EN: 1
; COMPUTE_PGM_RSRC2:TIDIG_COMP_CNT: 1
	.section	.text._ZL33flash_attn_stream_k_fixup_uniformILi72ELi32ELi1EEvPfPK15HIP_vector_typeIfLj2EEiiiiiiS1_IjLj3EES5_S5_,"axG",@progbits,_ZL33flash_attn_stream_k_fixup_uniformILi72ELi32ELi1EEvPfPK15HIP_vector_typeIfLj2EEiiiiiiS1_IjLj3EES5_S5_,comdat
	.globl	_ZL33flash_attn_stream_k_fixup_uniformILi72ELi32ELi1EEvPfPK15HIP_vector_typeIfLj2EEiiiiiiS1_IjLj3EES5_S5_ ; -- Begin function _ZL33flash_attn_stream_k_fixup_uniformILi72ELi32ELi1EEvPfPK15HIP_vector_typeIfLj2EEiiiiiiS1_IjLj3EES5_S5_
	.p2align	8
	.type	_ZL33flash_attn_stream_k_fixup_uniformILi72ELi32ELi1EEvPfPK15HIP_vector_typeIfLj2EEiiiiiiS1_IjLj3EES5_S5_,@function
_ZL33flash_attn_stream_k_fixup_uniformILi72ELi32ELi1EEvPfPK15HIP_vector_typeIfLj2EEiiiiiiS1_IjLj3EES5_S5_: ; @_ZL33flash_attn_stream_k_fixup_uniformILi72ELi32ELi1EEvPfPK15HIP_vector_typeIfLj2EEiiiiiiS1_IjLj3EES5_S5_
; %bb.0:
	s_clause 0x2
	s_load_dwordx8 s[12:19], s[4:5], 0x1c
	s_load_dwordx4 s[20:23], s[4:5], 0x3c
	s_load_dwordx2 s[10:11], s[4:5], 0x10
	s_waitcnt lgkmcnt(0)
	s_mul_hi_u32 s0, s15, s6
	s_add_i32 s0, s6, s0
	s_lshr_b32 s0, s0, s16
	s_mul_i32 s1, s0, s17
	s_sub_i32 s1, s6, s1
	s_mul_hi_u32 s2, s1, s18
	s_add_i32 s2, s1, s2
	s_lshr_b32 s9, s2, s19
	s_mul_i32 s2, s9, s20
	s_sub_i32 s1, s1, s2
	;; [unrolled: 5-line block ×3, first 2 shown]
	s_lshl_b32 s1, s15, 5
	s_add_i32 s1, s1, s7
	s_cmp_lt_i32 s1, s10
	s_cselect_b32 s1, -1, 0
	s_add_i32 s16, s16, s8
	s_cmp_lt_i32 s16, s13
	s_cselect_b32 s2, -1, 0
	s_and_b32 s1, s1, s2
	s_andn2_b32 vcc_lo, exec_lo, s1
	s_cbranch_vccnz .LBB57_6
; %bb.1:
	s_mul_i32 s10, s0, s10
	s_load_dwordx4 s[0:3], s[4:5], 0x0
	s_add_i32 s4, s10, s7
	s_mul_i32 s9, s9, s13
	s_mul_i32 s4, s4, s11
	s_add_i32 s5, s16, s9
	s_mul_i32 s9, s11, s15
	s_add_i32 s4, s5, s4
	s_mulk_i32 s9, 0x900
	s_mulk_i32 s4, 0x48
	s_add_i32 s8, s7, s8
	v_add3_u32 v1, s4, s9, v0
	s_mul_i32 s4, s14, s6
	s_add_i32 s9, s4, s14
	v_ashrrev_i32_e32 v2, 31, v1
	v_lshlrev_b64 v[1:2], 2, v[1:2]
	s_waitcnt lgkmcnt(0)
	v_add_co_u32 v1, vcc_lo, s0, v1
	v_add_co_ci_u32_e64 v2, null, s1, v2, vcc_lo
	s_lshl_b32 s0, s9, 5
	s_add_i32 s0, s8, s0
	global_load_dword v5, v[1:2], off
	s_sub_i32 s0, s0, 32
	s_ashr_i32 s1, s0, 31
	s_lshl_b64 s[0:1], s[0:1], 3
	s_add_u32 s0, s2, s0
	s_addc_u32 s1, s3, s1
	s_add_i32 s5, s9, -2
	s_load_dword s10, s[0:1], 0x4
	s_cmp_lt_i32 s5, s4
	s_cbranch_scc1 .LBB57_4
; %bb.2:
	s_load_dword s11, s[0:1], 0x0
	s_lshl_b32 s0, s12, 7
	s_waitcnt lgkmcnt(0)
	v_mov_b32_e32 v6, s10
	s_ashr_i32 s1, s0, 31
	s_lshl_b64 s[0:1], s[0:1], 2
	s_add_u32 s5, s2, s0
	s_addc_u32 s7, s3, s1
	s_add_i32 s6, s6, 1
	s_mul_i32 s1, s8, 0x48
	s_mul_i32 s0, s14, s6
	s_lshl_b32 s6, s0, 5
	s_mulk_i32 s0, 0x900
	s_add_i32 s6, s8, s6
	s_add_i32 s1, s1, s0
	s_lshl_b32 s0, s12, 5
	v_add3_u32 v3, s1, v0, 0xffffee00
	s_add_i32 s0, s6, s0
	v_mov_b32_e32 v0, s11
	s_add_i32 s6, s9, -1
	s_sub_i32 s0, s0, 64
.LBB57_3:                               ; =>This Inner Loop Header: Depth=1
	v_ashrrev_i32_e32 v4, 31, v3
	s_ashr_i32 s1, s0, 31
	s_lshl_b64 s[8:9], s[0:1], 3
	s_add_u32 s8, s2, s8
	v_lshlrev_b64 v[7:8], 2, v[3:4]
	s_addc_u32 s9, s3, s9
	v_add_nc_u32_e32 v3, 0xfffff700, v3
	s_add_i32 s6, s6, -1
	s_sub_i32 s0, s0, 32
	s_cmp_le_i32 s6, s4
	v_add_co_u32 v7, vcc_lo, s5, v7
	v_add_co_ci_u32_e64 v8, null, s7, v8, vcc_lo
	s_load_dwordx2 s[8:9], s[8:9], 0x0
	global_load_dword v4, v[7:8], off
	v_max_f32_e32 v7, v0, v0
	s_waitcnt lgkmcnt(0)
	v_max_f32_e64 v8, s8, s8
	v_max_f32_e32 v7, v7, v8
	v_sub_f32_e32 v8, s8, v7
	v_sub_f32_e32 v0, v0, v7
	v_mul_f32_e32 v9, 0x3fb8aa3b, v8
	v_mul_f32_e32 v12, 0x3fb8aa3b, v0
	v_cmp_ngt_f32_e32 vcc_lo, 0xc2ce8ed0, v8
	v_fma_f32 v10, 0x3fb8aa3b, v8, -v9
	v_rndne_f32_e32 v11, v9
	v_fma_f32 v13, 0x3fb8aa3b, v0, -v12
	v_rndne_f32_e32 v14, v12
	v_fmac_f32_e32 v10, 0x32a5705f, v8
	v_sub_f32_e32 v9, v9, v11
	v_fmac_f32_e32 v13, 0x32a5705f, v0
	v_cvt_i32_f32_e32 v11, v11
	v_add_f32_e32 v9, v9, v10
	v_sub_f32_e32 v10, v12, v14
	v_exp_f32_e32 v9, v9
	v_add_f32_e32 v10, v10, v13
	v_exp_f32_e32 v10, v10
	v_ldexp_f32 v9, v9, v11
	v_cvt_i32_f32_e32 v11, v14
	v_cndmask_b32_e32 v9, 0, v9, vcc_lo
	v_cmp_nlt_f32_e32 vcc_lo, 0x42b17218, v8
	v_ldexp_f32 v10, v10, v11
	v_mov_b32_e32 v11, v6
	v_cndmask_b32_e32 v9, 0x7f800000, v9, vcc_lo
	v_cmp_ngt_f32_e32 vcc_lo, 0xc2ce8ed0, v0
	v_cndmask_b32_e32 v10, 0, v10, vcc_lo
	v_cmp_le_f32_e32 vcc_lo, 0xc1a00000, v8
	v_cndmask_b32_e32 v8, 0, v9, vcc_lo
	v_cmp_nlt_f32_e32 vcc_lo, 0x42b17218, v0
	s_waitcnt vmcnt(1)
	v_mov_b32_e32 v9, v5
	v_cndmask_b32_e32 v5, 0x7f800000, v10, vcc_lo
	v_mul_f32_e32 v10, s9, v8
	v_cmp_le_f32_e32 vcc_lo, 0xc1a00000, v0
	v_mov_b32_e32 v0, v7
	v_mov_b32_e32 v6, v10
	v_cndmask_b32_e32 v12, 0, v5, vcc_lo
	v_fmac_f32_e32 v6, v11, v12
	s_waitcnt vmcnt(0)
	v_mul_f32_e32 v5, v4, v8
	v_fmac_f32_e32 v5, v9, v12
	s_cbranch_scc0 .LBB57_3
	s_branch .LBB57_5
.LBB57_4:
	s_waitcnt lgkmcnt(0)
	v_mov_b32_e32 v6, s10
.LBB57_5:
	s_waitcnt vmcnt(0)
	v_div_scale_f32 v0, null, v6, v6, v5
	v_rcp_f32_e32 v3, v0
	v_fma_f32 v4, -v0, v3, 1.0
	v_fmac_f32_e32 v3, v4, v3
	v_div_scale_f32 v4, vcc_lo, v5, v6, v5
	v_mul_f32_e32 v7, v4, v3
	v_fma_f32 v8, -v0, v7, v4
	v_fmac_f32_e32 v7, v8, v3
	v_fma_f32 v0, -v0, v7, v4
	v_div_fmas_f32 v0, v0, v3, v7
	v_div_fixup_f32 v0, v0, v6, v5
	global_store_dword v[1:2], v0, off
.LBB57_6:
	s_endpgm
	.section	.rodata,"a",@progbits
	.p2align	6, 0x0
	.amdhsa_kernel _ZL33flash_attn_stream_k_fixup_uniformILi72ELi32ELi1EEvPfPK15HIP_vector_typeIfLj2EEiiiiiiS1_IjLj3EES5_S5_
		.amdhsa_group_segment_fixed_size 0
		.amdhsa_private_segment_fixed_size 0
		.amdhsa_kernarg_size 76
		.amdhsa_user_sgpr_count 6
		.amdhsa_user_sgpr_private_segment_buffer 1
		.amdhsa_user_sgpr_dispatch_ptr 0
		.amdhsa_user_sgpr_queue_ptr 0
		.amdhsa_user_sgpr_kernarg_segment_ptr 1
		.amdhsa_user_sgpr_dispatch_id 0
		.amdhsa_user_sgpr_flat_scratch_init 0
		.amdhsa_user_sgpr_private_segment_size 0
		.amdhsa_wavefront_size32 1
		.amdhsa_uses_dynamic_stack 0
		.amdhsa_system_sgpr_private_segment_wavefront_offset 0
		.amdhsa_system_sgpr_workgroup_id_x 1
		.amdhsa_system_sgpr_workgroup_id_y 1
		.amdhsa_system_sgpr_workgroup_id_z 1
		.amdhsa_system_sgpr_workgroup_info 0
		.amdhsa_system_vgpr_workitem_id 0
		.amdhsa_next_free_vgpr 15
		.amdhsa_next_free_sgpr 24
		.amdhsa_reserve_vcc 1
		.amdhsa_reserve_flat_scratch 0
		.amdhsa_float_round_mode_32 0
		.amdhsa_float_round_mode_16_64 0
		.amdhsa_float_denorm_mode_32 3
		.amdhsa_float_denorm_mode_16_64 3
		.amdhsa_dx10_clamp 1
		.amdhsa_ieee_mode 1
		.amdhsa_fp16_overflow 0
		.amdhsa_workgroup_processor_mode 1
		.amdhsa_memory_ordered 1
		.amdhsa_forward_progress 1
		.amdhsa_shared_vgpr_count 0
		.amdhsa_exception_fp_ieee_invalid_op 0
		.amdhsa_exception_fp_denorm_src 0
		.amdhsa_exception_fp_ieee_div_zero 0
		.amdhsa_exception_fp_ieee_overflow 0
		.amdhsa_exception_fp_ieee_underflow 0
		.amdhsa_exception_fp_ieee_inexact 0
		.amdhsa_exception_int_div_zero 0
	.end_amdhsa_kernel
	.section	.text._ZL33flash_attn_stream_k_fixup_uniformILi72ELi32ELi1EEvPfPK15HIP_vector_typeIfLj2EEiiiiiiS1_IjLj3EES5_S5_,"axG",@progbits,_ZL33flash_attn_stream_k_fixup_uniformILi72ELi32ELi1EEvPfPK15HIP_vector_typeIfLj2EEiiiiiiS1_IjLj3EES5_S5_,comdat
.Lfunc_end57:
	.size	_ZL33flash_attn_stream_k_fixup_uniformILi72ELi32ELi1EEvPfPK15HIP_vector_typeIfLj2EEiiiiiiS1_IjLj3EES5_S5_, .Lfunc_end57-_ZL33flash_attn_stream_k_fixup_uniformILi72ELi32ELi1EEvPfPK15HIP_vector_typeIfLj2EEiiiiiiS1_IjLj3EES5_S5_
                                        ; -- End function
	.set _ZL33flash_attn_stream_k_fixup_uniformILi72ELi32ELi1EEvPfPK15HIP_vector_typeIfLj2EEiiiiiiS1_IjLj3EES5_S5_.num_vgpr, 15
	.set _ZL33flash_attn_stream_k_fixup_uniformILi72ELi32ELi1EEvPfPK15HIP_vector_typeIfLj2EEiiiiiiS1_IjLj3EES5_S5_.num_agpr, 0
	.set _ZL33flash_attn_stream_k_fixup_uniformILi72ELi32ELi1EEvPfPK15HIP_vector_typeIfLj2EEiiiiiiS1_IjLj3EES5_S5_.numbered_sgpr, 24
	.set _ZL33flash_attn_stream_k_fixup_uniformILi72ELi32ELi1EEvPfPK15HIP_vector_typeIfLj2EEiiiiiiS1_IjLj3EES5_S5_.num_named_barrier, 0
	.set _ZL33flash_attn_stream_k_fixup_uniformILi72ELi32ELi1EEvPfPK15HIP_vector_typeIfLj2EEiiiiiiS1_IjLj3EES5_S5_.private_seg_size, 0
	.set _ZL33flash_attn_stream_k_fixup_uniformILi72ELi32ELi1EEvPfPK15HIP_vector_typeIfLj2EEiiiiiiS1_IjLj3EES5_S5_.uses_vcc, 1
	.set _ZL33flash_attn_stream_k_fixup_uniformILi72ELi32ELi1EEvPfPK15HIP_vector_typeIfLj2EEiiiiiiS1_IjLj3EES5_S5_.uses_flat_scratch, 0
	.set _ZL33flash_attn_stream_k_fixup_uniformILi72ELi32ELi1EEvPfPK15HIP_vector_typeIfLj2EEiiiiiiS1_IjLj3EES5_S5_.has_dyn_sized_stack, 0
	.set _ZL33flash_attn_stream_k_fixup_uniformILi72ELi32ELi1EEvPfPK15HIP_vector_typeIfLj2EEiiiiiiS1_IjLj3EES5_S5_.has_recursion, 0
	.set _ZL33flash_attn_stream_k_fixup_uniformILi72ELi32ELi1EEvPfPK15HIP_vector_typeIfLj2EEiiiiiiS1_IjLj3EES5_S5_.has_indirect_call, 0
	.section	.AMDGPU.csdata,"",@progbits
; Kernel info:
; codeLenInByte = 828
; TotalNumSgprs: 26
; NumVgprs: 15
; ScratchSize: 0
; MemoryBound: 0
; FloatMode: 240
; IeeeMode: 1
; LDSByteSize: 0 bytes/workgroup (compile time only)
; SGPRBlocks: 0
; VGPRBlocks: 1
; NumSGPRsForWavesPerEU: 26
; NumVGPRsForWavesPerEU: 15
; Occupancy: 16
; WaveLimiterHint : 0
; COMPUTE_PGM_RSRC2:SCRATCH_EN: 0
; COMPUTE_PGM_RSRC2:USER_SGPR: 6
; COMPUTE_PGM_RSRC2:TRAP_HANDLER: 0
; COMPUTE_PGM_RSRC2:TGID_X_EN: 1
; COMPUTE_PGM_RSRC2:TGID_Y_EN: 1
; COMPUTE_PGM_RSRC2:TGID_Z_EN: 1
; COMPUTE_PGM_RSRC2:TIDIG_COMP_CNT: 0
	.section	.text._ZL33flash_attn_stream_k_fixup_generalILi72ELi32ELi1EEvPfPK15HIP_vector_typeIfLj2EEiiiiS1_IjLj3EES5_S5_S5_,"axG",@progbits,_ZL33flash_attn_stream_k_fixup_generalILi72ELi32ELi1EEvPfPK15HIP_vector_typeIfLj2EEiiiiS1_IjLj3EES5_S5_S5_,comdat
	.globl	_ZL33flash_attn_stream_k_fixup_generalILi72ELi32ELi1EEvPfPK15HIP_vector_typeIfLj2EEiiiiS1_IjLj3EES5_S5_S5_ ; -- Begin function _ZL33flash_attn_stream_k_fixup_generalILi72ELi32ELi1EEvPfPK15HIP_vector_typeIfLj2EEiiiiS1_IjLj3EES5_S5_S5_
	.p2align	8
	.type	_ZL33flash_attn_stream_k_fixup_generalILi72ELi32ELi1EEvPfPK15HIP_vector_typeIfLj2EEiiiiS1_IjLj3EES5_S5_S5_,@function
_ZL33flash_attn_stream_k_fixup_generalILi72ELi32ELi1EEvPfPK15HIP_vector_typeIfLj2EEiiiiS1_IjLj3EES5_S5_S5_: ; @_ZL33flash_attn_stream_k_fixup_generalILi72ELi32ELi1EEvPfPK15HIP_vector_typeIfLj2EEiiiiS1_IjLj3EES5_S5_S5_
; %bb.0:
	s_clause 0x1
	s_load_dwordx4 s[0:3], s[4:5], 0x10
	s_load_dword s9, s[4:5], 0x50
	s_mov_b32 s16, 0
	s_waitcnt lgkmcnt(0)
	s_mul_hi_i32 s17, s3, s6
	s_mul_i32 s18, s3, s6
	s_cmp_lg_u64 s[16:17], 0
	s_cbranch_scc0 .LBB58_21
; %bb.1:
	s_add_u32 s10, s9, 0
	s_addc_u32 s11, 0, 0
	s_xor_b64 s[10:11], s[10:11], 0
	v_cvt_f32_u32_e32 v1, s10
	v_cvt_f32_u32_e32 v2, s11
	s_sub_u32 s14, 0, s10
	s_subb_u32 s15, 0, s11
	v_fmamk_f32 v1, v2, 0x4f800000, v1
	v_rcp_f32_e32 v1, v1
	v_mul_f32_e32 v1, 0x5f7ffffc, v1
	v_mul_f32_e32 v2, 0x2f800000, v1
	v_trunc_f32_e32 v2, v2
	v_fmamk_f32 v1, v2, 0xcf800000, v1
	v_cvt_u32_f32_e32 v2, v2
	v_cvt_u32_f32_e32 v1, v1
	v_readfirstlane_b32 s12, v2
	v_readfirstlane_b32 s13, v1
	s_mul_i32 s19, s14, s12
	s_mul_hi_u32 s21, s14, s13
	s_mul_i32 s20, s15, s13
	s_add_i32 s19, s21, s19
	s_mul_i32 s22, s14, s13
	s_add_i32 s19, s19, s20
	s_mul_hi_u32 s21, s13, s22
	s_mul_i32 s24, s13, s19
	s_mul_hi_u32 s23, s12, s22
	s_mul_i32 s20, s12, s22
	s_mul_hi_u32 s22, s13, s19
	s_add_u32 s21, s21, s24
	s_addc_u32 s22, 0, s22
	s_mul_hi_u32 s25, s12, s19
	s_add_u32 s20, s21, s20
	s_mul_i32 s19, s12, s19
	s_addc_u32 s20, s22, s23
	s_addc_u32 s21, s25, 0
	s_add_u32 s19, s20, s19
	s_addc_u32 s20, 0, s21
	s_add_u32 s13, s13, s19
	s_cselect_b32 s19, -1, 0
	s_mul_hi_u32 s21, s14, s13
	s_cmp_lg_u32 s19, 0
	s_mul_i32 s19, s14, s13
	s_addc_u32 s12, s12, s20
	s_mul_i32 s15, s15, s13
	s_mul_i32 s14, s14, s12
	s_mul_hi_u32 s20, s13, s19
	s_add_i32 s14, s21, s14
	s_mul_hi_u32 s21, s12, s19
	s_add_i32 s14, s14, s15
	s_mul_i32 s15, s12, s19
	s_mul_i32 s23, s13, s14
	s_mul_hi_u32 s22, s13, s14
	s_add_u32 s20, s20, s23
	s_addc_u32 s22, 0, s22
	s_mul_hi_u32 s19, s12, s14
	s_add_u32 s15, s20, s15
	s_mul_i32 s14, s12, s14
	s_addc_u32 s15, s22, s21
	s_addc_u32 s19, s19, 0
	s_add_u32 s14, s15, s14
	s_addc_u32 s15, 0, s19
	s_add_u32 s19, s13, s14
	s_cselect_b32 s13, -1, 0
	s_cmp_lg_u32 s13, 0
	s_addc_u32 s20, s12, s15
	s_ashr_i32 s12, s17, 31
	s_add_u32 s14, s18, s12
	s_mov_b32 s13, s12
	s_addc_u32 s15, s17, s12
	s_xor_b64 s[14:15], s[14:15], s[12:13]
	s_mul_i32 s21, s14, s20
	s_mul_hi_u32 s22, s14, s19
	s_mul_hi_u32 s17, s14, s20
	;; [unrolled: 1-line block ×3, first 2 shown]
	s_mul_i32 s19, s15, s19
	s_add_u32 s21, s22, s21
	s_addc_u32 s17, 0, s17
	s_mul_hi_u32 s23, s15, s20
	s_add_u32 s19, s21, s19
	s_mul_i32 s20, s15, s20
	s_addc_u32 s17, s17, s24
	s_addc_u32 s19, s23, 0
	s_add_u32 s17, s17, s20
	s_addc_u32 s19, 0, s19
	s_mul_hi_u32 s20, s10, s17
	s_mul_i32 s21, s10, s19
	s_mul_i32 s22, s11, s17
	s_add_i32 s20, s20, s21
	s_mul_i32 s21, s10, s17
	s_add_i32 s20, s20, s22
	s_sub_i32 s22, s15, s20
	s_sub_u32 s14, s14, s21
	s_cselect_b32 s21, -1, 0
	s_cmp_lg_u32 s21, 0
	s_subb_u32 s22, s22, s11
	s_sub_u32 s23, s14, s10
	s_cselect_b32 s24, -1, 0
	s_cmp_lg_u32 s24, 0
	s_subb_u32 s22, s22, 0
	s_cmp_ge_u32 s22, s11
	s_cselect_b32 s24, -1, 0
	s_cmp_ge_u32 s23, s10
	s_cselect_b32 s23, -1, 0
	s_cmp_eq_u32 s22, s11
	s_cselect_b32 s22, s23, s24
	s_add_u32 s23, s17, 1
	s_addc_u32 s24, s19, 0
	s_add_u32 s25, s17, 2
	s_addc_u32 s26, s19, 0
	s_cmp_lg_u32 s22, 0
	s_cselect_b32 s22, s25, s23
	s_cselect_b32 s23, s26, s24
	s_cmp_lg_u32 s21, 0
	s_subb_u32 s15, s15, s20
	s_cmp_ge_u32 s15, s11
	s_cselect_b32 s20, -1, 0
	s_cmp_ge_u32 s14, s10
	s_cselect_b32 s10, -1, 0
	s_cmp_eq_u32 s15, s11
	s_cselect_b32 s10, s10, s20
	s_cmp_lg_u32 s10, 0
	s_cselect_b32 s11, s23, s19
	s_cselect_b32 s10, s22, s17
	s_xor_b64 s[12:13], s[12:13], 0
	s_xor_b64 s[10:11], s[10:11], s[12:13]
	s_sub_u32 s10, s10, s12
	s_load_dwordx4 s[12:15], s[4:5], 0x44
	s_andn2_b32 vcc_lo, exec_lo, s16
	s_cbranch_vccnz .LBB58_3
.LBB58_2:
	v_cvt_f32_u32_e32 v1, s9
	s_sub_i32 s11, 0, s9
	v_rcp_iflag_f32_e32 v1, v1
	v_mul_f32_e32 v1, 0x4f7ffffe, v1
	v_cvt_u32_f32_e32 v1, v1
	v_readfirstlane_b32 s10, v1
	s_mul_i32 s11, s11, s10
	s_mul_hi_u32 s11, s10, s11
	s_add_i32 s10, s10, s11
	s_mul_hi_u32 s10, s18, s10
	s_mul_i32 s11, s10, s9
	s_waitcnt lgkmcnt(0)
	s_add_i32 s15, s10, 1
	s_sub_i32 s11, s18, s11
	s_sub_i32 s16, s11, s9
	s_cmp_ge_u32 s11, s9
	s_cselect_b32 s10, s15, s10
	s_cselect_b32 s11, s16, s11
	s_add_i32 s15, s10, 1
	s_cmp_ge_u32 s11, s9
	s_cselect_b32 s10, s15, s10
.LBB58_3:
	s_add_i32 s11, s6, 1
	s_mov_b32 s16, 0
	s_mul_hi_i32 s17, s3, s11
	s_mul_i32 s11, s3, s11
	s_cmp_lg_u64 s[16:17], 0
	s_cbranch_scc0 .LBB58_22
; %bb.4:
	s_add_u32 s18, s9, 0
	s_addc_u32 s19, 0, 0
	s_xor_b64 s[18:19], s[18:19], 0
	v_cvt_f32_u32_e32 v1, s18
	v_cvt_f32_u32_e32 v2, s19
	s_sub_u32 s21, 0, s18
	s_subb_u32 s22, 0, s19
	v_fmamk_f32 v1, v2, 0x4f800000, v1
	v_rcp_f32_e32 v1, v1
	v_mul_f32_e32 v1, 0x5f7ffffc, v1
	v_mul_f32_e32 v2, 0x2f800000, v1
	v_trunc_f32_e32 v2, v2
	v_fmamk_f32 v1, v2, 0xcf800000, v1
	v_cvt_u32_f32_e32 v2, v2
	v_cvt_u32_f32_e32 v1, v1
	s_waitcnt lgkmcnt(0)
	v_readfirstlane_b32 s15, v2
	v_readfirstlane_b32 s20, v1
	s_mul_i32 s23, s21, s15
	s_mul_hi_u32 s25, s21, s20
	s_mul_i32 s24, s22, s20
	s_add_i32 s23, s25, s23
	s_mul_i32 s26, s21, s20
	s_add_i32 s23, s23, s24
	s_mul_hi_u32 s25, s20, s26
	s_mul_i32 s28, s20, s23
	s_mul_hi_u32 s27, s15, s26
	s_mul_i32 s24, s15, s26
	s_mul_hi_u32 s26, s20, s23
	s_add_u32 s25, s25, s28
	s_addc_u32 s26, 0, s26
	s_mul_hi_u32 s29, s15, s23
	s_add_u32 s24, s25, s24
	s_mul_i32 s23, s15, s23
	s_addc_u32 s24, s26, s27
	s_addc_u32 s25, s29, 0
	s_add_u32 s23, s24, s23
	s_addc_u32 s24, 0, s25
	s_add_u32 s20, s20, s23
	s_cselect_b32 s23, -1, 0
	s_mul_hi_u32 s25, s21, s20
	s_cmp_lg_u32 s23, 0
	s_mul_i32 s23, s21, s20
	s_addc_u32 s15, s15, s24
	s_mul_i32 s22, s22, s20
	s_mul_i32 s21, s21, s15
	s_mul_hi_u32 s24, s20, s23
	s_add_i32 s21, s25, s21
	s_mul_hi_u32 s25, s15, s23
	s_add_i32 s21, s21, s22
	s_mul_i32 s22, s15, s23
	s_mul_i32 s27, s20, s21
	s_mul_hi_u32 s26, s20, s21
	s_add_u32 s24, s24, s27
	s_addc_u32 s26, 0, s26
	s_mul_hi_u32 s23, s15, s21
	s_add_u32 s22, s24, s22
	s_mul_i32 s21, s15, s21
	s_addc_u32 s22, s26, s25
	s_addc_u32 s23, s23, 0
	s_add_u32 s21, s22, s21
	s_addc_u32 s22, 0, s23
	s_add_u32 s24, s20, s21
	s_cselect_b32 s20, -1, 0
	s_cmp_lg_u32 s20, 0
	s_addc_u32 s15, s15, s22
	s_ashr_i32 s20, s17, 31
	s_add_u32 s22, s11, s20
	s_mov_b32 s21, s20
	s_addc_u32 s23, s17, s20
	s_xor_b64 s[22:23], s[22:23], s[20:21]
	s_mul_i32 s25, s22, s15
	s_mul_hi_u32 s26, s22, s24
	s_mul_hi_u32 s17, s22, s15
	;; [unrolled: 1-line block ×3, first 2 shown]
	s_mul_i32 s24, s23, s24
	s_add_u32 s25, s26, s25
	s_addc_u32 s17, 0, s17
	s_mul_hi_u32 s27, s23, s15
	s_add_u32 s24, s25, s24
	s_mul_i32 s15, s23, s15
	s_addc_u32 s17, s17, s28
	s_addc_u32 s24, s27, 0
	s_add_u32 s15, s17, s15
	s_addc_u32 s17, 0, s24
	s_mul_hi_u32 s24, s18, s15
	s_mul_i32 s25, s18, s17
	s_mul_i32 s26, s19, s15
	s_add_i32 s24, s24, s25
	s_mul_i32 s25, s18, s15
	s_add_i32 s24, s24, s26
	s_sub_i32 s26, s23, s24
	s_sub_u32 s22, s22, s25
	s_cselect_b32 s25, -1, 0
	s_cmp_lg_u32 s25, 0
	s_subb_u32 s26, s26, s19
	s_sub_u32 s27, s22, s18
	s_cselect_b32 s28, -1, 0
	s_cmp_lg_u32 s28, 0
	s_subb_u32 s26, s26, 0
	s_cmp_ge_u32 s26, s19
	s_cselect_b32 s28, -1, 0
	s_cmp_ge_u32 s27, s18
	s_cselect_b32 s27, -1, 0
	s_cmp_eq_u32 s26, s19
	s_cselect_b32 s26, s27, s28
	s_add_u32 s27, s15, 1
	s_addc_u32 s28, s17, 0
	s_add_u32 s29, s15, 2
	s_addc_u32 s30, s17, 0
	s_cmp_lg_u32 s26, 0
	s_cselect_b32 s26, s29, s27
	s_cselect_b32 s27, s30, s28
	s_cmp_lg_u32 s25, 0
	s_subb_u32 s23, s23, s24
	s_cmp_ge_u32 s23, s19
	s_cselect_b32 s24, -1, 0
	s_cmp_ge_u32 s22, s18
	s_cselect_b32 s18, -1, 0
	s_cmp_eq_u32 s23, s19
	s_cselect_b32 s18, s18, s24
	s_cmp_lg_u32 s18, 0
	s_cselect_b32 s19, s27, s17
	s_cselect_b32 s18, s26, s15
	s_xor_b64 s[20:21], s[20:21], 0
	s_xor_b64 s[18:19], s[18:19], s[20:21]
	s_sub_u32 s18, s18, s20
	s_andn2_b32 vcc_lo, exec_lo, s16
	s_cbranch_vccnz .LBB58_6
.LBB58_5:
	v_cvt_f32_u32_e32 v1, s9
	s_sub_i32 s16, 0, s9
	v_rcp_iflag_f32_e32 v1, v1
	v_mul_f32_e32 v1, 0x4f7ffffe, v1
	v_cvt_u32_f32_e32 v1, v1
	s_waitcnt lgkmcnt(0)
	v_readfirstlane_b32 s15, v1
	s_mul_i32 s16, s16, s15
	s_mul_hi_u32 s16, s15, s16
	s_add_i32 s15, s15, s16
	s_mul_hi_u32 s15, s11, s15
	s_mul_i32 s16, s15, s9
	s_sub_i32 s11, s11, s16
	s_add_i32 s16, s15, 1
	s_sub_i32 s17, s11, s9
	s_cmp_ge_u32 s11, s9
	s_cselect_b32 s15, s16, s15
	s_cselect_b32 s11, s17, s11
	s_add_i32 s16, s15, 1
	s_cmp_ge_u32 s11, s9
	s_cselect_b32 s18, s16, s15
.LBB58_6:
	s_cmp_eq_u32 s10, s18
	s_waitcnt lgkmcnt(0)
	s_mul_hi_u32 s11, s10, s12
	s_cselect_b32 s15, -1, 0
	s_add_i32 s11, s11, s10
	s_lshr_b32 s11, s11, s13
	s_mul_i32 s16, s11, s14
	s_cmp_eq_u32 s16, s10
	s_mul_hi_u32 s16, s18, s12
	s_cselect_b32 s17, -1, 0
	s_add_i32 s16, s16, s18
	s_lshr_b32 s16, s16, s13
	s_cmp_eq_u32 s11, s16
	s_mul_i32 s16, s16, s14
	s_cselect_b32 s19, -1, 0
	s_cmp_lg_u32 s16, s18
	s_cselect_b32 s16, -1, 0
	s_or_b32 s15, s15, s17
	s_and_b32 s16, s19, s16
	s_or_b32 s15, s15, s16
	s_and_b32 vcc_lo, exec_lo, s15
	s_cbranch_vccnz .LBB58_24
; %bb.7:
	s_clause 0x1
	s_load_dwordx8 s[20:27], s[4:5], 0x20
	s_load_dword s16, s[4:5], 0x40
	s_waitcnt lgkmcnt(0)
	s_mul_hi_u32 s15, s10, s20
	s_add_i32 s15, s15, s10
	s_lshr_b32 s15, s15, s21
	s_mul_i32 s17, s15, s22
	s_sub_i32 s17, s10, s17
	s_mul_hi_u32 s18, s17, s23
	s_add_i32 s18, s17, s18
	s_lshr_b32 s21, s18, s24
	s_mul_i32 s18, s21, s25
	s_sub_i32 s17, s17, s18
	;; [unrolled: 5-line block ×3, first 2 shown]
	s_mul_hi_u32 s17, s16, s12
	s_add_i32 s16, s16, s17
	s_lshr_b32 s20, s16, s13
	s_lshl_b32 s16, s20, 5
	s_add_i32 s16, s16, s7
	s_cmp_lt_i32 s16, s0
	s_cselect_b32 s16, -1, 0
	s_add_i32 s22, s22, s8
	s_cmp_lt_i32 s22, s2
	s_cselect_b32 s17, -1, 0
	s_and_b32 s16, s16, s17
	s_andn2_b32 vcc_lo, exec_lo, s16
	s_cbranch_vccnz .LBB58_24
; %bb.8:
	s_load_dwordx4 s[16:19], s[4:5], 0x0
	s_mov_b32 s4, 0
	s_lshl_b32 s24, s9, 7
	s_mov_b32 s25, s4
	s_add_i32 s8, s7, s8
	s_lshl_b64 s[24:25], s[24:25], 2
	s_mul_i32 s0, s15, s0
	s_mul_i32 s21, s21, s2
	v_cvt_f32_u32_e32 v3, s9
	v_rcp_iflag_f32_e32 v3, v3
	s_waitcnt lgkmcnt(0)
	s_add_u32 s2, s18, s24
	s_addc_u32 s15, s19, s25
	s_add_i32 s0, s0, s7
	s_add_i32 s5, s22, s21
	s_mul_i32 s0, s0, s1
	s_mul_i32 s1, s1, s20
	s_add_i32 s0, s5, s0
	s_mulk_i32 s1, 0x900
	s_mulk_i32 s0, 0x48
	v_mul_f32_e32 v7, 0x4f7ffffe, v3
	v_add3_u32 v1, s1, s0, v0
	s_lshl_b32 s0, s6, 5
	s_add_i32 s0, s0, s8
	v_ashrrev_i32_e32 v2, 31, v1
	s_ashr_i32 s1, s0, 31
	s_lshl_b64 s[0:1], s[0:1], 3
	v_lshlrev_b64 v[1:2], 2, v[1:2]
	s_add_u32 s0, s18, s0
	s_addc_u32 s1, s19, s1
	s_load_dwordx2 s[0:1], s[0:1], 0x0
	v_add_co_u32 v1, vcc_lo, s16, v1
	v_add_co_ci_u32_e64 v2, null, s17, v2, vcc_lo
	s_add_i32 s17, s6, -1
	v_mad_u64_u32 v[3:4], null, 0x48, s8, v[0:1]
	global_load_dword v5, v[1:2], off
	v_cvt_u32_f32_e32 v0, v7
	s_sub_i32 s16, 0, s9
	s_waitcnt lgkmcnt(0)
	v_mov_b32_e32 v4, s1
	v_mov_b32_e32 v6, s0
.LBB58_9:                               ; =>This Inner Loop Header: Depth=1
	s_mul_hi_i32 s5, s17, s3
	s_mul_i32 s6, s17, s3
	s_cmp_lg_u64 s[4:5], 0
	s_mov_b32 s7, -1
                                        ; implicit-def: $sgpr0_sgpr1
	s_cbranch_scc0 .LBB58_11
; %bb.10:                               ;   in Loop: Header=BB58_9 Depth=1
	s_add_u32 s0, s9, 0
	s_addc_u32 s1, 0, 0
	s_xor_b64 s[0:1], s[0:1], 0
	v_cvt_f32_u32_e32 v7, s0
	v_cvt_f32_u32_e32 v8, s1
	s_sub_u32 s21, 0, s0
	s_subb_u32 s22, 0, s1
	v_fmac_f32_e32 v7, 0x4f800000, v8
	v_rcp_f32_e32 v7, v7
	v_mul_f32_e32 v7, 0x5f7ffffc, v7
	v_mul_f32_e32 v8, 0x2f800000, v7
	v_trunc_f32_e32 v8, v8
	v_fmac_f32_e32 v7, 0xcf800000, v8
	v_cvt_u32_f32_e32 v8, v8
	v_cvt_u32_f32_e32 v7, v7
	v_readfirstlane_b32 s7, v8
	v_readfirstlane_b32 s20, v7
	s_mul_i32 s23, s21, s7
	s_mul_hi_u32 s25, s21, s20
	s_mul_i32 s24, s22, s20
	s_add_i32 s23, s25, s23
	s_mul_i32 s26, s21, s20
	s_add_i32 s23, s23, s24
	s_mul_hi_u32 s25, s20, s26
	s_mul_i32 s28, s20, s23
	s_mul_hi_u32 s27, s7, s26
	s_mul_i32 s24, s7, s26
	s_mul_hi_u32 s26, s20, s23
	s_add_u32 s25, s25, s28
	s_addc_u32 s26, 0, s26
	s_mul_hi_u32 s29, s7, s23
	s_add_u32 s24, s25, s24
	s_mul_i32 s23, s7, s23
	s_addc_u32 s24, s26, s27
	s_addc_u32 s25, s29, 0
	s_add_u32 s23, s24, s23
	s_addc_u32 s24, 0, s25
	s_add_u32 s20, s20, s23
	s_cselect_b32 s23, -1, 0
	s_mul_hi_u32 s25, s21, s20
	s_cmp_lg_u32 s23, 0
	s_mul_i32 s23, s21, s20
	s_addc_u32 s7, s7, s24
	s_mul_i32 s22, s22, s20
	s_mul_i32 s21, s21, s7
	s_mul_hi_u32 s24, s20, s23
	s_add_i32 s21, s25, s21
	s_mul_hi_u32 s25, s7, s23
	s_add_i32 s21, s21, s22
	s_mul_i32 s22, s7, s23
	s_mul_i32 s27, s20, s21
	s_mul_hi_u32 s26, s20, s21
	s_add_u32 s24, s24, s27
	s_addc_u32 s26, 0, s26
	s_mul_hi_u32 s23, s7, s21
	s_add_u32 s22, s24, s22
	s_mul_i32 s21, s7, s21
	s_addc_u32 s22, s26, s25
	s_addc_u32 s23, s23, 0
	s_add_u32 s21, s22, s21
	s_addc_u32 s22, 0, s23
	s_add_u32 s24, s20, s21
	s_cselect_b32 s20, -1, 0
	s_cmp_lg_u32 s20, 0
	s_addc_u32 s7, s7, s22
	s_ashr_i32 s20, s5, 31
	s_add_u32 s22, s6, s20
	s_mov_b32 s21, s20
	s_addc_u32 s23, s5, s20
	s_xor_b64 s[22:23], s[22:23], s[20:21]
	s_mul_i32 s25, s22, s7
	s_mul_hi_u32 s26, s22, s24
	s_mul_hi_u32 s5, s22, s7
	;; [unrolled: 1-line block ×3, first 2 shown]
	s_mul_i32 s24, s23, s24
	s_add_u32 s25, s26, s25
	s_addc_u32 s5, 0, s5
	s_mul_hi_u32 s27, s23, s7
	s_add_u32 s24, s25, s24
	s_mul_i32 s7, s23, s7
	s_addc_u32 s5, s5, s28
	s_addc_u32 s24, s27, 0
	s_add_u32 s5, s5, s7
	s_addc_u32 s7, 0, s24
	s_mul_hi_u32 s24, s0, s5
	s_mul_i32 s25, s0, s7
	s_mul_i32 s26, s1, s5
	s_add_i32 s24, s24, s25
	s_mul_i32 s25, s0, s5
	s_add_i32 s24, s24, s26
	s_sub_i32 s26, s23, s24
	s_sub_u32 s22, s22, s25
	s_cselect_b32 s25, -1, 0
	s_cmp_lg_u32 s25, 0
	s_subb_u32 s26, s26, s1
	s_sub_u32 s27, s22, s0
	s_cselect_b32 s28, -1, 0
	s_cmp_lg_u32 s28, 0
	s_subb_u32 s26, s26, 0
	s_cmp_ge_u32 s26, s1
	s_cselect_b32 s28, -1, 0
	s_cmp_ge_u32 s27, s0
	s_cselect_b32 s27, -1, 0
	s_cmp_eq_u32 s26, s1
	s_cselect_b32 s26, s27, s28
	s_add_u32 s27, s5, 1
	s_addc_u32 s28, s7, 0
	s_add_u32 s29, s5, 2
	s_addc_u32 s30, s7, 0
	s_cmp_lg_u32 s26, 0
	s_cselect_b32 s26, s29, s27
	s_cselect_b32 s27, s30, s28
	s_cmp_lg_u32 s25, 0
	s_subb_u32 s23, s23, s24
	s_cmp_ge_u32 s23, s1
	s_cselect_b32 s24, -1, 0
	s_cmp_ge_u32 s22, s0
	s_cselect_b32 s0, -1, 0
	s_cmp_eq_u32 s23, s1
	s_cselect_b32 s0, s0, s24
	s_cmp_lg_u32 s0, 0
	s_cselect_b32 s1, s27, s7
	s_cselect_b32 s0, s26, s5
	s_xor_b64 s[20:21], s[20:21], 0
	s_mov_b32 s7, 0
	s_xor_b64 s[0:1], s[0:1], s[20:21]
	s_sub_u32 s0, s0, s20
.LBB58_11:                              ;   in Loop: Header=BB58_9 Depth=1
	s_andn2_b32 vcc_lo, exec_lo, s7
	s_cbranch_vccnz .LBB58_13
; %bb.12:                               ;   in Loop: Header=BB58_9 Depth=1
	v_readfirstlane_b32 s0, v0
	s_mul_i32 s1, s16, s0
	s_mul_hi_u32 s1, s0, s1
	s_add_i32 s0, s0, s1
	s_mul_hi_u32 s0, s6, s0
	s_mul_i32 s1, s0, s9
	s_add_i32 s5, s0, 1
	s_sub_i32 s1, s6, s1
	s_sub_i32 s6, s1, s9
	s_cmp_ge_u32 s1, s9
	s_cselect_b32 s0, s5, s0
	s_cselect_b32 s1, s6, s1
	s_add_i32 s5, s0, 1
	s_cmp_ge_u32 s1, s9
	s_cselect_b32 s0, s5, s0
.LBB58_13:                              ;   in Loop: Header=BB58_9 Depth=1
	s_cmp_lg_u32 s10, s0
	s_mov_b32 s6, -1
                                        ; implicit-def: $sgpr5
                                        ; implicit-def: $vgpr8
                                        ; implicit-def: $vgpr7
                                        ; implicit-def: $vgpr9
                                        ; implicit-def: $sgpr1
                                        ; implicit-def: $sgpr20
	s_cbranch_scc0 .LBB58_18
; %bb.14:                               ;   in Loop: Header=BB58_9 Depth=1
	s_add_i32 s1, s17, s9
	s_mov_b32 s7, s4
	s_lshl_b32 s1, s1, 5
	s_mov_b32 s20, s10
	s_add_i32 s6, s1, s8
	s_mul_hi_u32 s1, s0, s12
	s_lshl_b64 s[6:7], s[6:7], 3
	s_add_u32 s6, s18, s6
	s_addc_u32 s7, s19, s7
	s_add_i32 s1, s1, s0
	s_lshr_b32 s1, s1, s13
	s_mul_i32 s5, s1, s14
	s_cmp_eq_u32 s5, s0
	s_cselect_b32 s5, -1, 0
	s_cmp_lt_u32 s1, s11
	s_cselect_b32 s1, -1, 0
	s_or_b32 s1, s1, s5
	s_mov_b32 s5, -1
	s_and_b32 vcc_lo, exec_lo, s1
	s_mov_b32 s1, s17
	s_cbranch_vccnz .LBB58_16
; %bb.15:                               ;   in Loop: Header=BB58_9 Depth=1
	s_add_i32 s1, s17, -1
	s_mov_b32 s5, 0
	s_mov_b32 s20, s0
.LBB58_16:                              ;   in Loop: Header=BB58_9 Depth=1
	v_mad_u64_u32 v[7:8], null, 0x900, s17, v[3:4]
	s_load_dwordx2 s[6:7], s[6:7], 0x0
	v_ashrrev_i32_e32 v8, 31, v7
	v_lshlrev_b64 v[7:8], 2, v[7:8]
	v_add_co_u32 v7, vcc_lo, s2, v7
	v_add_co_ci_u32_e64 v8, null, s15, v8, vcc_lo
	s_waitcnt lgkmcnt(0)
	v_max_f32_e64 v9, s6, s6
	global_load_dword v8, v[7:8], off
	v_max_f32_e32 v7, v6, v6
	v_max_f32_e32 v7, v7, v9
	v_sub_f32_e32 v9, s6, v7
	v_sub_f32_e32 v10, v6, v7
	v_mul_f32_e32 v11, 0x3fb8aa3b, v9
	v_mul_f32_e32 v12, 0x3fb8aa3b, v10
	v_cmp_ngt_f32_e32 vcc_lo, 0xc2ce8ed0, v9
	v_fma_f32 v13, 0x3fb8aa3b, v9, -v11
	v_rndne_f32_e32 v14, v11
	v_fma_f32 v15, 0x3fb8aa3b, v10, -v12
	v_rndne_f32_e32 v16, v12
	v_fmac_f32_e32 v13, 0x32a5705f, v9
	v_sub_f32_e32 v11, v11, v14
	v_fmac_f32_e32 v15, 0x32a5705f, v10
	v_sub_f32_e32 v12, v12, v16
	v_add_f32_e32 v11, v11, v13
	v_cvt_i32_f32_e32 v13, v14
	v_add_f32_e32 v12, v12, v15
	v_cvt_i32_f32_e32 v14, v16
	v_exp_f32_e32 v11, v11
	v_exp_f32_e32 v12, v12
	v_ldexp_f32 v11, v11, v13
	v_ldexp_f32 v12, v12, v14
	v_cndmask_b32_e32 v11, 0, v11, vcc_lo
	v_cmp_ngt_f32_e32 vcc_lo, 0xc2ce8ed0, v10
	v_cndmask_b32_e32 v12, 0, v12, vcc_lo
	v_cmp_nlt_f32_e32 vcc_lo, 0x42b17218, v9
	v_cndmask_b32_e32 v11, 0x7f800000, v11, vcc_lo
	v_cmp_nlt_f32_e32 vcc_lo, 0x42b17218, v10
	v_cndmask_b32_e32 v12, 0x7f800000, v12, vcc_lo
	v_cmp_le_f32_e32 vcc_lo, 0xc1a00000, v9
	v_cndmask_b32_e32 v9, 0, v11, vcc_lo
	v_cmp_le_f32_e32 vcc_lo, 0xc1a00000, v10
	v_cndmask_b32_e32 v10, 0, v12, vcc_lo
	s_waitcnt vmcnt(0)
	v_mul_f32_e32 v8, v8, v9
	v_mul_f32_e32 v9, s7, v9
	v_fmac_f32_e32 v8, v5, v10
	v_fmac_f32_e32 v9, v4, v10
	s_cbranch_execz .LBB58_19
.LBB58_17:                              ;   in Loop: Header=BB58_9 Depth=1
	s_andn2_b32 vcc_lo, exec_lo, s5
	s_cbranch_vccnz .LBB58_20
	s_branch .LBB58_23
.LBB58_18:                              ;   in Loop: Header=BB58_9 Depth=1
	s_andn2_b32 vcc_lo, exec_lo, s6
	s_cbranch_vccnz .LBB58_17
.LBB58_19:                              ;   in Loop: Header=BB58_9 Depth=1
	v_mov_b32_e32 v9, v4
	v_mov_b32_e32 v7, v6
	s_waitcnt vmcnt(0)
	v_mov_b32_e32 v8, v5
	s_add_i32 s1, s17, -1
	s_mov_b32 s20, s10
	s_cbranch_execz .LBB58_23
.LBB58_20:                              ;   in Loop: Header=BB58_9 Depth=1
	v_mov_b32_e32 v4, v9
	v_mov_b32_e32 v6, v7
	s_waitcnt vmcnt(0)
	v_mov_b32_e32 v5, v8
	s_mov_b32 s10, s20
	s_mov_b32 s17, s1
	s_branch .LBB58_9
.LBB58_21:
                                        ; implicit-def: $sgpr10_sgpr11
	s_load_dwordx4 s[12:15], s[4:5], 0x44
	s_branch .LBB58_2
.LBB58_22:
                                        ; implicit-def: $sgpr18_sgpr19
	s_branch .LBB58_5
.LBB58_23:
	v_div_scale_f32 v0, null, v9, v9, v8
	v_rcp_f32_e32 v3, v0
	v_fma_f32 v4, -v0, v3, 1.0
	v_fmac_f32_e32 v3, v4, v3
	v_div_scale_f32 v4, vcc_lo, v8, v9, v8
	s_waitcnt vmcnt(0)
	v_mul_f32_e32 v5, v4, v3
	v_fma_f32 v6, -v0, v5, v4
	v_fmac_f32_e32 v5, v6, v3
	v_fma_f32 v0, -v0, v5, v4
	v_div_fmas_f32 v0, v0, v3, v5
	v_div_fixup_f32 v0, v0, v9, v8
	global_store_dword v[1:2], v0, off
.LBB58_24:
	s_endpgm
	.section	.rodata,"a",@progbits
	.p2align	6, 0x0
	.amdhsa_kernel _ZL33flash_attn_stream_k_fixup_generalILi72ELi32ELi1EEvPfPK15HIP_vector_typeIfLj2EEiiiiS1_IjLj3EES5_S5_S5_
		.amdhsa_group_segment_fixed_size 0
		.amdhsa_private_segment_fixed_size 0
		.amdhsa_kernarg_size 336
		.amdhsa_user_sgpr_count 6
		.amdhsa_user_sgpr_private_segment_buffer 1
		.amdhsa_user_sgpr_dispatch_ptr 0
		.amdhsa_user_sgpr_queue_ptr 0
		.amdhsa_user_sgpr_kernarg_segment_ptr 1
		.amdhsa_user_sgpr_dispatch_id 0
		.amdhsa_user_sgpr_flat_scratch_init 0
		.amdhsa_user_sgpr_private_segment_size 0
		.amdhsa_wavefront_size32 1
		.amdhsa_uses_dynamic_stack 0
		.amdhsa_system_sgpr_private_segment_wavefront_offset 0
		.amdhsa_system_sgpr_workgroup_id_x 1
		.amdhsa_system_sgpr_workgroup_id_y 1
		.amdhsa_system_sgpr_workgroup_id_z 1
		.amdhsa_system_sgpr_workgroup_info 0
		.amdhsa_system_vgpr_workitem_id 0
		.amdhsa_next_free_vgpr 17
		.amdhsa_next_free_sgpr 31
		.amdhsa_reserve_vcc 1
		.amdhsa_reserve_flat_scratch 0
		.amdhsa_float_round_mode_32 0
		.amdhsa_float_round_mode_16_64 0
		.amdhsa_float_denorm_mode_32 3
		.amdhsa_float_denorm_mode_16_64 3
		.amdhsa_dx10_clamp 1
		.amdhsa_ieee_mode 1
		.amdhsa_fp16_overflow 0
		.amdhsa_workgroup_processor_mode 1
		.amdhsa_memory_ordered 1
		.amdhsa_forward_progress 1
		.amdhsa_shared_vgpr_count 0
		.amdhsa_exception_fp_ieee_invalid_op 0
		.amdhsa_exception_fp_denorm_src 0
		.amdhsa_exception_fp_ieee_div_zero 0
		.amdhsa_exception_fp_ieee_overflow 0
		.amdhsa_exception_fp_ieee_underflow 0
		.amdhsa_exception_fp_ieee_inexact 0
		.amdhsa_exception_int_div_zero 0
	.end_amdhsa_kernel
	.section	.text._ZL33flash_attn_stream_k_fixup_generalILi72ELi32ELi1EEvPfPK15HIP_vector_typeIfLj2EEiiiiS1_IjLj3EES5_S5_S5_,"axG",@progbits,_ZL33flash_attn_stream_k_fixup_generalILi72ELi32ELi1EEvPfPK15HIP_vector_typeIfLj2EEiiiiS1_IjLj3EES5_S5_S5_,comdat
.Lfunc_end58:
	.size	_ZL33flash_attn_stream_k_fixup_generalILi72ELi32ELi1EEvPfPK15HIP_vector_typeIfLj2EEiiiiS1_IjLj3EES5_S5_S5_, .Lfunc_end58-_ZL33flash_attn_stream_k_fixup_generalILi72ELi32ELi1EEvPfPK15HIP_vector_typeIfLj2EEiiiiS1_IjLj3EES5_S5_S5_
                                        ; -- End function
	.set _ZL33flash_attn_stream_k_fixup_generalILi72ELi32ELi1EEvPfPK15HIP_vector_typeIfLj2EEiiiiS1_IjLj3EES5_S5_S5_.num_vgpr, 17
	.set _ZL33flash_attn_stream_k_fixup_generalILi72ELi32ELi1EEvPfPK15HIP_vector_typeIfLj2EEiiiiS1_IjLj3EES5_S5_S5_.num_agpr, 0
	.set _ZL33flash_attn_stream_k_fixup_generalILi72ELi32ELi1EEvPfPK15HIP_vector_typeIfLj2EEiiiiS1_IjLj3EES5_S5_S5_.numbered_sgpr, 31
	.set _ZL33flash_attn_stream_k_fixup_generalILi72ELi32ELi1EEvPfPK15HIP_vector_typeIfLj2EEiiiiS1_IjLj3EES5_S5_S5_.num_named_barrier, 0
	.set _ZL33flash_attn_stream_k_fixup_generalILi72ELi32ELi1EEvPfPK15HIP_vector_typeIfLj2EEiiiiS1_IjLj3EES5_S5_S5_.private_seg_size, 0
	.set _ZL33flash_attn_stream_k_fixup_generalILi72ELi32ELi1EEvPfPK15HIP_vector_typeIfLj2EEiiiiS1_IjLj3EES5_S5_S5_.uses_vcc, 1
	.set _ZL33flash_attn_stream_k_fixup_generalILi72ELi32ELi1EEvPfPK15HIP_vector_typeIfLj2EEiiiiS1_IjLj3EES5_S5_S5_.uses_flat_scratch, 0
	.set _ZL33flash_attn_stream_k_fixup_generalILi72ELi32ELi1EEvPfPK15HIP_vector_typeIfLj2EEiiiiS1_IjLj3EES5_S5_S5_.has_dyn_sized_stack, 0
	.set _ZL33flash_attn_stream_k_fixup_generalILi72ELi32ELi1EEvPfPK15HIP_vector_typeIfLj2EEiiiiS1_IjLj3EES5_S5_S5_.has_recursion, 0
	.set _ZL33flash_attn_stream_k_fixup_generalILi72ELi32ELi1EEvPfPK15HIP_vector_typeIfLj2EEiiiiS1_IjLj3EES5_S5_S5_.has_indirect_call, 0
	.section	.AMDGPU.csdata,"",@progbits
; Kernel info:
; codeLenInByte = 2940
; TotalNumSgprs: 33
; NumVgprs: 17
; ScratchSize: 0
; MemoryBound: 0
; FloatMode: 240
; IeeeMode: 1
; LDSByteSize: 0 bytes/workgroup (compile time only)
; SGPRBlocks: 0
; VGPRBlocks: 2
; NumSGPRsForWavesPerEU: 33
; NumVGPRsForWavesPerEU: 17
; Occupancy: 16
; WaveLimiterHint : 0
; COMPUTE_PGM_RSRC2:SCRATCH_EN: 0
; COMPUTE_PGM_RSRC2:USER_SGPR: 6
; COMPUTE_PGM_RSRC2:TRAP_HANDLER: 0
; COMPUTE_PGM_RSRC2:TGID_X_EN: 1
; COMPUTE_PGM_RSRC2:TGID_Y_EN: 1
; COMPUTE_PGM_RSRC2:TGID_Z_EN: 1
; COMPUTE_PGM_RSRC2:TIDIG_COMP_CNT: 0
	.section	.text._ZL15flash_attn_tileILi72ELi72ELi16ELi1ELb0EEvPKcS1_S1_S1_S1_PKiPfP15HIP_vector_typeIfLj2EEffffjfiS5_IjLj3EEiiiiiiiiiiiliiliiiiil,"axG",@progbits,_ZL15flash_attn_tileILi72ELi72ELi16ELi1ELb0EEvPKcS1_S1_S1_S1_PKiPfP15HIP_vector_typeIfLj2EEffffjfiS5_IjLj3EEiiiiiiiiiiiliiliiiiil,comdat
	.globl	_ZL15flash_attn_tileILi72ELi72ELi16ELi1ELb0EEvPKcS1_S1_S1_S1_PKiPfP15HIP_vector_typeIfLj2EEffffjfiS5_IjLj3EEiiiiiiiiiiiliiliiiiil ; -- Begin function _ZL15flash_attn_tileILi72ELi72ELi16ELi1ELb0EEvPKcS1_S1_S1_S1_PKiPfP15HIP_vector_typeIfLj2EEffffjfiS5_IjLj3EEiiiiiiiiiiiliiliiiiil
	.p2align	8
	.type	_ZL15flash_attn_tileILi72ELi72ELi16ELi1ELb0EEvPKcS1_S1_S1_S1_PKiPfP15HIP_vector_typeIfLj2EEffffjfiS5_IjLj3EEiiiiiiiiiiiliiliiiiil,@function
_ZL15flash_attn_tileILi72ELi72ELi16ELi1ELb0EEvPKcS1_S1_S1_S1_PKiPfP15HIP_vector_typeIfLj2EEffffjfiS5_IjLj3EEiiiiiiiiiiiliiliiiiil: ; @_ZL15flash_attn_tileILi72ELi72ELi16ELi1ELb0EEvPKcS1_S1_S1_S1_PKiPfP15HIP_vector_typeIfLj2EEffffjfiS5_IjLj3EEiiiiiiiiiiiliiliiiiil
; %bb.0:
	s_add_u32 s6, s6, s11
	s_addc_u32 s7, s7, 0
	s_setreg_b32 hwreg(HW_REG_FLAT_SCR_LO), s6
	s_setreg_b32 hwreg(HW_REG_FLAT_SCR_HI), s7
	s_clause 0x1
	s_load_dwordx4 s[28:31], s[4:5], 0x5c
	s_load_dwordx2 s[42:43], s[4:5], 0x80
	s_add_u32 s0, s0, s11
	s_addc_u32 s1, s1, 0
	s_mov_b32 s34, s9
	s_mov_b64 s[40:41], 0
	s_waitcnt lgkmcnt(0)
	v_cvt_f32_u32_e32 v2, s31
	s_sub_i32 s7, 0, s31
	v_rcp_iflag_f32_e32 v2, v2
	v_mul_f32_e32 v2, 0x4f7ffffe, v2
	v_cvt_u32_f32_e32 v2, v2
	v_readfirstlane_b32 s6, v2
	s_mul_i32 s7, s7, s6
	s_mul_hi_u32 s7, s6, s7
	s_add_i32 s6, s6, s7
	s_mul_hi_u32 s6, s10, s6
	s_mul_i32 s7, s6, s31
	s_add_i32 s9, s6, 1
	s_sub_i32 s7, s10, s7
	s_sub_i32 s11, s7, s31
	s_cmp_ge_u32 s7, s31
	s_cselect_b32 s6, s9, s6
	s_cselect_b32 s7, s11, s7
	s_add_i32 s9, s6, 1
	s_cmp_ge_u32 s7, s31
	s_cselect_b32 s33, s9, s6
	s_abs_i32 s6, s43
	s_abs_i32 s11, s31
	v_cvt_f32_u32_e32 v2, s6
	s_sub_i32 s9, 0, s6
	v_rcp_iflag_f32_e32 v2, v2
	v_mul_f32_e32 v2, 0x4f7ffffe, v2
	v_cvt_u32_f32_e32 v2, v2
	v_readfirstlane_b32 s7, v2
	s_mul_i32 s9, s9, s7
	s_mul_hi_u32 s9, s7, s9
	s_add_i32 s7, s7, s9
	s_xor_b32 s9, s31, s43
	s_mul_hi_u32 s7, s11, s7
	s_ashr_i32 s9, s9, 31
	s_mul_i32 s12, s7, s6
	s_sub_i32 s11, s11, s12
	s_add_i32 s12, s7, 1
	s_sub_i32 s13, s11, s6
	s_cmp_ge_u32 s11, s6
	s_cselect_b32 s7, s12, s7
	s_cselect_b32 s11, s13, s11
	s_add_i32 s12, s7, 1
	s_cmp_ge_u32 s11, s6
	s_cselect_b32 s6, s12, s7
	s_clause 0x1
	s_load_dwordx16 s[12:27], s[4:5], 0x0
	s_load_dwordx2 s[44:45], s[4:5], 0xb8
	s_xor_b32 s6, s6, s9
	s_sub_i32 s46, s6, s9
	s_mul_i32 s6, s33, s31
	s_abs_i32 s43, s46
	v_cvt_f32_u32_e32 v2, s43
	s_sub_i32 s7, 0, s43
	v_rcp_iflag_f32_e32 v2, v2
	s_waitcnt lgkmcnt(0)
	s_cmp_eq_u64 s[18:19], 0
	v_mul_f32_e32 v2, 0x4f7ffffe, v2
	v_cvt_u32_f32_e32 v2, v2
	v_readfirstlane_b32 s11, v2
	s_mul_i32 s7, s7, s11
	s_cbranch_scc1 .LBB59_2
; %bb.1:
	s_abs_i32 s9, s44
	s_abs_i32 s38, s33
	v_cvt_f32_u32_e32 v2, s9
	s_sub_i32 s36, 0, s9
	v_rcp_iflag_f32_e32 v2, v2
	v_mul_f32_e32 v2, 0x4f7ffffe, v2
	v_cvt_u32_f32_e32 v2, v2
	v_readfirstlane_b32 s35, v2
	s_mul_i32 s36, s36, s35
	s_mul_hi_u32 s36, s35, s36
	s_add_i32 s35, s35, s36
	s_load_dwordx2 s[36:37], s[4:5], 0xc8
	s_mul_hi_u32 s35, s38, s35
	s_mul_i32 s35, s35, s9
	s_sub_i32 s35, s38, s35
	s_ashr_i32 s38, s33, 31
	s_sub_i32 s39, s35, s9
	s_cmp_ge_u32 s35, s9
	s_cselect_b32 s35, s39, s35
	s_sub_i32 s39, s35, s9
	s_cmp_ge_u32 s35, s9
	s_cselect_b32 s9, s39, s35
	s_xor_b32 s9, s9, s38
	s_sub_i32 s9, s9, s38
	s_ashr_i32 s35, s9, 31
	s_waitcnt lgkmcnt(0)
	s_mul_hi_u32 s38, s36, s9
	s_mul_i32 s35, s36, s35
	s_mul_i32 s37, s37, s9
	s_add_i32 s35, s38, s35
	s_mul_i32 s9, s36, s9
	s_add_i32 s35, s35, s37
	s_add_u32 s40, s18, s9
	s_addc_u32 s41, s19, s35
.LBB59_2:
	s_clause 0x1
	s_load_dwordx4 s[36:39], s[4:5], 0x40
	s_load_dword s9, s[4:5], 0x50
	v_mov_b32_e32 v24, 1.0
	s_sub_i32 s18, s10, s6
	s_mul_hi_u32 s10, s11, s7
	s_waitcnt lgkmcnt(0)
	v_cmp_le_f32_e64 s19, s37, 0
	s_and_b32 vcc_lo, exec_lo, s19
	s_cbranch_vccnz .LBB59_4
; %bb.3:
	v_sub_co_u32 v3, vcc_lo, s18, s9
	v_mov_b32_e32 v2, s38
	s_add_i32 s6, s18, 1
	v_lshlrev_b32_e32 v3, 1, v3
	v_cndmask_b32_e32 v2, s39, v2, vcc_lo
	v_or_b32_e32 v3, 1, v3
	v_cndmask_b32_e64 v3, v3, s6, vcc_lo
	v_cmp_neq_f32_e32 vcc_lo, 1.0, v2
	s_mov_b32 s6, 0x3e76c4e1
	v_cvt_f32_i32_e32 v3, v3
	v_cndmask_b32_e32 v4, 1.0, v3, vcc_lo
	v_cmp_neq_f32_e32 vcc_lo, 0, v4
	v_cndmask_b32_e32 v5, 1.0, v2, vcc_lo
	v_frexp_mant_f32_e64 v2, |v5|
	v_cmp_eq_f32_e64 s9, 0, v5
	v_cmp_gt_f32_e32 vcc_lo, 0x3f2aaaab, v2
	v_cndmask_b32_e64 v3, 1.0, 2.0, vcc_lo
	v_mul_f32_e32 v2, v2, v3
	v_add_f32_e32 v3, 1.0, v2
	v_add_f32_e32 v7, -1.0, v2
	v_rcp_f32_e32 v6, v3
	v_add_f32_e32 v9, -1.0, v3
	v_sub_f32_e32 v2, v2, v9
	v_mul_f32_e32 v8, v7, v6
	v_mul_f32_e32 v10, v3, v8
	v_fma_f32 v3, v8, v3, -v10
	v_fmac_f32_e32 v3, v8, v2
	v_add_f32_e32 v2, v10, v3
	v_sub_f32_e32 v9, v7, v2
	v_sub_f32_e32 v10, v2, v10
	;; [unrolled: 1-line block ×5, first 2 shown]
	v_add_f32_e32 v2, v3, v2
	v_add_f32_e32 v2, v9, v2
	v_mul_f32_e32 v2, v6, v2
	v_add_f32_e32 v6, v8, v2
	v_sub_f32_e32 v3, v6, v8
	v_mul_f32_e32 v7, v6, v6
	v_sub_f32_e32 v8, v2, v3
	v_fma_f32 v2, v6, v6, -v7
	v_add_f32_e32 v3, v8, v8
	v_fmac_f32_e32 v2, v6, v3
	v_add_f32_e32 v9, v7, v2
	v_fmaak_f32 v3, s6, v9, 0x3e91f4c4
	v_sub_f32_e32 v7, v9, v7
	v_mul_f32_e32 v14, v6, v9
	v_fmaak_f32 v3, v9, v3, 0x3ecccdef
	v_sub_f32_e32 v7, v2, v7
	v_fma_f32 v15, v9, v6, -v14
	v_mul_f32_e32 v10, v9, v3
	v_fmac_f32_e32 v15, v9, v8
	v_ldexp_f32 v8, v8, 1
	v_fma_f32 v11, v9, v3, -v10
	v_fmac_f32_e32 v15, v7, v6
	v_fmac_f32_e32 v11, v7, v3
	v_cvt_f64_f32_e64 v[2:3], |v5|
	v_add_f32_e32 v12, v10, v11
	v_sub_f32_e32 v10, v12, v10
	v_add_f32_e32 v13, 0x3f2aaaaa, v12
	v_sub_f32_e32 v10, v11, v10
	v_add_f32_e32 v11, 0xbf2aaaaa, v13
	v_add_f32_e32 v10, 0x31739010, v10
	v_sub_f32_e32 v11, v12, v11
	v_frexp_exp_i32_f64_e32 v2, v[2:3]
	v_add_f32_e32 v9, v10, v11
	v_add_f32_e32 v10, v14, v15
	;; [unrolled: 1-line block ×3, first 2 shown]
	v_sub_f32_e32 v12, v10, v14
	v_sub_f32_e32 v3, v13, v7
	v_mul_f32_e32 v11, v10, v7
	v_sub_f32_e32 v12, v15, v12
	v_add_f32_e32 v3, v9, v3
	v_fma_f32 v9, v10, v7, -v11
	v_subrev_co_ci_u32_e64 v2, null, 0, v2, vcc_lo
	v_fmac_f32_e32 v9, v10, v3
	v_ldexp_f32 v3, v6, 1
	v_cvt_f32_i32_e32 v2, v2
	v_fmac_f32_e32 v9, v12, v7
	v_add_f32_e32 v6, v11, v9
	v_add_f32_e32 v7, v3, v6
	v_sub_f32_e32 v10, v6, v11
	v_mul_f32_e32 v11, 0x3f317218, v2
	v_sub_f32_e32 v3, v7, v3
	v_sub_f32_e32 v9, v9, v10
	v_fma_f32 v10, 0x3f317218, v2, -v11
	v_sub_f32_e32 v3, v6, v3
	v_add_f32_e32 v6, v8, v9
	v_fmamk_f32 v2, v2, 0xb102e308, v10
	v_add_f32_e32 v3, v6, v3
	v_add_f32_e32 v6, v11, v2
	;; [unrolled: 1-line block ×3, first 2 shown]
	v_sub_f32_e32 v11, v6, v11
	v_add_f32_e32 v9, v6, v8
	v_sub_f32_e32 v7, v8, v7
	v_sub_f32_e32 v2, v2, v11
	;; [unrolled: 1-line block ×6, first 2 shown]
	v_add_f32_e32 v8, v2, v3
	v_sub_f32_e32 v6, v6, v12
	v_add_f32_e32 v6, v7, v6
	v_sub_f32_e32 v7, v8, v2
	;; [unrolled: 2-line block ×3, first 2 shown]
	v_sub_f32_e32 v3, v3, v7
	v_add_f32_e32 v10, v9, v6
	v_sub_f32_e32 v2, v2, v8
	v_sub_f32_e32 v7, v10, v9
	v_add_f32_e32 v2, v3, v2
	v_sub_f32_e32 v3, v6, v7
	v_add_f32_e32 v2, v2, v3
	v_add_f32_e32 v3, v10, v2
	v_sub_f32_e32 v6, v3, v10
	v_mul_f32_e32 v7, v4, v3
	v_sub_f32_e32 v2, v2, v6
	v_fma_f32 v3, v4, v3, -v7
	v_cmp_class_f32_e64 vcc_lo, v7, 0x204
	v_fmac_f32_e32 v3, v4, v2
	v_add_f32_e32 v2, v7, v3
	v_cndmask_b32_e32 v6, v2, v7, vcc_lo
	v_sub_f32_e32 v2, v2, v7
	v_cmp_eq_f32_e32 vcc_lo, 0x42b17218, v6
	v_sub_f32_e32 v2, v3, v2
	v_cndmask_b32_e64 v8, 0, 0x37000000, vcc_lo
	v_cmp_neq_f32_e64 vcc_lo, 0x7f800000, |v6|
	v_sub_f32_e32 v9, v6, v8
	v_cndmask_b32_e32 v2, 0, v2, vcc_lo
	v_trunc_f32_e32 v6, v4
	v_mul_f32_e32 v10, 0x3fb8aa3b, v9
	v_cmp_ngt_f32_e32 vcc_lo, 0xc2ce8ed0, v9
	v_add_f32_e32 v2, v8, v2
	v_fma_f32 v11, 0x3fb8aa3b, v9, -v10
	v_rndne_f32_e32 v12, v10
	v_fmamk_f32 v11, v9, 0x32a5705f, v11
	v_sub_f32_e32 v10, v10, v12
	v_cvt_i32_f32_e32 v7, v12
	v_add_f32_e32 v10, v10, v11
	v_exp_f32_e32 v10, v10
	v_ldexp_f32 v3, v10, v7
	v_mul_f32_e32 v7, 0.5, v4
	v_cndmask_b32_e32 v3, 0, v3, vcc_lo
	v_cmp_nlt_f32_e32 vcc_lo, 0x42b17218, v9
	v_trunc_f32_e32 v10, v7
	v_cndmask_b32_e32 v3, 0x7f800000, v3, vcc_lo
	v_cmp_eq_f32_e32 vcc_lo, v6, v4
	v_cmp_neq_f32_e64 s6, v10, v7
	v_fma_f32 v2, v3, v2, v3
	v_cmp_class_f32_e64 s7, v3, 0x204
	s_and_b32 s6, vcc_lo, s6
	v_cndmask_b32_e64 v6, 1.0, v5, s6
	v_cndmask_b32_e64 v2, v2, v3, s7
	v_cmp_gt_f32_e64 s7, 0, v4
	v_bfi_b32 v2, 0x7fffffff, v2, v6
	s_xor_b32 s7, s7, s9
	v_cndmask_b32_e64 v6, 0, v5, s6
	v_cndmask_b32_e64 v3, 0x7f800000, 0, s7
	v_cmp_class_f32_e64 s6, v5, 0x204
	v_cndmask_b32_e32 v4, 0x7fc00000, v2, vcc_lo
	v_cmp_gt_f32_e32 vcc_lo, 0, v5
	v_bfi_b32 v3, 0x7fffffff, v3, v6
	v_cndmask_b32_e32 v2, v2, v4, vcc_lo
	s_or_b32 vcc_lo, s9, s6
	v_cndmask_b32_e32 v2, v2, v3, vcc_lo
	v_cmp_o_f32_e32 vcc_lo, v5, v5
	v_cndmask_b32_e32 v24, 0x7fc00000, v2, vcc_lo
.LBB59_4:
	s_load_dwordx4 s[48:51], s[4:5], 0x70
	s_add_i32 s9, s11, s10
	s_abs_i32 s7, s18
	s_lshl_b32 s35, s8, 4
	v_lshlrev_b32_e32 v3, 4, v0
	v_lshlrev_b32_e32 v19, 3, v0
	;; [unrolled: 1-line block ×3, first 2 shown]
	v_cmp_gt_u32_e64 s6, 18, v0
	v_add_nc_u32_e32 v2, 0x14e0, v19
	v_add_nc_u32_e32 v16, s35, v15
	s_waitcnt lgkmcnt(0)
	s_mul_i32 s10, s33, s50
	s_mul_i32 s11, s18, s49
	s_ashr_i32 s19, s10, 31
	s_add_u32 s10, s12, s10
	s_addc_u32 s12, s13, s19
	s_ashr_i32 s13, s11, 31
	s_add_u32 s10, s10, s11
	s_addc_u32 s11, s12, s13
	v_add_co_u32 v3, s10, s10, v3
	v_add_co_ci_u32_e64 v4, null, s11, 0, s10
	s_ashr_i32 s49, s48, 31
	s_lshr_b64 s[10:11], s[48:49], 2
	s_and_saveexec_b32 s12, s6
	s_cbranch_execz .LBB59_6
; %bb.5:
	v_mul_hi_u32 v5, v16, s28
	v_mad_u32_u24 v9, 0x120, v1, v2
	v_add_nc_u32_e32 v5, v16, v5
	v_lshrrev_b32_e32 v5, s29, v5
	v_mul_lo_u32 v5, v5, s30
	v_sub_nc_u32_e32 v7, v16, v5
	v_mad_u64_u32 v[5:6], null, s10, v7, 0
	v_mad_u64_u32 v[6:7], null, s11, v7, v[6:7]
	v_lshlrev_b64 v[5:6], 2, v[5:6]
	v_add_co_u32 v5, vcc_lo, v3, v5
	v_add_co_ci_u32_e64 v6, null, v4, v6, vcc_lo
	global_load_dwordx4 v[5:8], v[5:6], off
	s_waitcnt vmcnt(0)
	v_fma_mixlo_f16 v6, s36, v6, 0
	v_fma_mixlo_f16 v5, s36, v5, 0
	;; [unrolled: 1-line block ×4, first 2 shown]
	v_lshlrev_b32_e32 v6, 16, v6
	v_and_b32_e32 v5, 0xffff, v5
	v_and_b32_e32 v7, 0xffff, v7
	v_lshlrev_b32_e32 v8, 16, v8
	v_or_b32_e32 v5, v6, v5
	v_or3_b32 v6, v8, v7, 0
	v_or3_b32 v5, 0, 0, v5
	ds_write_b64 v9, v[5:6]
.LBB59_6:
	s_or_b32 exec_lo, exec_lo, s12
	v_or_b32_e32 v13, 1, v15
	s_mul_hi_u32 s12, s7, s9
	v_add_nc_u32_e32 v14, s35, v13
	s_and_saveexec_b32 s9, s6
	s_cbranch_execz .LBB59_8
; %bb.7:
	v_mul_hi_u32 v5, v14, s28
	v_add_nc_u32_e32 v5, v14, v5
	v_lshrrev_b32_e32 v5, s29, v5
	v_mul_lo_u32 v5, v5, s30
	v_sub_nc_u32_e32 v7, v14, v5
	v_mad_u64_u32 v[5:6], null, s10, v7, 0
	v_mad_u64_u32 v[6:7], null, s11, v7, v[6:7]
	v_mad_u32_u24 v7, 0x90, v13, v2
	v_lshlrev_b64 v[5:6], 2, v[5:6]
	v_add_co_u32 v3, vcc_lo, v3, v5
	v_add_co_ci_u32_e64 v4, null, v4, v6, vcc_lo
	global_load_dwordx4 v[3:6], v[3:4], off
	s_waitcnt vmcnt(0)
	v_fma_mixlo_f16 v4, s36, v4, 0
	v_fma_mixlo_f16 v3, s36, v3, 0
	v_fma_mixlo_f16 v5, s36, v5, 0
	v_fma_mixlo_f16 v6, s36, v6, 0
	v_lshlrev_b32_e32 v4, 16, v4
	v_and_b32_e32 v3, 0xffff, v3
	v_and_b32_e32 v5, 0xffff, v5
	v_lshlrev_b32_e32 v6, 16, v6
	v_or_b32_e32 v4, v4, v3
	v_or3_b32 v3, v6, v5, 0
	v_or3_b32 v2, 0, 0, v4
	ds_write_b64 v7, v[2:3]
.LBB59_8:
	s_or_b32 exec_lo, exec_lo, s9
	s_ashr_i32 s19, s18, 31
	s_ashr_i32 s13, s46, 31
	s_cmp_eq_u64 s[22:23], 0
	s_waitcnt lgkmcnt(0)
	s_barrier
	buffer_gl0_inv
	s_cbranch_scc1 .LBB59_10
; %bb.9:
	s_load_dword s9, s[4:5], 0xd0
	s_waitcnt lgkmcnt(0)
	s_mul_i32 s9, s9, s33
	s_add_i32 s8, s9, s8
	s_mov_b32 s9, 0
	s_lshl_b64 s[8:9], s[8:9], 2
	s_add_u32 s8, s22, s8
	s_addc_u32 s9, s23, s9
	s_load_dword s42, s[8:9], 0x0
.LBB59_10:
	s_clause 0x1
	s_load_dwordx2 s[36:37], s[4:5], 0x8c
	s_load_dwordx4 s[8:11], s[4:5], 0x98
	s_ashr_i32 s44, s33, 31
	s_load_dwordx2 s[38:39], s[4:5], 0xa8
	s_ashr_i32 s23, s45, 1
	s_mul_i32 s45, s12, s43
	v_lshlrev_b32_e32 v2, 2, v0
	v_lshl_add_u32 v26, v1, 5, v0
	v_lshrrev_b32_e32 v29, 3, v0
	v_mul_u32_u24_e32 v28, 0xa0, v0
	v_lshl_add_u32 v21, v1, 7, 0x1de0
	v_and_b32_e32 v30, 28, v2
	v_mbcnt_lo_u32_b32 v17, -1, 0
	s_waitcnt lgkmcnt(0)
	s_ashr_i32 s36, s36, 2
	s_ashr_i32 s22, s10, 2
	s_mul_hi_u32 s10, s8, s33
	s_mul_i32 s46, s8, s44
	s_mul_i32 s9, s9, s33
	s_add_i32 s10, s10, s46
	s_mul_i32 s8, s8, s33
	s_add_i32 s10, s10, s9
	s_add_u32 s8, s14, s8
	s_addc_u32 s9, s15, s10
	s_sub_i32 s7, s7, s45
	s_xor_b32 s10, s19, s13
	s_add_i32 s13, s12, 1
	s_sub_i32 s14, s7, s43
	s_cmp_ge_u32 s7, s43
	s_mul_i32 s15, s38, s33
	s_cselect_b32 s12, s13, s12
	s_cselect_b32 s7, s14, s7
	s_add_i32 s13, s12, 1
	s_cmp_ge_u32 s7, s43
	s_cselect_b32 s7, s13, s12
	s_mul_hi_u32 s12, s38, s33
	s_xor_b32 s7, s7, s10
	s_mul_i32 s13, s38, s44
	s_sub_i32 s7, s7, s10
	s_mul_i32 s10, s39, s33
	s_mul_i32 s14, s7, s37
	;; [unrolled: 1-line block ×3, first 2 shown]
	s_ashr_i32 s38, s14, 31
	s_add_u32 s37, s8, s14
	s_addc_u32 s38, s9, s38
	s_add_i32 s8, s12, s13
	s_add_i32 s8, s8, s10
	s_add_u32 s9, s16, s15
	s_addc_u32 s8, s17, s8
	s_ashr_i32 s10, s7, 31
	s_add_u32 s14, s9, s7
	s_addc_u32 s15, s8, s10
	s_lshl_b32 s16, s34, 5
	s_sub_i32 s17, s42, 32
	s_cmp_ge_i32 s16, s17
	s_cbranch_scc1 .LBB59_22
; %bb.11:
	v_or_b32_e32 v5, 1, v16
	v_mul_hi_u32 v6, s28, v16
	v_lshl_add_u32 v4, v1, 2, v29
	v_mul_lo_u32 v3, s36, v26
	v_mul_lo_u32 v9, s22, v26
	v_mul_hi_u32 v7, s28, v5
	v_lshlrev_b32_e32 v8, 2, v30
	v_mul_lo_u32 v11, s22, v4
	s_movk_i32 s8, 0x80
	v_add_nc_u32_e32 v6, v16, v6
	s_movk_i32 s9, 0x120
	v_mad_u32_u24 v34, 0xa0, v4, v8
	v_mad_u32_u24 v35, 0x90, v4, v8
	v_add_nc_u32_e32 v7, v5, v7
	v_lshrrev_b32_e32 v6, s29, v6
	s_movk_i32 s10, 0x90
	v_cmp_gt_u32_e64 s7, 32, v26
	v_mov_b32_e32 v22, 0
	v_lshrrev_b32_e32 v10, s29, v7
	v_mul_lo_u32 v6, v6, s30
	v_mul_lo_u32 v7, s36, v4
	v_ashrrev_i32_e32 v4, 31, v3
	s_cmp_lg_u64 s[40:41], 0
	v_mul_lo_u32 v12, v10, s30
	v_ashrrev_i32_e32 v10, 31, v9
	v_mov_b32_e32 v43, 0xfeffffff
	v_mad_u32_u24 v31, 0xa0, v26, s8
	v_sub_nc_u32_e32 v18, v16, v6
	v_ashrrev_i32_e32 v8, 31, v7
	v_lshlrev_b64 v[9:10], 2, v[9:10]
	v_mad_u32_u24 v32, v1, s9, 0x14e0
	v_sub_nc_u32_e32 v20, v5, v12
	v_ashrrev_i32_e32 v12, 31, v11
	v_mul_lo_u32 v36, v18, s23
	v_lshlrev_b64 v[5:6], 2, v[3:4]
	v_lshlrev_b64 v[7:8], 2, v[7:8]
	v_mul_lo_u32 v37, v20, s23
	v_lshlrev_b64 v[11:12], 2, v[11:12]
	v_mad_u32_u24 v33, v26, s10, 0x80
	v_lshlrev_b32_e32 v38, 2, v30
	v_mbcnt_lo_u32_b32 v39, -1, 0
	v_mov_b32_e32 v40, 0x10001
	v_mov_b32_e32 v18, 0
	;; [unrolled: 1-line block ×7, first 2 shown]
	s_cselect_b32 s39, -1, 0
	s_add_u32 s12, s4, 0xd0
	s_addc_u32 s13, s5, 0
.LBB59_12:                              ; =>This Inner Loop Header: Depth=1
	s_mul_hi_i32 s9, s16, s36
	s_mul_i32 s8, s16, s36
	s_lshl_b64 s[8:9], s[8:9], 2
	s_add_u32 s8, s37, s8
	s_addc_u32 s9, s38, s9
	s_and_saveexec_b32 s10, s7
	s_cbranch_execz .LBB59_14
; %bb.13:                               ;   in Loop: Header=BB59_12 Depth=1
	v_add_co_u32 v3, vcc_lo, s8, v5
	v_add_co_ci_u32_e64 v4, null, s9, v6, vcc_lo
	global_load_dwordx4 v[45:48], v[3:4], off offset:128
	s_waitcnt vmcnt(0)
	ds_write_b128 v31, v[45:48]
.LBB59_14:                              ;   in Loop: Header=BB59_12 Depth=1
	s_or_b32 exec_lo, exec_lo, s10
	v_add_co_u32 v3, vcc_lo, s8, v7
	v_add_co_ci_u32_e64 v4, null, s9, v8, vcc_lo
	v_add_nc_u32_e32 v27, s16, v0
	v_add_co_u32 v3, vcc_lo, v3, v38
	v_add_co_ci_u32_e64 v4, null, 0, v4, vcc_lo
	v_mov_b32_e32 v25, 0
	s_andn2_b32 vcc_lo, exec_lo, s39
	global_load_dwordx4 v[45:48], v[3:4], off
	v_mov_b32_e32 v4, 0
	v_mov_b32_e32 v3, 0
	s_waitcnt vmcnt(0)
	ds_write_b128 v34, v[45:48]
	s_waitcnt lgkmcnt(0)
	s_barrier
	buffer_gl0_inv
	ds_read_b128 v[45:48], v28
	ds_read_b128 v[49:52], v32
	ds_read_b128 v[53:56], v32 offset:144
	s_waitcnt lgkmcnt(1)
	;;#ASMSTART
	v_dot2_f32_f16 v4, v45, v49, v4
	;;#ASMEND
	;;#ASMSTART
	v_dot2_f32_f16 v4, v46, v50, v4
	;;#ASMEND
	;;#ASMSTART
	v_dot2_f32_f16 v4, v47, v51, v4
	;;#ASMEND
	;;#ASMSTART
	v_dot2_f32_f16 v4, v48, v52, v4
	;;#ASMEND
	s_waitcnt lgkmcnt(0)
	;;#ASMSTART
	v_dot2_f32_f16 v3, v45, v53, v3
	;;#ASMEND
	;;#ASMSTART
	v_dot2_f32_f16 v3, v46, v54, v3
	;;#ASMEND
	;;#ASMSTART
	v_dot2_f32_f16 v3, v47, v55, v3
	;;#ASMEND
	;;#ASMSTART
	v_dot2_f32_f16 v3, v48, v56, v3
	;;#ASMEND
	ds_read_b128 v[45:48], v28 offset:16
	ds_read_b128 v[49:52], v32 offset:16
	ds_read_b128 v[53:56], v32 offset:160
	s_waitcnt lgkmcnt(1)
	;;#ASMSTART
	v_dot2_f32_f16 v4, v45, v49, v4
	;;#ASMEND
	;;#ASMSTART
	v_dot2_f32_f16 v4, v46, v50, v4
	;;#ASMEND
	;;#ASMSTART
	v_dot2_f32_f16 v4, v47, v51, v4
	;;#ASMEND
	;;#ASMSTART
	v_dot2_f32_f16 v4, v48, v52, v4
	;;#ASMEND
	s_waitcnt lgkmcnt(0)
	;;#ASMSTART
	v_dot2_f32_f16 v3, v45, v53, v3
	;;#ASMEND
	;;#ASMSTART
	v_dot2_f32_f16 v3, v46, v54, v3
	;;#ASMEND
	;;#ASMSTART
	v_dot2_f32_f16 v3, v47, v55, v3
	;;#ASMEND
	;;#ASMSTART
	v_dot2_f32_f16 v3, v48, v56, v3
	;;#ASMEND
	ds_read_b128 v[45:48], v28 offset:32
	ds_read_b128 v[49:52], v32 offset:32
	;; [unrolled: 29-line block ×8, first 2 shown]
	ds_read_b128 v[54:57], v32 offset:272
	s_waitcnt lgkmcnt(1)
	;;#ASMSTART
	v_dot2_f32_f16 v4, v46, v50, v4
	;;#ASMEND
	v_mov_b32_e32 v45, 0
	;;#ASMSTART
	v_dot2_f32_f16 v4, v47, v51, v4
	;;#ASMEND
	;;#ASMSTART
	v_dot2_f32_f16 v4, v48, v52, v4
	;;#ASMEND
	;; [unrolled: 3-line block ×3, first 2 shown]
	s_waitcnt lgkmcnt(0)
	;;#ASMSTART
	v_dot2_f32_f16 v3, v46, v54, v3
	;;#ASMEND
	;;#ASMSTART
	v_dot2_f32_f16 v3, v47, v55, v3
	;;#ASMEND
	;; [unrolled: 3-line block ×4, first 2 shown]
	s_cbranch_vccnz .LBB59_16
; %bb.15:                               ;   in Loop: Header=BB59_12 Depth=1
	v_add_nc_u32_e32 v45, v27, v36
	v_ashrrev_i32_e32 v46, 31, v45
	v_lshlrev_b64 v[45:46], 1, v[45:46]
	v_add_co_u32 v45, vcc_lo, s40, v45
	v_add_co_ci_u32_e64 v46, null, s41, v46, vcc_lo
	global_load_ushort v45, v[45:46], off
	s_waitcnt vmcnt(0)
	v_cvt_f32_f16_e32 v45, v45
	v_mul_f32_e32 v45, v24, v45
.LBB59_16:                              ;   in Loop: Header=BB59_12 Depth=1
	v_xor_b32_e32 v46, 16, v39
	v_add_f32_e32 v45, v4, v45
	v_max_f32_e32 v47, v43, v43
	v_xor_b32_e32 v48, 8, v39
	v_cmp_gt_i32_e32 vcc_lo, 32, v46
	v_cndmask_b32_e32 v4, v39, v46, vcc_lo
	v_add_f32_e32 v46, 0x40051340, v45
	v_cmp_gt_i32_e32 vcc_lo, 32, v48
	v_lshlrev_b32_e32 v4, 2, v4
	v_max_f32_e32 v47, v47, v46
	v_cndmask_b32_e32 v48, v39, v48, vcc_lo
	ds_bpermute_b32 v46, v4, v47
	s_waitcnt lgkmcnt(0)
	v_max_f32_e32 v49, v46, v46
	v_lshlrev_b32_e32 v46, 2, v48
	v_max_f32_e32 v48, v47, v49
	v_xor_b32_e32 v49, 4, v39
	ds_bpermute_b32 v47, v46, v48
	v_cmp_gt_i32_e32 vcc_lo, 32, v49
	v_cndmask_b32_e32 v49, v39, v49, vcc_lo
	s_waitcnt lgkmcnt(0)
	v_max_f32_e32 v50, v47, v47
	v_lshlrev_b32_e32 v47, 2, v49
	v_max_f32_e32 v49, v48, v50
	v_xor_b32_e32 v50, 2, v39
	ds_bpermute_b32 v48, v47, v49
	v_cmp_gt_i32_e32 vcc_lo, 32, v50
	v_cndmask_b32_e32 v50, v39, v50, vcc_lo
	;; [unrolled: 8-line block ×3, first 2 shown]
	s_andn2_b32 vcc_lo, exec_lo, s39
	s_waitcnt lgkmcnt(0)
	v_max_f32_e32 v52, v50, v50
	v_lshlrev_b32_e32 v50, 2, v51
	v_max_f32_e32 v49, v49, v52
	ds_bpermute_b32 v51, v50, v49
	s_cbranch_vccnz .LBB59_18
; %bb.17:                               ;   in Loop: Header=BB59_12 Depth=1
	v_add_nc_u32_e32 v52, v27, v37
	v_ashrrev_i32_e32 v53, 31, v52
	v_lshlrev_b64 v[52:53], 1, v[52:53]
	v_add_co_u32 v52, vcc_lo, s40, v52
	v_add_co_ci_u32_e64 v53, null, s41, v53, vcc_lo
	global_load_ushort v25, v[52:53], off
	s_waitcnt vmcnt(0)
	v_cvt_f32_f16_e32 v25, v25
	v_mul_f32_e32 v25, v24, v25
.LBB59_18:                              ;   in Loop: Header=BB59_12 Depth=1
	v_add_f32_e32 v25, v3, v25
	v_max_f32_e32 v3, v44, v44
	s_mul_hi_i32 s45, s16, s22
	s_mul_i32 s44, s16, s22
	s_waitcnt lgkmcnt(0)
	v_add_f32_e32 v27, 0x40051340, v25
	s_lshl_b64 s[44:45], s[44:45], 2
	s_barrier
	s_add_u32 s43, s14, s44
	s_addc_u32 s44, s15, s45
	v_max_f32_e32 v3, v3, v27
	v_max_f32_e32 v27, v51, v51
	buffer_gl0_inv
	ds_bpermute_b32 v4, v4, v3
	s_waitcnt lgkmcnt(0)
	v_max_f32_e32 v4, v4, v4
	v_max_f32_e32 v3, v3, v4
	ds_bpermute_b32 v4, v46, v3
	v_max_f32_e32 v46, v49, v49
	s_waitcnt lgkmcnt(0)
	v_max_f32_e32 v4, v4, v4
	v_max_f32_e32 v3, v3, v4
	ds_bpermute_b32 v4, v47, v3
	s_waitcnt lgkmcnt(0)
	v_max_f32_e32 v4, v4, v4
	v_max_f32_e32 v3, v3, v4
	ds_bpermute_b32 v4, v48, v3
	;; [unrolled: 4-line block ×3, first 2 shown]
	s_waitcnt lgkmcnt(0)
	v_max_f32_e32 v47, v3, v3
	v_max_f32_e32 v3, v46, v27
	v_max_f32_e32 v4, v4, v47
	v_sub_f32_e32 v27, v45, v3
	v_sub_f32_e32 v43, v43, v3
	;; [unrolled: 1-line block ×3, first 2 shown]
	v_mul_f32_e32 v45, 0x3fb8aa3b, v27
	v_cmp_ngt_f32_e32 vcc_lo, 0xc2ce8ed0, v27
	v_sub_f32_e32 v44, v44, v4
	v_cmp_ngt_f32_e64 s8, 0xc2ce8ed0, v43
	v_mul_f32_e32 v46, 0x3fb8aa3b, v25
	v_fma_f32 v47, 0x3fb8aa3b, v27, -v45
	v_rndne_f32_e32 v48, v45
	v_cmp_ngt_f32_e64 s9, 0xc2ce8ed0, v44
	v_cmp_nlt_f32_e64 s10, 0x42b17218, v44
	v_fma_f32 v49, 0x3fb8aa3b, v25, -v46
	v_rndne_f32_e32 v50, v46
	v_fmac_f32_e32 v47, 0x32a5705f, v27
	v_sub_f32_e32 v45, v45, v48
	v_fmac_f32_e32 v49, 0x32a5705f, v25
	v_sub_f32_e32 v46, v46, v50
	v_add_f32_e32 v45, v45, v47
	v_cvt_i32_f32_e32 v47, v48
	v_cvt_i32_f32_e32 v48, v50
	v_add_f32_e32 v46, v46, v49
	v_exp_f32_e32 v45, v45
	v_exp_f32_e32 v46, v46
	v_ldexp_f32 v45, v45, v47
	v_add_nc_u32_e32 v47, v21, v2
	v_ldexp_f32 v46, v46, v48
	v_cndmask_b32_e32 v45, 0, v45, vcc_lo
	v_cmp_ngt_f32_e32 vcc_lo, 0xc2ce8ed0, v25
	v_cndmask_b32_e32 v46, 0, v46, vcc_lo
	v_cmp_nlt_f32_e32 vcc_lo, 0x42b17218, v27
	v_cndmask_b32_e32 v27, 0x7f800000, v45, vcc_lo
	v_cmp_nlt_f32_e32 vcc_lo, 0x42b17218, v25
	v_cvt_f16_f32_e32 v45, v27
	v_cndmask_b32_e32 v25, 0x7f800000, v46, vcc_lo
	v_cmp_nlt_f32_e32 vcc_lo, 0x42b17218, v43
	v_cvt_f16_f32_e32 v46, v25
	v_pack_b32_f16 v45, v45, v46
	ds_write_b32 v47, v45
	s_and_saveexec_b32 s45, s7
	s_cbranch_execz .LBB59_20
; %bb.19:                               ;   in Loop: Header=BB59_12 Depth=1
	v_add_co_u32 v45, s11, s43, v9
	v_add_co_ci_u32_e64 v46, null, s44, v10, s11
	global_load_dwordx4 v[45:48], v[45:46], off offset:128
	s_waitcnt vmcnt(0)
	ds_write_b128 v33, v[45:48]
.LBB59_20:                              ;   in Loop: Header=BB59_12 Depth=1
	s_or_b32 exec_lo, exec_lo, s45
	v_add_co_u32 v45, s11, s43, v11
	v_add_co_ci_u32_e64 v46, null, s44, v12, s11
	v_mul_f32_e32 v49, 0x3fb8aa3b, v43
	v_add_co_u32 v45, s11, v45, v38
	v_add_co_ci_u32_e64 v46, null, 0, v46, s11
	v_mul_f32_e32 v50, 0x3fb8aa3b, v44
	v_fma_f32 v51, 0x3fb8aa3b, v43, -v49
	v_rndne_f32_e32 v52, v49
	global_load_dwordx4 v[45:48], v[45:46], off
	v_add_nc_u32_e32 v85, 0x400, v19
	v_fma_f32 v53, 0x3fb8aa3b, v44, -v50
	v_rndne_f32_e32 v54, v50
	v_fmac_f32_e32 v51, 0x32a5705f, v43
	v_sub_f32_e32 v43, v49, v52
	v_cvt_i32_f32_e32 v49, v52
	v_fmac_f32_e32 v53, 0x32a5705f, v44
	v_sub_f32_e32 v44, v50, v54
	v_cvt_i32_f32_e32 v50, v54
	v_add_f32_e32 v43, v43, v51
	v_add_nc_u32_e32 v113, 0x800, v19
	v_add_nc_u32_e32 v114, 0xc00, v19
	v_add_f32_e32 v44, v44, v53
	v_add_nc_u32_e32 v115, 0x1000, v19
	v_exp_f32_e32 v43, v43
	v_exp_f32_e32 v44, v44
	v_ldexp_f32 v43, v43, v49
	v_ldexp_f32 v44, v44, v50
	v_cndmask_b32_e64 v43, 0, v43, s8
	v_cndmask_b32_e64 v44, 0, v44, s9
	v_cndmask_b32_e32 v43, 0x7f800000, v43, vcc_lo
	v_cndmask_b32_e64 v44, 0x7f800000, v44, s10
	v_cvt_f16_f32_e32 v49, v43
	v_fmac_f32_e32 v27, v41, v43
	v_cvt_f16_f32_e32 v50, v44
	v_fmac_f32_e32 v25, v42, v44
	v_mul_u32_u24_sdwa v116, v49, v40 dst_sel:DWORD dst_unused:UNUSED_PAD src0_sel:WORD_0 src1_sel:DWORD
	v_mul_u32_u24_sdwa v117, v50, v40 dst_sel:DWORD dst_unused:UNUSED_PAD src0_sel:WORD_0 src1_sel:DWORD
	v_pk_mul_f16 v23, v23, v116
	v_pk_mul_f16 v22, v22, v117
	s_waitcnt vmcnt(0)
	ds_write_b128 v35, v[45:48]
	s_waitcnt lgkmcnt(0)
	s_barrier
	buffer_gl0_inv
	ds_read_b128 v[41:44], v21
	ds_read2_b64 v[45:48], v19 offset1:18
	ds_read_b128 v[49:52], v21 offset:16
	ds_read_b128 v[53:56], v21 offset:32
	ds_read_b128 v[57:60], v21 offset:48
	ds_read2_b64 v[61:64], v19 offset0:36 offset1:54
	ds_read2_b64 v[65:68], v19 offset0:72 offset1:90
	ds_read2_b64 v[69:72], v19 offset0:108 offset1:126
	ds_read2_b64 v[73:76], v19 offset0:144 offset1:162
	ds_read2_b64 v[77:80], v19 offset0:180 offset1:198
	ds_read2_b64 v[81:84], v19 offset0:216 offset1:234
	ds_read2_b64 v[85:88], v85 offset0:124 offset1:142
	ds_read2_b64 v[89:92], v113 offset0:32 offset1:50
	ds_read2_b64 v[93:96], v113 offset0:68 offset1:86
	ds_read2_b64 v[97:100], v113 offset0:104 offset1:122
	ds_read_b128 v[101:104], v21 offset:64
	ds_read_b128 v[105:108], v21 offset:80
	ds_read2_b64 v[109:112], v113 offset0:140 offset1:158
	s_waitcnt lgkmcnt(15)
	v_mul_u32_u24_sdwa v126, v49, v40 dst_sel:DWORD dst_unused:UNUSED_PAD src0_sel:WORD_0 src1_sel:DWORD
	v_mul_u32_u24_sdwa v127, v49, v40 dst_sel:DWORD dst_unused:UNUSED_PAD src0_sel:WORD_1 src1_sel:DWORD
	v_mul_u32_u24_sdwa v128, v50, v40 dst_sel:DWORD dst_unused:UNUSED_PAD src0_sel:WORD_0 src1_sel:DWORD
	v_mul_u32_u24_sdwa v129, v50, v40 dst_sel:DWORD dst_unused:UNUSED_PAD src0_sel:WORD_1 src1_sel:DWORD
	;; [unrolled: 2-line block ×4, first 2 shown]
	s_waitcnt lgkmcnt(14)
	v_mul_u32_u24_sdwa v134, v53, v40 dst_sel:DWORD dst_unused:UNUSED_PAD src0_sel:WORD_0 src1_sel:DWORD
	v_mul_u32_u24_sdwa v135, v53, v40 dst_sel:DWORD dst_unused:UNUSED_PAD src0_sel:WORD_1 src1_sel:DWORD
	v_mul_u32_u24_sdwa v136, v54, v40 dst_sel:DWORD dst_unused:UNUSED_PAD src0_sel:WORD_0 src1_sel:DWORD
	v_mul_u32_u24_sdwa v137, v54, v40 dst_sel:DWORD dst_unused:UNUSED_PAD src0_sel:WORD_1 src1_sel:DWORD
	;; [unrolled: 2-line block ×5, first 2 shown]
	v_mul_u32_u24_sdwa v122, v43, v40 dst_sel:DWORD dst_unused:UNUSED_PAD src0_sel:WORD_0 src1_sel:DWORD
	v_pk_mul_f16 v49, v45, v118
	v_pk_mul_f16 v45, v45, v119
	v_pk_fma_f16 v23, v46, v118, v23
	v_pk_fma_f16 v22, v46, v119, v22
	v_mul_u32_u24_sdwa v123, v43, v40 dst_sel:DWORD dst_unused:UNUSED_PAD src0_sel:WORD_1 src1_sel:DWORD
	v_pk_fma_f16 v20, v20, v116, v49
	v_pk_fma_f16 v18, v18, v117, v45
	;; [unrolled: 1-line block ×4, first 2 shown]
	v_mul_u32_u24_sdwa v124, v44, v40 dst_sel:DWORD dst_unused:UNUSED_PAD src0_sel:WORD_0 src1_sel:DWORD
	v_pk_fma_f16 v20, v47, v120, v20
	v_pk_fma_f16 v18, v47, v121, v18
	v_mul_u32_u24_sdwa v125, v44, v40 dst_sel:DWORD dst_unused:UNUSED_PAD src0_sel:WORD_1 src1_sel:DWORD
	s_waitcnt lgkmcnt(12)
	v_pk_fma_f16 v23, v62, v122, v23
	v_pk_fma_f16 v22, v62, v123, v22
	;; [unrolled: 1-line block ×4, first 2 shown]
	v_mul_u32_u24_sdwa v140, v56, v40 dst_sel:DWORD dst_unused:UNUSED_PAD src0_sel:WORD_0 src1_sel:DWORD
	v_pk_fma_f16 v23, v64, v124, v23
	v_pk_fma_f16 v22, v64, v125, v22
	;; [unrolled: 1-line block ×4, first 2 shown]
	v_mul_u32_u24_sdwa v141, v56, v40 dst_sel:DWORD dst_unused:UNUSED_PAD src0_sel:WORD_1 src1_sel:DWORD
	s_waitcnt lgkmcnt(11)
	v_pk_fma_f16 v23, v66, v126, v23
	v_pk_fma_f16 v22, v66, v127, v22
	;; [unrolled: 1-line block ×4, first 2 shown]
	ds_read2_b64 v[41:44], v113 offset0:176 offset1:194
	v_pk_fma_f16 v23, v68, v128, v23
	v_pk_fma_f16 v22, v68, v129, v22
	;; [unrolled: 1-line block ×4, first 2 shown]
	ds_read2_b64 v[49:52], v113 offset0:212 offset1:230
	s_waitcnt lgkmcnt(12)
	v_pk_fma_f16 v23, v70, v130, v23
	v_pk_fma_f16 v22, v70, v131, v22
	;; [unrolled: 1-line block ×4, first 2 shown]
	ds_read2_b64 v[53:56], v114 offset0:120 offset1:138
	v_pk_fma_f16 v23, v72, v132, v23
	v_pk_fma_f16 v22, v72, v133, v22
	v_pk_fma_f16 v20, v71, v132, v20
	v_pk_fma_f16 v18, v71, v133, v18
	v_mul_u32_u24_sdwa v113, v57, v40 dst_sel:DWORD dst_unused:UNUSED_PAD src0_sel:WORD_0 src1_sel:DWORD
	s_waitcnt lgkmcnt(12)
	v_pk_fma_f16 v23, v74, v134, v23
	v_pk_fma_f16 v22, v74, v135, v22
	v_pk_fma_f16 v20, v73, v134, v20
	v_pk_fma_f16 v18, v73, v135, v18
	v_mul_u32_u24_sdwa v114, v57, v40 dst_sel:DWORD dst_unused:UNUSED_PAD src0_sel:WORD_1 src1_sel:DWORD
	v_pk_fma_f16 v23, v76, v136, v23
	v_pk_fma_f16 v22, v76, v137, v22
	v_pk_fma_f16 v20, v75, v136, v20
	v_pk_fma_f16 v18, v75, v137, v18
	v_mul_u32_u24_sdwa v116, v58, v40 dst_sel:DWORD dst_unused:UNUSED_PAD src0_sel:WORD_0 src1_sel:DWORD
	s_waitcnt lgkmcnt(11)
	v_pk_fma_f16 v23, v78, v138, v23
	v_pk_fma_f16 v22, v78, v139, v22
	v_pk_fma_f16 v20, v77, v138, v20
	v_pk_fma_f16 v18, v77, v139, v18
	v_mul_u32_u24_sdwa v117, v58, v40 dst_sel:DWORD dst_unused:UNUSED_PAD src0_sel:WORD_1 src1_sel:DWORD
	;; [unrolled: 11-line block ×3, first 2 shown]
	v_pk_fma_f16 v23, v84, v116, v23
	v_pk_fma_f16 v22, v84, v117, v22
	;; [unrolled: 1-line block ×4, first 2 shown]
	v_mul_u32_u24_sdwa v120, v60, v40 dst_sel:DWORD dst_unused:UNUSED_PAD src0_sel:WORD_0 src1_sel:DWORD
	v_mul_u32_u24_sdwa v121, v60, v40 dst_sel:DWORD dst_unused:UNUSED_PAD src0_sel:WORD_1 src1_sel:DWORD
	s_waitcnt lgkmcnt(9)
	v_pk_fma_f16 v23, v86, v118, v23
	v_pk_fma_f16 v22, v86, v119, v22
	;; [unrolled: 1-line block ×4, first 2 shown]
	s_waitcnt lgkmcnt(5)
	v_mul_u32_u24_sdwa v65, v101, v40 dst_sel:DWORD dst_unused:UNUSED_PAD src0_sel:WORD_0 src1_sel:DWORD
	v_mul_u32_u24_sdwa v66, v101, v40 dst_sel:DWORD dst_unused:UNUSED_PAD src0_sel:WORD_1 src1_sel:DWORD
	v_pk_fma_f16 v23, v88, v120, v23
	v_pk_fma_f16 v22, v88, v121, v22
	v_pk_fma_f16 v20, v87, v120, v20
	v_pk_fma_f16 v18, v87, v121, v18
	v_mul_u32_u24_sdwa v67, v102, v40 dst_sel:DWORD dst_unused:UNUSED_PAD src0_sel:WORD_0 src1_sel:DWORD
	v_mul_u32_u24_sdwa v68, v102, v40 dst_sel:DWORD dst_unused:UNUSED_PAD src0_sel:WORD_1 src1_sel:DWORD
	v_pk_fma_f16 v23, v90, v65, v23
	v_pk_fma_f16 v22, v90, v66, v22
	v_pk_fma_f16 v20, v89, v65, v20
	v_pk_fma_f16 v18, v89, v66, v18
	;; [unrolled: 6-line block ×4, first 2 shown]
	s_waitcnt lgkmcnt(4)
	v_mul_u32_u24_sdwa v69, v105, v40 dst_sel:DWORD dst_unused:UNUSED_PAD src0_sel:WORD_0 src1_sel:DWORD
	v_mul_u32_u24_sdwa v70, v105, v40 dst_sel:DWORD dst_unused:UNUSED_PAD src0_sel:WORD_1 src1_sel:DWORD
	v_pk_fma_f16 v23, v96, v103, v23
	v_pk_fma_f16 v22, v96, v104, v22
	;; [unrolled: 1-line block ×4, first 2 shown]
	ds_read_b128 v[45:48], v21 offset:96
	ds_read_b128 v[57:60], v21 offset:112
	v_mul_u32_u24_sdwa v71, v106, v40 dst_sel:DWORD dst_unused:UNUSED_PAD src0_sel:WORD_0 src1_sel:DWORD
	v_mul_u32_u24_sdwa v72, v106, v40 dst_sel:DWORD dst_unused:UNUSED_PAD src0_sel:WORD_1 src1_sel:DWORD
	v_pk_fma_f16 v23, v98, v69, v23
	v_pk_fma_f16 v22, v98, v70, v22
	v_pk_fma_f16 v20, v97, v69, v20
	v_pk_fma_f16 v18, v97, v70, v18
	v_mul_u32_u24_sdwa v73, v107, v40 dst_sel:DWORD dst_unused:UNUSED_PAD src0_sel:WORD_0 src1_sel:DWORD
	v_mul_u32_u24_sdwa v74, v107, v40 dst_sel:DWORD dst_unused:UNUSED_PAD src0_sel:WORD_1 src1_sel:DWORD
	v_pk_fma_f16 v23, v100, v71, v23
	v_pk_fma_f16 v22, v100, v72, v22
	;; [unrolled: 1-line block ×4, first 2 shown]
	v_mul_u32_u24_sdwa v75, v108, v40 dst_sel:DWORD dst_unused:UNUSED_PAD src0_sel:WORD_0 src1_sel:DWORD
	v_mul_u32_u24_sdwa v76, v108, v40 dst_sel:DWORD dst_unused:UNUSED_PAD src0_sel:WORD_1 src1_sel:DWORD
	s_waitcnt lgkmcnt(5)
	v_pk_fma_f16 v23, v110, v73, v23
	v_pk_fma_f16 v22, v110, v74, v22
	;; [unrolled: 1-line block ×4, first 2 shown]
	s_waitcnt lgkmcnt(1)
	v_mul_u32_u24_sdwa v77, v45, v40 dst_sel:DWORD dst_unused:UNUSED_PAD src0_sel:WORD_0 src1_sel:DWORD
	v_mul_u32_u24_sdwa v45, v45, v40 dst_sel:DWORD dst_unused:UNUSED_PAD src0_sel:WORD_1 src1_sel:DWORD
	v_pk_fma_f16 v23, v112, v75, v23
	v_pk_fma_f16 v22, v112, v76, v22
	v_pk_fma_f16 v20, v111, v75, v20
	v_pk_fma_f16 v18, v111, v76, v18
	v_mul_u32_u24_sdwa v65, v46, v40 dst_sel:DWORD dst_unused:UNUSED_PAD src0_sel:WORD_0 src1_sel:DWORD
	v_mul_u32_u24_sdwa v46, v46, v40 dst_sel:DWORD dst_unused:UNUSED_PAD src0_sel:WORD_1 src1_sel:DWORD
	v_pk_fma_f16 v23, v42, v77, v23
	v_pk_fma_f16 v22, v42, v45, v22
	v_pk_fma_f16 v20, v41, v77, v20
	v_pk_fma_f16 v18, v41, v45, v18
	v_mul_u32_u24_sdwa v66, v47, v40 dst_sel:DWORD dst_unused:UNUSED_PAD src0_sel:WORD_0 src1_sel:DWORD
	v_mul_u32_u24_sdwa v47, v47, v40 dst_sel:DWORD dst_unused:UNUSED_PAD src0_sel:WORD_1 src1_sel:DWORD
	v_pk_fma_f16 v23, v44, v65, v23
	v_pk_fma_f16 v22, v44, v46, v22
	v_pk_fma_f16 v20, v43, v65, v20
	v_pk_fma_f16 v18, v43, v46, v18
	ds_read2_b64 v[61:64], v115 offset0:28 offset1:46
	v_mul_u32_u24_sdwa v67, v48, v40 dst_sel:DWORD dst_unused:UNUSED_PAD src0_sel:WORD_0 src1_sel:DWORD
	v_mul_u32_u24_sdwa v48, v48, v40 dst_sel:DWORD dst_unused:UNUSED_PAD src0_sel:WORD_1 src1_sel:DWORD
	v_pk_fma_f16 v23, v50, v66, v23
	v_pk_fma_f16 v22, v50, v47, v22
	;; [unrolled: 1-line block ×4, first 2 shown]
	s_waitcnt lgkmcnt(0)
	s_barrier
	buffer_gl0_inv
	s_load_dword s8, s[12:13], 0x4
	v_mul_u32_u24_sdwa v68, v57, v40 dst_sel:DWORD dst_unused:UNUSED_PAD src0_sel:WORD_0 src1_sel:DWORD
	v_mul_u32_u24_sdwa v57, v57, v40 dst_sel:DWORD dst_unused:UNUSED_PAD src0_sel:WORD_1 src1_sel:DWORD
	v_pk_fma_f16 v23, v52, v67, v23
	v_pk_fma_f16 v22, v52, v48, v22
	v_pk_fma_f16 v20, v51, v67, v20
	v_pk_fma_f16 v18, v51, v48, v18
	v_mul_u32_u24_sdwa v41, v58, v40 dst_sel:DWORD dst_unused:UNUSED_PAD src0_sel:WORD_0 src1_sel:DWORD
	v_mul_u32_u24_sdwa v42, v58, v40 dst_sel:DWORD dst_unused:UNUSED_PAD src0_sel:WORD_1 src1_sel:DWORD
	v_pk_fma_f16 v23, v54, v68, v23
	v_pk_fma_f16 v22, v54, v57, v22
	v_pk_fma_f16 v20, v53, v68, v20
	v_pk_fma_f16 v18, v53, v57, v18
	;; [unrolled: 6-line block ×4, first 2 shown]
	s_waitcnt lgkmcnt(0)
	s_lshl_b32 s8, s8, 5
	v_pk_fma_f16 v23, v64, v45, v23
	v_pk_fma_f16 v22, v64, v41, v22
	;; [unrolled: 1-line block ×4, first 2 shown]
	s_add_i32 s16, s8, s16
	s_cmp_lt_i32 s16, s17
	s_cbranch_scc0 .LBB59_23
; %bb.21:                               ;   in Loop: Header=BB59_12 Depth=1
	v_mov_b32_e32 v43, v3
	v_mov_b32_e32 v44, v4
	;; [unrolled: 1-line block ×4, first 2 shown]
	s_branch .LBB59_12
.LBB59_22:
	v_mov_b32_e32 v3, 0xfeffffff
	v_mov_b32_e32 v20, 0
	;; [unrolled: 1-line block ×8, first 2 shown]
.LBB59_23:
	s_cmp_gt_i32 s42, s16
	s_cbranch_scc1 .LBB59_26
; %bb.24:
	v_mbcnt_lo_u32_b32 v5, -1, 0
	v_mov_b32_e32 v11, 32
	v_xor_b32_e32 v8, 16, v5
	v_xor_b32_e32 v7, 8, v5
	;; [unrolled: 1-line block ×5, first 2 shown]
	s_cbranch_execz .LBB59_27
; %bb.25:
	v_mov_b32_e32 v17, v5
	s_branch .LBB59_41
.LBB59_26:
                                        ; implicit-def: $vgpr5
                                        ; implicit-def: $vgpr11
                                        ; implicit-def: $vgpr8
                                        ; implicit-def: $vgpr7
                                        ; implicit-def: $vgpr9
                                        ; implicit-def: $vgpr10
                                        ; implicit-def: $vgpr12
.LBB59_27:
	s_mul_hi_i32 s9, s16, s36
	s_mul_i32 s8, s16, s36
	s_sub_i32 s11, s42, s16
	s_lshl_b64 s[12:13], s[8:9], 2
	v_cmp_gt_u32_e64 s9, 32, v26
	v_cmp_gt_i32_e64 s8, s11, v26
	s_add_u32 s7, s37, s12
	s_addc_u32 s10, s38, s13
	s_and_saveexec_b32 s12, s9
	s_cbranch_execz .LBB59_29
; %bb.28:
	v_mul_lo_u32 v5, s36, v26
	s_mov_b64 s[38:39], src_private_base
	v_mov_b32_e32 v7, 0
	v_mul_u32_u24_e32 v9, 0xa0, v26
	buffer_store_dword v7, off, s[0:3], 0
	buffer_store_dword v7, off, s[0:3], 0 offset:4
	buffer_store_dword v7, off, s[0:3], 0 offset:8
	buffer_store_dword v7, off, s[0:3], 0 offset:12
	v_ashrrev_i32_e32 v6, 31, v5
	v_lshlrev_b64 v[5:6], 2, v[5:6]
	v_add_co_u32 v5, vcc_lo, s7, v5
	v_add_co_ci_u32_e64 v6, null, s10, v6, vcc_lo
	v_add_co_u32 v5, vcc_lo, 0x80, v5
	v_add_co_ci_u32_e64 v6, null, 0, v6, vcc_lo
	v_cndmask_b32_e64 v5, 0, v5, s8
	v_cndmask_b32_e64 v6, s39, v6, s8
	flat_load_dwordx4 v[5:8], v[5:6]
	s_waitcnt vmcnt(0) lgkmcnt(0)
	ds_write_b128 v9, v[5:8] offset:128
.LBB59_29:
	s_or_b32 exec_lo, exec_lo, s12
	v_lshl_add_u32 v29, v1, 2, v29
	v_lshlrev_b32_e32 v30, 2, v30
	s_mov_b64 s[12:13], src_private_base
	v_mul_u32_u24_e32 v1, 0x120, v1
	v_mov_b32_e32 v32, 0
	v_mul_lo_u32 v5, s36, v29
	v_mad_u32_u24 v10, 0xa0, v29, v30
	v_mov_b32_e32 v31, 0
	s_cmp_lg_u64 s[40:41], 0
	v_ashrrev_i32_e32 v6, 31, v5
	v_lshlrev_b64 v[5:6], 2, v[5:6]
	v_add_co_u32 v5, vcc_lo, s7, v5
	v_add_co_ci_u32_e64 v6, null, s10, v6, vcc_lo
	v_cmp_gt_i32_e64 s7, s11, v29
	v_add_co_u32 v8, vcc_lo, v5, v30
	v_add_co_ci_u32_e64 v6, null, 0, v6, vcc_lo
	v_mov_b32_e32 v5, 0
	buffer_store_dword v5, off, s[0:3], 0
	buffer_store_dword v5, off, s[0:3], 0 offset:4
	buffer_store_dword v5, off, s[0:3], 0 offset:8
	;; [unrolled: 1-line block ×3, first 2 shown]
	v_cndmask_b32_e64 v7, s13, v6, s7
	v_cndmask_b32_e64 v6, 0, v8, s7
	s_cselect_b32 s13, -1, 0
	v_cmp_gt_i32_e64 s10, s11, v0
	flat_load_dwordx4 v[6:9], v[6:7]
	s_waitcnt vmcnt(0) lgkmcnt(0)
	ds_write_b128 v10, v[6:9]
	s_waitcnt lgkmcnt(0)
	s_waitcnt_vscnt null, 0x0
	s_barrier
	buffer_gl0_inv
	ds_read_b128 v[6:9], v28
	ds_read_b128 v[33:36], v1 offset:5344
	ds_read_b128 v[37:40], v1 offset:5488
	s_waitcnt lgkmcnt(1)
	;;#ASMSTART
	v_dot2_f32_f16 v32, v6, v33, v32
	;;#ASMEND
	;;#ASMSTART
	v_dot2_f32_f16 v32, v7, v34, v32
	;;#ASMEND
	;;#ASMSTART
	v_dot2_f32_f16 v32, v8, v35, v32
	;;#ASMEND
	;;#ASMSTART
	v_dot2_f32_f16 v32, v9, v36, v32
	;;#ASMEND
	s_waitcnt lgkmcnt(0)
	;;#ASMSTART
	v_dot2_f32_f16 v31, v6, v37, v31
	;;#ASMEND
	;;#ASMSTART
	v_dot2_f32_f16 v31, v7, v38, v31
	;;#ASMEND
	;;#ASMSTART
	v_dot2_f32_f16 v31, v8, v39, v31
	;;#ASMEND
	;;#ASMSTART
	v_dot2_f32_f16 v31, v9, v40, v31
	;;#ASMEND
	ds_read_b128 v[6:9], v28 offset:16
	ds_read_b128 v[33:36], v1 offset:5360
	ds_read_b128 v[37:40], v1 offset:5504
	s_waitcnt lgkmcnt(1)
	;;#ASMSTART
	v_dot2_f32_f16 v32, v6, v33, v32
	;;#ASMEND
	;;#ASMSTART
	v_dot2_f32_f16 v32, v7, v34, v32
	;;#ASMEND
	;;#ASMSTART
	v_dot2_f32_f16 v32, v8, v35, v32
	;;#ASMEND
	;;#ASMSTART
	v_dot2_f32_f16 v32, v9, v36, v32
	;;#ASMEND
	s_waitcnt lgkmcnt(0)
	;;#ASMSTART
	v_dot2_f32_f16 v31, v6, v37, v31
	;;#ASMEND
	;;#ASMSTART
	v_dot2_f32_f16 v31, v7, v38, v31
	;;#ASMEND
	;;#ASMSTART
	v_dot2_f32_f16 v31, v8, v39, v31
	;;#ASMEND
	;;#ASMSTART
	v_dot2_f32_f16 v31, v9, v40, v31
	;;#ASMEND
	ds_read_b128 v[6:9], v28 offset:32
	;; [unrolled: 29-line block ×8, first 2 shown]
	ds_read_b128 v[37:40], v1 offset:5472
	ds_read_b128 v[41:44], v1 offset:5616
	s_waitcnt lgkmcnt(1)
	;;#ASMSTART
	v_dot2_f32_f16 v32, v33, v37, v32
	;;#ASMEND
	v_add_nc_u32_e32 v1, s16, v0
	v_mov_b32_e32 v9, v3
	v_cndmask_b32_e64 v6, 0, 1, s13
	;;#ASMSTART
	v_dot2_f32_f16 v32, v34, v38, v32
	;;#ASMEND
	;;#ASMSTART
	v_dot2_f32_f16 v32, v35, v39, v32
	;;#ASMEND
	;; [unrolled: 3-line block ×3, first 2 shown]
	s_waitcnt lgkmcnt(0)
	;;#ASMSTART
	v_dot2_f32_f16 v31, v33, v41, v31
	;;#ASMEND
	;;#ASMSTART
	v_dot2_f32_f16 v31, v34, v42, v31
	;;#ASMEND
	;; [unrolled: 3-line block ×4, first 2 shown]
	s_and_saveexec_b32 s12, s10
	s_cbranch_execz .LBB59_33
; %bb.30:
	s_andn2_b32 vcc_lo, exec_lo, s13
	s_cbranch_vccnz .LBB59_32
; %bb.31:
	v_mul_hi_u32 v5, s28, v16
	v_add_nc_u32_e32 v5, v16, v5
	v_lshrrev_b32_e32 v5, s29, v5
	v_mul_lo_u32 v5, v5, s30
	v_sub_nc_u32_e32 v5, v16, v5
	v_mad_u64_u32 v[7:8], null, v5, s23, v[1:2]
	v_ashrrev_i32_e32 v8, 31, v7
	v_lshlrev_b64 v[7:8], 1, v[7:8]
	v_add_co_u32 v7, vcc_lo, s40, v7
	v_add_co_ci_u32_e64 v8, null, s41, v8, vcc_lo
	global_load_ushort v5, v[7:8], off
	s_waitcnt vmcnt(0)
	v_cvt_f32_f16_e32 v5, v5
	v_mul_f32_e32 v5, v24, v5
.LBB59_32:
	v_add_f32_e32 v32, v32, v5
	v_max_f32_e32 v7, v3, v3
	v_add_f32_e32 v5, 0x40051340, v32
	v_max_f32_e32 v9, v7, v5
.LBB59_33:
	s_or_b32 exec_lo, exec_lo, s12
	v_xor_b32_e32 v8, 16, v17
	v_xor_b32_e32 v7, 8, v17
	v_cmp_gt_i32_e32 vcc_lo, 32, v8
	v_cndmask_b32_e32 v5, v17, v8, vcc_lo
	v_cmp_gt_i32_e32 vcc_lo, 32, v7
	v_lshlrev_b32_e32 v28, 2, v5
	v_cndmask_b32_e32 v10, v17, v7, vcc_lo
	ds_bpermute_b32 v5, v28, v9
	v_max_f32_e32 v9, v9, v9
	v_lshlrev_b32_e32 v33, 2, v10
	s_waitcnt lgkmcnt(0)
	v_max_f32_e32 v5, v5, v5
	v_max_f32_e32 v5, v9, v5
	v_xor_b32_e32 v9, 4, v17
	ds_bpermute_b32 v10, v33, v5
	v_cmp_gt_i32_e32 vcc_lo, 32, v9
	v_cndmask_b32_e32 v11, v17, v9, vcc_lo
	v_lshlrev_b32_e32 v34, 2, v11
	s_waitcnt lgkmcnt(0)
	v_max_f32_e32 v10, v10, v10
	v_max_f32_e32 v5, v5, v10
	v_xor_b32_e32 v10, 2, v17
	ds_bpermute_b32 v11, v34, v5
	v_cmp_gt_i32_e32 vcc_lo, 32, v10
	v_cndmask_b32_e32 v12, v17, v10, vcc_lo
	v_lshlrev_b32_e32 v35, 2, v12
	v_xor_b32_e32 v12, 1, v17
	v_cmp_gt_i32_e32 vcc_lo, 32, v12
	s_waitcnt lgkmcnt(0)
	v_max_f32_e32 v11, v11, v11
	v_cndmask_b32_e32 v36, v17, v12, vcc_lo
	v_max_f32_e32 v5, v5, v11
	v_lshlrev_b32_e32 v36, 2, v36
	ds_bpermute_b32 v11, v35, v5
	s_waitcnt lgkmcnt(0)
	v_max_f32_e32 v11, v11, v11
	v_max_f32_e32 v5, v5, v11
	ds_bpermute_b32 v11, v36, v5
	s_waitcnt lgkmcnt(0)
	v_max_f32_e32 v37, v11, v11
	v_mov_b32_e32 v11, 32
	v_max_f32_e32 v5, v5, v37
	v_mov_b32_e32 v37, v4
	s_and_saveexec_b32 s12, s10
	s_cbranch_execz .LBB59_38
; %bb.34:
	v_cmp_ne_u32_e32 vcc_lo, 1, v6
	s_cbranch_vccnz .LBB59_36
; %bb.35:
	v_or_b32_e32 v6, 1, v16
	v_mul_hi_u32 v37, s28, v6
	v_add_nc_u32_e32 v37, v6, v37
	v_lshrrev_b32_e32 v37, s29, v37
	v_mul_lo_u32 v37, v37, s30
	v_sub_nc_u32_e32 v6, v6, v37
	v_mad_u64_u32 v[37:38], null, v6, s23, v[1:2]
	v_ashrrev_i32_e32 v38, 31, v37
	v_lshlrev_b64 v[37:38], 1, v[37:38]
	v_add_co_u32 v37, vcc_lo, s40, v37
	v_add_co_ci_u32_e64 v38, null, s41, v38, vcc_lo
	global_load_ushort v1, v[37:38], off
	s_waitcnt vmcnt(0)
	v_cvt_f32_f16_e32 v1, v1
	v_mul_f32_e32 v1, v24, v1
	s_branch .LBB59_37
.LBB59_36:
	v_mov_b32_e32 v1, 0
.LBB59_37:
	v_add_f32_e32 v31, v31, v1
	v_max_f32_e32 v6, v4, v4
	v_add_f32_e32 v1, 0x40051340, v31
	v_max_f32_e32 v37, v6, v1
.LBB59_38:
	s_or_b32 exec_lo, exec_lo, s12
	ds_bpermute_b32 v1, v28, v37
	v_max_f32_e32 v6, v37, v37
	s_mul_i32 s10, s16, s22
	s_waitcnt lgkmcnt(0)
	s_barrier
	buffer_gl0_inv
	v_max_f32_e32 v1, v1, v1
	v_max_f32_e32 v1, v6, v1
	ds_bpermute_b32 v6, v33, v1
	s_waitcnt lgkmcnt(0)
	v_max_f32_e32 v6, v6, v6
	v_max_f32_e32 v1, v1, v6
	ds_bpermute_b32 v6, v34, v1
	s_waitcnt lgkmcnt(0)
	;; [unrolled: 4-line block ×4, first 2 shown]
	v_max_f32_e32 v6, v6, v6
	v_max_f32_e32 v6, v1, v6
	v_sub_f32_e32 v1, v32, v5
	v_sub_f32_e32 v24, v31, v6
	v_mul_f32_e32 v28, 0x3fb8aa3b, v1
	v_cmp_ngt_f32_e32 vcc_lo, 0xc2ce8ed0, v1
	v_mul_f32_e32 v31, 0x3fb8aa3b, v24
	v_fma_f32 v32, 0x3fb8aa3b, v1, -v28
	v_rndne_f32_e32 v33, v28
	v_fma_f32 v34, 0x3fb8aa3b, v24, -v31
	v_rndne_f32_e32 v35, v31
	v_fmac_f32_e32 v32, 0x32a5705f, v1
	v_sub_f32_e32 v28, v28, v33
	v_fmac_f32_e32 v34, 0x32a5705f, v24
	v_sub_f32_e32 v31, v31, v35
	v_add_f32_e32 v28, v28, v32
	v_cvt_i32_f32_e32 v32, v33
	v_cvt_i32_f32_e32 v33, v35
	v_add_f32_e32 v31, v31, v34
	v_exp_f32_e32 v28, v28
	v_exp_f32_e32 v31, v31
	v_ldexp_f32 v28, v28, v32
	v_add_nc_u32_e32 v32, v21, v2
	v_ldexp_f32 v31, v31, v33
	v_cndmask_b32_e32 v28, 0, v28, vcc_lo
	v_cmp_ngt_f32_e32 vcc_lo, 0xc2ce8ed0, v24
	v_cndmask_b32_e32 v31, 0, v31, vcc_lo
	v_cmp_nlt_f32_e32 vcc_lo, 0x42b17218, v1
	v_cndmask_b32_e32 v1, 0x7f800000, v28, vcc_lo
	v_cmp_nlt_f32_e32 vcc_lo, 0x42b17218, v24
	v_cndmask_b32_e32 v24, 0x7f800000, v31, vcc_lo
	v_cmp_gt_u32_e32 vcc_lo, s11, v0
	s_mul_hi_i32 s11, s16, s22
	s_lshl_b64 s[10:11], s[10:11], 2
	v_cndmask_b32_e32 v1, 0, v1, vcc_lo
	v_cndmask_b32_e32 v24, 0, v24, vcc_lo
	s_add_u32 s10, s14, s10
	s_addc_u32 s11, s15, s11
	v_cvt_f16_f32_e32 v28, v1
	v_cvt_f16_f32_e32 v31, v24
	v_pack_b32_f16 v28, v28, v31
	ds_write_b32 v32, v28
	s_and_saveexec_b32 s12, s9
	s_cbranch_execz .LBB59_40
; %bb.39:
	v_mul_lo_u32 v31, s22, v26
	s_mov_b64 s[14:15], src_private_base
	v_mov_b32_e32 v33, 0
	v_mul_u32_u24_e32 v26, 0x90, v26
	buffer_store_dword v33, off, s[0:3], 0
	buffer_store_dword v33, off, s[0:3], 0 offset:4
	buffer_store_dword v33, off, s[0:3], 0 offset:8
	;; [unrolled: 1-line block ×3, first 2 shown]
	v_ashrrev_i32_e32 v32, 31, v31
	v_lshlrev_b64 v[31:32], 2, v[31:32]
	v_add_co_u32 v28, vcc_lo, s10, v31
	v_add_co_ci_u32_e64 v31, null, s11, v32, vcc_lo
	v_add_co_u32 v28, vcc_lo, 0x80, v28
	v_add_co_ci_u32_e64 v31, null, 0, v31, vcc_lo
	v_cndmask_b32_e64 v32, s15, v31, s8
	v_cndmask_b32_e64 v31, 0, v28, s8
	flat_load_dwordx4 v[31:34], v[31:32]
	s_waitcnt vmcnt(0) lgkmcnt(0)
	ds_write_b128 v26, v[31:34] offset:128
.LBB59_40:
	s_or_b32 exec_lo, exec_lo, s12
	v_mul_lo_u32 v31, s22, v29
	s_mov_b64 s[8:9], src_private_base
	v_mov_b32_e32 v33, 0
	v_sub_f32_e32 v3, v3, v5
	v_sub_f32_e32 v4, v4, v6
	buffer_store_dword v33, off, s[0:3], 0
	buffer_store_dword v33, off, s[0:3], 0 offset:4
	buffer_store_dword v33, off, s[0:3], 0 offset:8
	;; [unrolled: 1-line block ×3, first 2 shown]
	v_ashrrev_i32_e32 v32, 31, v31
	v_add_nc_u32_e32 v70, 0x400, v19
	v_add_nc_u32_e32 v102, 0x800, v19
	v_add_nc_u32_e32 v106, 0xc00, v19
	v_add_nc_u32_e32 v114, 0x1000, v19
	v_lshlrev_b64 v[31:32], 2, v[31:32]
	v_add_co_u32 v26, vcc_lo, s10, v31
	v_add_co_ci_u32_e64 v28, null, s11, v32, vcc_lo
	v_add_co_u32 v26, vcc_lo, v26, v30
	v_add_co_ci_u32_e64 v28, null, 0, v28, vcc_lo
	v_cmp_ngt_f32_e32 vcc_lo, 0xc2ce8ed0, v3
	v_cndmask_b32_e64 v31, 0, v26, s7
	v_mul_f32_e32 v26, 0x3fb8aa3b, v3
	v_cndmask_b32_e64 v32, s9, v28, s7
	v_mul_f32_e32 v28, 0x3fb8aa3b, v4
	v_fma_f32 v35, 0x3fb8aa3b, v3, -v26
	flat_load_dwordx4 v[31:34], v[31:32]
	v_rndne_f32_e32 v36, v26
	v_fma_f32 v37, 0x3fb8aa3b, v4, -v28
	v_rndne_f32_e32 v38, v28
	v_fmac_f32_e32 v35, 0x32a5705f, v3
	v_sub_f32_e32 v26, v26, v36
	v_fmac_f32_e32 v37, 0x32a5705f, v4
	v_sub_f32_e32 v28, v28, v38
	v_add_f32_e32 v26, v26, v35
	v_cvt_i32_f32_e32 v35, v36
	v_add_f32_e32 v28, v28, v37
	v_cvt_i32_f32_e32 v36, v38
	v_exp_f32_e32 v26, v26
	v_exp_f32_e32 v28, v28
	v_ldexp_f32 v26, v26, v35
	v_ldexp_f32 v28, v28, v36
	v_cndmask_b32_e32 v26, 0, v26, vcc_lo
	v_cmp_ngt_f32_e32 vcc_lo, 0xc2ce8ed0, v4
	v_cndmask_b32_e32 v28, 0, v28, vcc_lo
	v_cmp_nlt_f32_e32 vcc_lo, 0x42b17218, v3
	v_mov_b32_e32 v3, 0x10001
	v_cndmask_b32_e32 v26, 0x7f800000, v26, vcc_lo
	v_cmp_nlt_f32_e32 vcc_lo, 0x42b17218, v4
	v_fmac_f32_e32 v1, v27, v26
	v_cndmask_b32_e32 v4, 0x7f800000, v28, vcc_lo
	v_mad_u32_u24 v28, 0x90, v29, v30
	v_cvt_f16_f32_e32 v29, v26
	v_cvt_f16_f32_e32 v30, v4
	v_fmac_f32_e32 v24, v25, v4
	v_mul_u32_u24_sdwa v4, v29, v3 dst_sel:DWORD dst_unused:UNUSED_PAD src0_sel:WORD_0 src1_sel:DWORD
	v_mul_u32_u24_sdwa v118, v30, v3 dst_sel:DWORD dst_unused:UNUSED_PAD src0_sel:WORD_0 src1_sel:DWORD
	v_mov_b32_e32 v25, v24
	v_pk_mul_f16 v119, v23, v4
	v_pk_mul_f16 v120, v22, v118
	s_waitcnt vmcnt(0) lgkmcnt(0)
	ds_write_b128 v28, v[31:34]
	s_waitcnt lgkmcnt(0)
	s_waitcnt_vscnt null, 0x0
	s_barrier
	buffer_gl0_inv
	ds_read2_b64 v[26:29], v19 offset1:18
	ds_read_b128 v[30:33], v21
	ds_read_b128 v[34:37], v21 offset:16
	ds_read_b128 v[38:41], v21 offset:32
	;; [unrolled: 1-line block ×3, first 2 shown]
	ds_read2_b64 v[46:49], v19 offset0:36 offset1:54
	ds_read2_b64 v[50:53], v19 offset0:72 offset1:90
	;; [unrolled: 1-line block ×10, first 2 shown]
	ds_read_b128 v[86:89], v21 offset:64
	ds_read_b128 v[90:93], v21 offset:80
	ds_read2_b64 v[94:97], v102 offset0:140 offset1:158
	ds_read2_b64 v[98:101], v102 offset0:176 offset1:194
	;; [unrolled: 1-line block ×4, first 2 shown]
	ds_read_b128 v[110:113], v21 offset:96
	ds_read_b128 v[21:24], v21 offset:112
	ds_read2_b64 v[114:117], v114 offset0:28 offset1:46
	s_waitcnt lgkmcnt(22)
	v_mul_u32_u24_sdwa v19, v30, v3 dst_sel:DWORD dst_unused:UNUSED_PAD src0_sel:WORD_0 src1_sel:DWORD
	v_mul_u32_u24_sdwa v30, v30, v3 dst_sel:DWORD dst_unused:UNUSED_PAD src0_sel:WORD_1 src1_sel:DWORD
	v_mul_u32_u24_sdwa v121, v31, v3 dst_sel:DWORD dst_unused:UNUSED_PAD src0_sel:WORD_0 src1_sel:DWORD
	v_mul_u32_u24_sdwa v31, v31, v3 dst_sel:DWORD dst_unused:UNUSED_PAD src0_sel:WORD_1 src1_sel:DWORD
	v_mul_u32_u24_sdwa v122, v32, v3 dst_sel:DWORD dst_unused:UNUSED_PAD src0_sel:WORD_0 src1_sel:DWORD
	v_pk_mul_f16 v137, v26, v19
	v_pk_mul_f16 v26, v26, v30
	v_pk_fma_f16 v19, v27, v19, v119
	v_pk_fma_f16 v27, v27, v30, v120
	v_mul_u32_u24_sdwa v32, v32, v3 dst_sel:DWORD dst_unused:UNUSED_PAD src0_sel:WORD_1 src1_sel:DWORD
	v_pk_fma_f16 v4, v20, v4, v137
	v_pk_fma_f16 v18, v18, v118, v26
	;; [unrolled: 1-line block ×4, first 2 shown]
	v_mul_u32_u24_sdwa v123, v33, v3 dst_sel:DWORD dst_unused:UNUSED_PAD src0_sel:WORD_0 src1_sel:DWORD
	v_pk_fma_f16 v4, v28, v121, v4
	v_pk_fma_f16 v18, v28, v31, v18
	v_mul_u32_u24_sdwa v33, v33, v3 dst_sel:DWORD dst_unused:UNUSED_PAD src0_sel:WORD_1 src1_sel:DWORD
	s_waitcnt lgkmcnt(18)
	v_pk_fma_f16 v26, v47, v32, v26
	v_pk_fma_f16 v19, v47, v122, v19
	v_pk_fma_f16 v4, v46, v122, v4
	v_pk_fma_f16 v18, v46, v32, v18
	v_mul_u32_u24_sdwa v124, v34, v3 dst_sel:DWORD dst_unused:UNUSED_PAD src0_sel:WORD_0 src1_sel:DWORD
	v_mul_u32_u24_sdwa v34, v34, v3 dst_sel:DWORD dst_unused:UNUSED_PAD src0_sel:WORD_1 src1_sel:DWORD
	v_pk_fma_f16 v26, v49, v33, v26
	v_pk_fma_f16 v4, v48, v123, v4
	v_pk_fma_f16 v18, v48, v33, v18
	v_pk_fma_f16 v19, v49, v123, v19
	v_mul_u32_u24_sdwa v125, v35, v3 dst_sel:DWORD dst_unused:UNUSED_PAD src0_sel:WORD_0 src1_sel:DWORD
	v_mul_u32_u24_sdwa v35, v35, v3 dst_sel:DWORD dst_unused:UNUSED_PAD src0_sel:WORD_1 src1_sel:DWORD
	s_waitcnt lgkmcnt(17)
	v_pk_fma_f16 v26, v51, v34, v26
	v_pk_fma_f16 v4, v50, v124, v4
	v_pk_fma_f16 v18, v50, v34, v18
	v_pk_fma_f16 v19, v51, v124, v19
	v_mul_u32_u24_sdwa v126, v36, v3 dst_sel:DWORD dst_unused:UNUSED_PAD src0_sel:WORD_0 src1_sel:DWORD
	v_mul_u32_u24_sdwa v36, v36, v3 dst_sel:DWORD dst_unused:UNUSED_PAD src0_sel:WORD_1 src1_sel:DWORD
	v_pk_fma_f16 v26, v53, v35, v26
	v_pk_fma_f16 v4, v52, v125, v4
	v_pk_fma_f16 v18, v52, v35, v18
	v_pk_fma_f16 v19, v53, v125, v19
	v_mul_u32_u24_sdwa v127, v37, v3 dst_sel:DWORD dst_unused:UNUSED_PAD src0_sel:WORD_0 src1_sel:DWORD
	;; [unrolled: 13-line block ×6, first 2 shown]
	v_mul_u32_u24_sdwa v45, v45, v3 dst_sel:DWORD dst_unused:UNUSED_PAD src0_sel:WORD_1 src1_sel:DWORD
	s_waitcnt lgkmcnt(12)
	v_pk_fma_f16 v26, v71, v44, v26
	v_pk_fma_f16 v4, v70, v134, v4
	;; [unrolled: 1-line block ×4, first 2 shown]
	s_waitcnt lgkmcnt(8)
	v_mul_u32_u24_sdwa v136, v86, v3 dst_sel:DWORD dst_unused:UNUSED_PAD src0_sel:WORD_0 src1_sel:DWORD
	v_mul_u32_u24_sdwa v86, v86, v3 dst_sel:DWORD dst_unused:UNUSED_PAD src0_sel:WORD_1 src1_sel:DWORD
	v_pk_fma_f16 v26, v73, v45, v26
	v_pk_fma_f16 v4, v72, v135, v4
	v_pk_fma_f16 v18, v72, v45, v18
	v_pk_fma_f16 v19, v73, v135, v19
	v_mul_u32_u24_sdwa v20, v87, v3 dst_sel:DWORD dst_unused:UNUSED_PAD src0_sel:WORD_0 src1_sel:DWORD
	v_mul_u32_u24_sdwa v27, v87, v3 dst_sel:DWORD dst_unused:UNUSED_PAD src0_sel:WORD_1 src1_sel:DWORD
	v_pk_fma_f16 v26, v75, v86, v26
	v_pk_fma_f16 v4, v74, v136, v4
	v_pk_fma_f16 v18, v74, v86, v18
	v_pk_fma_f16 v19, v75, v136, v19
	v_mul_u32_u24_sdwa v28, v88, v3 dst_sel:DWORD dst_unused:UNUSED_PAD src0_sel:WORD_0 src1_sel:DWORD
	v_mul_u32_u24_sdwa v29, v88, v3 dst_sel:DWORD dst_unused:UNUSED_PAD src0_sel:WORD_1 src1_sel:DWORD
	v_pk_fma_f16 v26, v77, v27, v26
	v_pk_fma_f16 v4, v76, v20, v4
	v_pk_fma_f16 v18, v76, v27, v18
	v_pk_fma_f16 v19, v77, v20, v19
	v_mul_u32_u24_sdwa v30, v89, v3 dst_sel:DWORD dst_unused:UNUSED_PAD src0_sel:WORD_0 src1_sel:DWORD
	v_mul_u32_u24_sdwa v31, v89, v3 dst_sel:DWORD dst_unused:UNUSED_PAD src0_sel:WORD_1 src1_sel:DWORD
	v_pk_fma_f16 v26, v79, v29, v26
	v_pk_fma_f16 v4, v78, v28, v4
	v_pk_fma_f16 v18, v78, v29, v18
	v_pk_fma_f16 v19, v79, v28, v19
	s_waitcnt lgkmcnt(7)
	v_mul_u32_u24_sdwa v32, v90, v3 dst_sel:DWORD dst_unused:UNUSED_PAD src0_sel:WORD_0 src1_sel:DWORD
	v_mul_u32_u24_sdwa v33, v90, v3 dst_sel:DWORD dst_unused:UNUSED_PAD src0_sel:WORD_1 src1_sel:DWORD
	v_pk_fma_f16 v26, v81, v31, v26
	v_pk_fma_f16 v4, v80, v30, v4
	v_pk_fma_f16 v18, v80, v31, v18
	v_pk_fma_f16 v19, v81, v30, v19
	v_mul_u32_u24_sdwa v34, v91, v3 dst_sel:DWORD dst_unused:UNUSED_PAD src0_sel:WORD_0 src1_sel:DWORD
	v_mul_u32_u24_sdwa v35, v91, v3 dst_sel:DWORD dst_unused:UNUSED_PAD src0_sel:WORD_1 src1_sel:DWORD
	v_pk_fma_f16 v26, v83, v33, v26
	v_pk_fma_f16 v4, v82, v32, v4
	v_pk_fma_f16 v18, v82, v33, v18
	v_pk_fma_f16 v19, v83, v32, v19
	;; [unrolled: 6-line block ×3, first 2 shown]
	v_mul_u32_u24_sdwa v38, v93, v3 dst_sel:DWORD dst_unused:UNUSED_PAD src0_sel:WORD_0 src1_sel:DWORD
	v_mul_u32_u24_sdwa v39, v93, v3 dst_sel:DWORD dst_unused:UNUSED_PAD src0_sel:WORD_1 src1_sel:DWORD
	s_waitcnt lgkmcnt(6)
	v_pk_fma_f16 v26, v95, v37, v26
	v_pk_fma_f16 v4, v94, v36, v4
	;; [unrolled: 1-line block ×4, first 2 shown]
	s_waitcnt lgkmcnt(2)
	v_mul_u32_u24_sdwa v40, v110, v3 dst_sel:DWORD dst_unused:UNUSED_PAD src0_sel:WORD_0 src1_sel:DWORD
	v_mul_u32_u24_sdwa v41, v110, v3 dst_sel:DWORD dst_unused:UNUSED_PAD src0_sel:WORD_1 src1_sel:DWORD
	v_pk_fma_f16 v26, v97, v39, v26
	v_pk_fma_f16 v4, v96, v38, v4
	v_pk_fma_f16 v18, v96, v39, v18
	v_pk_fma_f16 v19, v97, v38, v19
	v_mul_u32_u24_sdwa v42, v111, v3 dst_sel:DWORD dst_unused:UNUSED_PAD src0_sel:WORD_0 src1_sel:DWORD
	v_mul_u32_u24_sdwa v20, v111, v3 dst_sel:DWORD dst_unused:UNUSED_PAD src0_sel:WORD_1 src1_sel:DWORD
	v_pk_fma_f16 v26, v99, v41, v26
	v_pk_fma_f16 v4, v98, v40, v4
	v_pk_fma_f16 v18, v98, v41, v18
	v_pk_fma_f16 v19, v99, v40, v19
	;; [unrolled: 6-line block ×3, first 2 shown]
	v_mul_u32_u24_sdwa v29, v113, v3 dst_sel:DWORD dst_unused:UNUSED_PAD src0_sel:WORD_0 src1_sel:DWORD
	v_mul_u32_u24_sdwa v30, v113, v3 dst_sel:DWORD dst_unused:UNUSED_PAD src0_sel:WORD_1 src1_sel:DWORD
	s_waitcnt lgkmcnt(1)
	v_mul_u32_u24_sdwa v32, v22, v3 dst_sel:DWORD dst_unused:UNUSED_PAD src0_sel:WORD_0 src1_sel:DWORD
	v_mul_u32_u24_sdwa v20, v22, v3 dst_sel:DWORD dst_unused:UNUSED_PAD src0_sel:WORD_1 src1_sel:DWORD
	v_pk_fma_f16 v22, v103, v28, v26
	v_pk_fma_f16 v4, v102, v27, v4
	;; [unrolled: 1-line block ×4, first 2 shown]
	v_mul_u32_u24_sdwa v31, v21, v3 dst_sel:DWORD dst_unused:UNUSED_PAD src0_sel:WORD_0 src1_sel:DWORD
	v_mul_u32_u24_sdwa v21, v21, v3 dst_sel:DWORD dst_unused:UNUSED_PAD src0_sel:WORD_1 src1_sel:DWORD
	v_pk_fma_f16 v22, v105, v30, v22
	v_pk_fma_f16 v4, v104, v29, v4
	;; [unrolled: 1-line block ×4, first 2 shown]
	v_mul_u32_u24_sdwa v26, v23, v3 dst_sel:DWORD dst_unused:UNUSED_PAD src0_sel:WORD_0 src1_sel:DWORD
	v_pk_fma_f16 v22, v107, v21, v22
	v_pk_fma_f16 v4, v106, v31, v4
	;; [unrolled: 1-line block ×4, first 2 shown]
	v_mul_u32_u24_sdwa v23, v23, v3 dst_sel:DWORD dst_unused:UNUSED_PAD src0_sel:WORD_1 src1_sel:DWORD
	v_pk_fma_f16 v22, v109, v20, v22
	v_pk_fma_f16 v4, v108, v32, v4
	;; [unrolled: 1-line block ×4, first 2 shown]
	v_mul_u32_u24_sdwa v21, v24, v3 dst_sel:DWORD dst_unused:UNUSED_PAD src0_sel:WORD_0 src1_sel:DWORD
	v_mul_u32_u24_sdwa v3, v24, v3 dst_sel:DWORD dst_unused:UNUSED_PAD src0_sel:WORD_1 src1_sel:DWORD
	s_waitcnt lgkmcnt(0)
	v_pk_fma_f16 v20, v115, v23, v22
	v_pk_fma_f16 v4, v114, v26, v4
	;; [unrolled: 1-line block ×4, first 2 shown]
	v_mov_b32_e32 v27, v1
	v_pk_fma_f16 v22, v117, v3, v20
	v_pk_fma_f16 v20, v116, v21, v4
	;; [unrolled: 1-line block ×3, first 2 shown]
	v_mov_b32_e32 v3, v5
	v_pk_fma_f16 v23, v117, v21, v19
	v_mov_b32_e32 v4, v6
	s_barrier
	buffer_gl0_inv
.LBB59_41:
	v_cmp_lt_i32_e32 vcc_lo, v8, v11
	s_cmp_eq_u64 s[20:21], 0
	s_cselect_b32 s7, -1, 0
	s_cmp_lg_u32 s34, 0
	v_cndmask_b32_e32 v1, v17, v8, vcc_lo
	v_cmp_lt_i32_e32 vcc_lo, v7, v11
	s_cselect_b32 s8, -1, 0
	s_or_b32 s7, s8, s7
	v_lshlrev_b32_e32 v1, 2, v1
	v_cndmask_b32_e32 v6, v17, v7, vcc_lo
	v_cmp_lt_i32_e32 vcc_lo, v9, v11
	ds_bpermute_b32 v5, v1, v27
	ds_bpermute_b32 v1, v1, v25
	v_lshlrev_b32_e32 v6, 2, v6
	v_cndmask_b32_e32 v8, v17, v9, vcc_lo
	v_cmp_lt_i32_e32 vcc_lo, v10, v11
	v_lshlrev_b32_e32 v8, 2, v8
	s_waitcnt lgkmcnt(1)
	v_add_f32_e32 v5, v27, v5
	s_waitcnt lgkmcnt(0)
	v_add_f32_e32 v1, v25, v1
	ds_bpermute_b32 v7, v6, v5
	ds_bpermute_b32 v6, v6, v1
	s_waitcnt lgkmcnt(1)
	v_add_f32_e32 v5, v5, v7
	s_waitcnt lgkmcnt(0)
	v_add_f32_e32 v1, v1, v6
	ds_bpermute_b32 v6, v8, v5
	ds_bpermute_b32 v7, v8, v1
	v_cndmask_b32_e32 v8, v17, v10, vcc_lo
	v_cmp_lt_i32_e32 vcc_lo, v12, v11
	v_lshlrev_b32_e32 v8, 2, v8
	s_waitcnt lgkmcnt(1)
	v_add_f32_e32 v5, v5, v6
	s_waitcnt lgkmcnt(0)
	v_add_f32_e32 v1, v1, v7
	ds_bpermute_b32 v6, v8, v5
	ds_bpermute_b32 v7, v8, v1
	v_cndmask_b32_e32 v8, v17, v12, vcc_lo
	s_and_b32 vcc_lo, exec_lo, s7
	v_lshlrev_b32_e32 v8, 2, v8
	s_waitcnt lgkmcnt(1)
	v_add_f32_e32 v5, v5, v6
	s_waitcnt lgkmcnt(0)
	v_add_f32_e32 v1, v1, v7
	ds_bpermute_b32 v6, v8, v5
	ds_bpermute_b32 v7, v8, v1
	s_waitcnt lgkmcnt(1)
	v_add_f32_e32 v5, v5, v6
	s_waitcnt lgkmcnt(0)
	v_add_f32_e32 v6, v1, v7
	s_cbranch_vccnz .LBB59_44
; %bb.42:
	s_lshl_b64 s[8:9], s[18:19], 2
	v_mov_b32_e32 v1, 0
	s_add_u32 s8, s20, s8
	s_addc_u32 s9, s21, s9
	v_max_f32_e32 v7, v3, v3
	v_max_f32_e32 v10, v4, v4
	global_load_dword v1, v1, s[8:9]
	s_waitcnt vmcnt(0)
	v_max_f32_e32 v8, v1, v1
	v_max_f32_e32 v9, v7, v8
	;; [unrolled: 1-line block ×3, first 2 shown]
	v_sub_f32_e32 v3, v3, v9
	v_sub_f32_e32 v7, v1, v9
	;; [unrolled: 1-line block ×4, first 2 shown]
	v_mul_f32_e32 v8, 0x3fb8aa3b, v3
	v_mul_f32_e32 v11, 0x3fb8aa3b, v7
	;; [unrolled: 1-line block ×4, first 2 shown]
	v_cmp_ngt_f32_e32 vcc_lo, 0xc2ce8ed0, v3
	v_fma_f32 v19, 0x3fb8aa3b, v3, -v8
	v_rndne_f32_e32 v21, v8
	v_fma_f32 v24, 0x3fb8aa3b, v7, -v11
	v_rndne_f32_e32 v25, v11
	v_fma_f32 v26, 0x3fb8aa3b, v4, -v12
	v_fmac_f32_e32 v19, 0x32a5705f, v3
	v_sub_f32_e32 v8, v8, v21
	v_rndne_f32_e32 v27, v12
	v_fmac_f32_e32 v24, 0x32a5705f, v7
	v_sub_f32_e32 v11, v11, v25
	v_fma_f32 v28, 0x3fb8aa3b, v1, -v17
	v_add_f32_e32 v8, v8, v19
	v_rndne_f32_e32 v29, v17
	v_fmac_f32_e32 v26, 0x32a5705f, v4
	v_sub_f32_e32 v12, v12, v27
	v_add_f32_e32 v11, v11, v24
	v_exp_f32_e32 v8, v8
	v_fmac_f32_e32 v28, 0x32a5705f, v1
	v_sub_f32_e32 v17, v17, v29
	v_add_f32_e32 v12, v12, v26
	v_exp_f32_e32 v11, v11
	v_cvt_i32_f32_e32 v19, v21
	v_cvt_i32_f32_e32 v21, v25
	v_add_f32_e32 v17, v17, v28
	v_exp_f32_e32 v12, v12
	v_cvt_i32_f32_e32 v24, v27
	v_ldexp_f32 v8, v8, v19
	v_cvt_i32_f32_e32 v25, v29
	v_exp_f32_e32 v17, v17
	v_mov_b32_e32 v26, 0x10001
	v_ldexp_f32 v11, v11, v21
	v_cndmask_b32_e32 v8, 0, v8, vcc_lo
	v_cmp_ngt_f32_e32 vcc_lo, 0xc2ce8ed0, v7
	v_ldexp_f32 v12, v12, v24
	v_cndmask_b32_e32 v11, 0, v11, vcc_lo
	v_cmp_ngt_f32_e32 vcc_lo, 0xc2ce8ed0, v4
	;; [unrolled: 3-line block ×3, first 2 shown]
	v_cndmask_b32_e32 v17, 0, v17, vcc_lo
	v_cmp_nlt_f32_e32 vcc_lo, 0x42b17218, v3
	v_cndmask_b32_e32 v3, 0x7f800000, v8, vcc_lo
	v_cmp_nlt_f32_e32 vcc_lo, 0x42b17218, v7
	;; [unrolled: 2-line block ×3, first 2 shown]
	v_fmac_f32_e32 v7, v5, v3
	v_cndmask_b32_e32 v4, 0x7f800000, v12, vcc_lo
	v_cmp_nlt_f32_e32 vcc_lo, 0x42b17218, v1
	v_cvt_f16_f32_e32 v1, v3
	v_cvt_f16_f32_e32 v11, v4
	v_cndmask_b32_e32 v8, 0x7f800000, v17, vcc_lo
	v_mul_u32_u24_sdwa v1, v1, v26 dst_sel:DWORD dst_unused:UNUSED_PAD src0_sel:WORD_0 src1_sel:DWORD
	v_mul_u32_u24_sdwa v3, v11, v26 dst_sel:DWORD dst_unused:UNUSED_PAD src0_sel:WORD_0 src1_sel:DWORD
	v_fmac_f32_e32 v8, v6, v4
	v_mov_b32_e32 v5, v7
	v_pk_mul_f16 v20, v20, v1
	v_pk_mul_f16 v23, v23, v1
	;; [unrolled: 1-line block ×4, first 2 shown]
	v_mov_b32_e32 v3, v9
	v_mov_b32_e32 v6, v8
	;; [unrolled: 1-line block ×3, first 2 shown]
	s_mov_b32 s7, exec_lo
	v_cmpx_gt_i32_e64 s30, v16
	s_cbranch_execnz .LBB59_45
.LBB59_43:
	s_endpgm
.LBB59_44:
	v_mov_b32_e32 v7, v5
	v_mov_b32_e32 v8, v6
	s_mov_b32 s7, exec_lo
	v_cmpx_gt_i32_e64 s30, v16
	s_cbranch_execz .LBB59_43
.LBB59_45:
	s_load_dword s4, s[4:5], 0xd4
	v_mov_b32_e32 v1, 1.0
	s_waitcnt lgkmcnt(0)
	s_cmp_lg_u32 s4, 1
	s_cselect_b32 s8, -1, 0
	s_cmp_eq_u32 s4, 1
	s_cselect_b32 s5, -1, 0
	s_and_b32 vcc_lo, exec_lo, s8
	s_cbranch_vccnz .LBB59_47
; %bb.46:
	v_div_scale_f32 v1, null, v7, v7, 1.0
	v_rcp_f32_e32 v9, v1
	v_fma_f32 v10, -v1, v9, 1.0
	v_fmac_f32_e32 v9, v10, v9
	v_div_scale_f32 v10, vcc_lo, 1.0, v7, 1.0
	v_mul_f32_e32 v11, v10, v9
	v_fma_f32 v12, -v1, v11, v10
	v_fmac_f32_e32 v11, v12, v9
	v_fma_f32 v1, -v1, v11, v10
	v_div_fmas_f32 v1, v1, v9, v11
	v_div_fixup_f32 v1, v1, v7, 1.0
.LBB59_47:
	s_mul_i32 s7, s33, s30
	s_add_i32 s7, s7, s35
	v_add_nc_u32_e32 v7, s7, v15
	v_mad_u64_u32 v[9:10], null, v7, s31, s[18:19]
	v_mad_u64_u32 v[9:10], null, s4, v9, s[34:35]
	s_and_saveexec_b32 s9, s6
	s_cbranch_execz .LBB59_49
; %bb.48:
	v_mad_u64_u32 v[10:11], null, 0x48, v9, v[2:3]
	v_mov_b32_e32 v11, 0
	v_cvt_f32_f16_sdwa v7, v23 dst_sel:DWORD dst_unused:UNUSED_PAD src0_sel:WORD_1
	v_cvt_f32_f16_e32 v12, v23
	v_cvt_f32_f16_sdwa v15, v20 dst_sel:DWORD dst_unused:UNUSED_PAD src0_sel:WORD_1
	v_cvt_f32_f16_e32 v16, v20
	v_mul_f32_e32 v26, v1, v7
	v_lshlrev_b64 v[10:11], 2, v[10:11]
	v_mul_f32_e32 v25, v1, v12
	v_mul_f32_e32 v24, v1, v15
	;; [unrolled: 1-line block ×3, first 2 shown]
	v_add_co_u32 v10, vcc_lo, s24, v10
	v_add_co_ci_u32_e64 v11, null, s25, v11, vcc_lo
	global_store_dwordx4 v[10:11], v[23:26], off
.LBB59_49:
	s_or_b32 exec_lo, exec_lo, s9
	v_cmp_eq_u32_e32 vcc_lo, 0, v0
	s_and_b32 s8, vcc_lo, s8
	s_and_saveexec_b32 s9, s8
	s_cbranch_execz .LBB59_51
; %bb.50:
	v_ashrrev_i32_e32 v10, 31, v9
	v_lshlrev_b64 v[0:1], 3, v[9:10]
	v_mov_b32_e32 v9, v3
	v_mov_b32_e32 v10, v5
	v_add_co_u32 v0, vcc_lo, s26, v0
	v_add_co_ci_u32_e64 v1, null, s27, v1, vcc_lo
	global_store_dwordx2 v[0:1], v[9:10], off
.LBB59_51:
	s_or_b32 exec_lo, exec_lo, s9
	v_cmp_gt_i32_e32 vcc_lo, s30, v14
	s_and_b32 exec_lo, exec_lo, vcc_lo
	s_cbranch_execz .LBB59_43
; %bb.52:
	v_mov_b32_e32 v3, 1.0
	s_andn2_b32 vcc_lo, exec_lo, s5
	s_cbranch_vccnz .LBB59_54
; %bb.53:
	v_div_scale_f32 v0, null, v8, v8, 1.0
	v_rcp_f32_e32 v1, v0
	v_fma_f32 v3, -v0, v1, 1.0
	v_fmac_f32_e32 v1, v3, v1
	v_div_scale_f32 v3, vcc_lo, 1.0, v8, 1.0
	v_mul_f32_e32 v5, v3, v1
	v_fma_f32 v7, -v0, v5, v3
	v_fmac_f32_e32 v5, v7, v1
	v_fma_f32 v0, -v0, v5, v3
	v_div_fmas_f32 v0, v0, v1, v5
	v_div_fixup_f32 v3, v0, v8, 1.0
.LBB59_54:
	v_add_nc_u32_e32 v0, s7, v13
	v_mad_u64_u32 v[0:1], null, v0, s31, s[18:19]
	v_mad_u64_u32 v[0:1], null, s4, v0, s[34:35]
	s_and_saveexec_b32 s4, s6
	s_cbranch_execz .LBB59_56
; %bb.55:
	v_mad_u64_u32 v[1:2], null, 0x48, v0, v[2:3]
	v_mov_b32_e32 v2, 0
	v_cvt_f32_f16_sdwa v5, v22 dst_sel:DWORD dst_unused:UNUSED_PAD src0_sel:WORD_1
	v_cvt_f32_f16_e32 v7, v22
	v_cvt_f32_f16_sdwa v8, v18 dst_sel:DWORD dst_unused:UNUSED_PAD src0_sel:WORD_1
	v_cvt_f32_f16_e32 v11, v18
	v_mul_f32_e32 v10, v3, v5
	v_lshlrev_b64 v[1:2], 2, v[1:2]
	v_mul_f32_e32 v9, v3, v7
	v_mul_f32_e32 v8, v3, v8
	;; [unrolled: 1-line block ×3, first 2 shown]
	v_add_co_u32 v1, vcc_lo, s24, v1
	v_add_co_ci_u32_e64 v2, null, s25, v2, vcc_lo
	global_store_dwordx4 v[1:2], v[7:10], off
.LBB59_56:
	s_or_b32 exec_lo, exec_lo, s4
	s_and_b32 exec_lo, exec_lo, s8
	s_cbranch_execz .LBB59_43
; %bb.57:
	v_ashrrev_i32_e32 v1, 31, v0
	v_mov_b32_e32 v5, v4
	v_lshlrev_b64 v[0:1], 3, v[0:1]
	v_add_co_u32 v0, vcc_lo, s26, v0
	v_add_co_ci_u32_e64 v1, null, s27, v1, vcc_lo
	global_store_dwordx2 v[0:1], v[5:6], off
	s_endpgm
	.section	.rodata,"a",@progbits
	.p2align	6, 0x0
	.amdhsa_kernel _ZL15flash_attn_tileILi72ELi72ELi16ELi1ELb0EEvPKcS1_S1_S1_S1_PKiPfP15HIP_vector_typeIfLj2EEffffjfiS5_IjLj3EEiiiiiiiiiiiliiliiiiil
		.amdhsa_group_segment_fixed_size 8672
		.amdhsa_private_segment_fixed_size 32
		.amdhsa_kernarg_size 464
		.amdhsa_user_sgpr_count 8
		.amdhsa_user_sgpr_private_segment_buffer 1
		.amdhsa_user_sgpr_dispatch_ptr 0
		.amdhsa_user_sgpr_queue_ptr 0
		.amdhsa_user_sgpr_kernarg_segment_ptr 1
		.amdhsa_user_sgpr_dispatch_id 0
		.amdhsa_user_sgpr_flat_scratch_init 1
		.amdhsa_user_sgpr_private_segment_size 0
		.amdhsa_wavefront_size32 1
		.amdhsa_uses_dynamic_stack 0
		.amdhsa_system_sgpr_private_segment_wavefront_offset 1
		.amdhsa_system_sgpr_workgroup_id_x 1
		.amdhsa_system_sgpr_workgroup_id_y 1
		.amdhsa_system_sgpr_workgroup_id_z 1
		.amdhsa_system_sgpr_workgroup_info 0
		.amdhsa_system_vgpr_workitem_id 1
		.amdhsa_next_free_vgpr 142
		.amdhsa_next_free_sgpr 52
		.amdhsa_reserve_vcc 1
		.amdhsa_reserve_flat_scratch 1
		.amdhsa_float_round_mode_32 0
		.amdhsa_float_round_mode_16_64 0
		.amdhsa_float_denorm_mode_32 3
		.amdhsa_float_denorm_mode_16_64 3
		.amdhsa_dx10_clamp 1
		.amdhsa_ieee_mode 1
		.amdhsa_fp16_overflow 0
		.amdhsa_workgroup_processor_mode 1
		.amdhsa_memory_ordered 1
		.amdhsa_forward_progress 1
		.amdhsa_shared_vgpr_count 0
		.amdhsa_exception_fp_ieee_invalid_op 0
		.amdhsa_exception_fp_denorm_src 0
		.amdhsa_exception_fp_ieee_div_zero 0
		.amdhsa_exception_fp_ieee_overflow 0
		.amdhsa_exception_fp_ieee_underflow 0
		.amdhsa_exception_fp_ieee_inexact 0
		.amdhsa_exception_int_div_zero 0
	.end_amdhsa_kernel
	.section	.text._ZL15flash_attn_tileILi72ELi72ELi16ELi1ELb0EEvPKcS1_S1_S1_S1_PKiPfP15HIP_vector_typeIfLj2EEffffjfiS5_IjLj3EEiiiiiiiiiiiliiliiiiil,"axG",@progbits,_ZL15flash_attn_tileILi72ELi72ELi16ELi1ELb0EEvPKcS1_S1_S1_S1_PKiPfP15HIP_vector_typeIfLj2EEffffjfiS5_IjLj3EEiiiiiiiiiiiliiliiiiil,comdat
.Lfunc_end59:
	.size	_ZL15flash_attn_tileILi72ELi72ELi16ELi1ELb0EEvPKcS1_S1_S1_S1_PKiPfP15HIP_vector_typeIfLj2EEffffjfiS5_IjLj3EEiiiiiiiiiiiliiliiiiil, .Lfunc_end59-_ZL15flash_attn_tileILi72ELi72ELi16ELi1ELb0EEvPKcS1_S1_S1_S1_PKiPfP15HIP_vector_typeIfLj2EEffffjfiS5_IjLj3EEiiiiiiiiiiiliiliiiiil
                                        ; -- End function
	.set _ZL15flash_attn_tileILi72ELi72ELi16ELi1ELb0EEvPKcS1_S1_S1_S1_PKiPfP15HIP_vector_typeIfLj2EEffffjfiS5_IjLj3EEiiiiiiiiiiiliiliiiiil.num_vgpr, 142
	.set _ZL15flash_attn_tileILi72ELi72ELi16ELi1ELb0EEvPKcS1_S1_S1_S1_PKiPfP15HIP_vector_typeIfLj2EEffffjfiS5_IjLj3EEiiiiiiiiiiiliiliiiiil.num_agpr, 0
	.set _ZL15flash_attn_tileILi72ELi72ELi16ELi1ELb0EEvPKcS1_S1_S1_S1_PKiPfP15HIP_vector_typeIfLj2EEffffjfiS5_IjLj3EEiiiiiiiiiiiliiliiiiil.numbered_sgpr, 52
	.set _ZL15flash_attn_tileILi72ELi72ELi16ELi1ELb0EEvPKcS1_S1_S1_S1_PKiPfP15HIP_vector_typeIfLj2EEffffjfiS5_IjLj3EEiiiiiiiiiiiliiliiiiil.num_named_barrier, 0
	.set _ZL15flash_attn_tileILi72ELi72ELi16ELi1ELb0EEvPKcS1_S1_S1_S1_PKiPfP15HIP_vector_typeIfLj2EEffffjfiS5_IjLj3EEiiiiiiiiiiiliiliiiiil.private_seg_size, 32
	.set _ZL15flash_attn_tileILi72ELi72ELi16ELi1ELb0EEvPKcS1_S1_S1_S1_PKiPfP15HIP_vector_typeIfLj2EEffffjfiS5_IjLj3EEiiiiiiiiiiiliiliiiiil.uses_vcc, 1
	.set _ZL15flash_attn_tileILi72ELi72ELi16ELi1ELb0EEvPKcS1_S1_S1_S1_PKiPfP15HIP_vector_typeIfLj2EEffffjfiS5_IjLj3EEiiiiiiiiiiiliiliiiiil.uses_flat_scratch, 1
	.set _ZL15flash_attn_tileILi72ELi72ELi16ELi1ELb0EEvPKcS1_S1_S1_S1_PKiPfP15HIP_vector_typeIfLj2EEffffjfiS5_IjLj3EEiiiiiiiiiiiliiliiiiil.has_dyn_sized_stack, 0
	.set _ZL15flash_attn_tileILi72ELi72ELi16ELi1ELb0EEvPKcS1_S1_S1_S1_PKiPfP15HIP_vector_typeIfLj2EEffffjfiS5_IjLj3EEiiiiiiiiiiiliiliiiiil.has_recursion, 0
	.set _ZL15flash_attn_tileILi72ELi72ELi16ELi1ELb0EEvPKcS1_S1_S1_S1_PKiPfP15HIP_vector_typeIfLj2EEffffjfiS5_IjLj3EEiiiiiiiiiiiliiliiiiil.has_indirect_call, 0
	.section	.AMDGPU.csdata,"",@progbits
; Kernel info:
; codeLenInByte = 14200
; TotalNumSgprs: 54
; NumVgprs: 142
; ScratchSize: 32
; MemoryBound: 0
; FloatMode: 240
; IeeeMode: 1
; LDSByteSize: 8672 bytes/workgroup (compile time only)
; SGPRBlocks: 0
; VGPRBlocks: 17
; NumSGPRsForWavesPerEU: 54
; NumVGPRsForWavesPerEU: 142
; Occupancy: 7
; WaveLimiterHint : 1
; COMPUTE_PGM_RSRC2:SCRATCH_EN: 1
; COMPUTE_PGM_RSRC2:USER_SGPR: 8
; COMPUTE_PGM_RSRC2:TRAP_HANDLER: 0
; COMPUTE_PGM_RSRC2:TGID_X_EN: 1
; COMPUTE_PGM_RSRC2:TGID_Y_EN: 1
; COMPUTE_PGM_RSRC2:TGID_Z_EN: 1
; COMPUTE_PGM_RSRC2:TIDIG_COMP_CNT: 1
	.section	.text._ZL33flash_attn_stream_k_fixup_uniformILi72ELi16ELi1EEvPfPK15HIP_vector_typeIfLj2EEiiiiiiS1_IjLj3EES5_S5_,"axG",@progbits,_ZL33flash_attn_stream_k_fixup_uniformILi72ELi16ELi1EEvPfPK15HIP_vector_typeIfLj2EEiiiiiiS1_IjLj3EES5_S5_,comdat
	.globl	_ZL33flash_attn_stream_k_fixup_uniformILi72ELi16ELi1EEvPfPK15HIP_vector_typeIfLj2EEiiiiiiS1_IjLj3EES5_S5_ ; -- Begin function _ZL33flash_attn_stream_k_fixup_uniformILi72ELi16ELi1EEvPfPK15HIP_vector_typeIfLj2EEiiiiiiS1_IjLj3EES5_S5_
	.p2align	8
	.type	_ZL33flash_attn_stream_k_fixup_uniformILi72ELi16ELi1EEvPfPK15HIP_vector_typeIfLj2EEiiiiiiS1_IjLj3EES5_S5_,@function
_ZL33flash_attn_stream_k_fixup_uniformILi72ELi16ELi1EEvPfPK15HIP_vector_typeIfLj2EEiiiiiiS1_IjLj3EES5_S5_: ; @_ZL33flash_attn_stream_k_fixup_uniformILi72ELi16ELi1EEvPfPK15HIP_vector_typeIfLj2EEiiiiiiS1_IjLj3EES5_S5_
; %bb.0:
	s_clause 0x2
	s_load_dwordx8 s[12:19], s[4:5], 0x1c
	s_load_dwordx4 s[20:23], s[4:5], 0x3c
	s_load_dwordx2 s[10:11], s[4:5], 0x10
	s_waitcnt lgkmcnt(0)
	s_mul_hi_u32 s0, s15, s6
	s_add_i32 s0, s6, s0
	s_lshr_b32 s0, s0, s16
	s_mul_i32 s1, s0, s17
	s_sub_i32 s1, s6, s1
	s_mul_hi_u32 s2, s1, s18
	s_add_i32 s2, s1, s2
	s_lshr_b32 s9, s2, s19
	s_mul_i32 s2, s9, s20
	s_sub_i32 s1, s1, s2
	;; [unrolled: 5-line block ×3, first 2 shown]
	s_lshl_b32 s1, s15, 4
	s_add_i32 s1, s1, s7
	s_cmp_lt_i32 s1, s10
	s_cselect_b32 s1, -1, 0
	s_add_i32 s16, s16, s8
	s_cmp_lt_i32 s16, s13
	s_cselect_b32 s2, -1, 0
	s_and_b32 s1, s1, s2
	s_andn2_b32 vcc_lo, exec_lo, s1
	s_cbranch_vccnz .LBB60_6
; %bb.1:
	s_mul_i32 s10, s0, s10
	s_load_dwordx4 s[0:3], s[4:5], 0x0
	s_add_i32 s4, s10, s7
	s_mul_i32 s9, s9, s13
	s_mul_i32 s4, s4, s11
	s_add_i32 s5, s16, s9
	s_mul_i32 s9, s11, s15
	s_add_i32 s4, s5, s4
	s_mulk_i32 s9, 0x480
	s_mulk_i32 s4, 0x48
	s_add_i32 s8, s7, s8
	v_add3_u32 v1, s4, s9, v0
	s_mul_i32 s4, s14, s6
	s_add_i32 s9, s4, s14
	v_ashrrev_i32_e32 v2, 31, v1
	v_lshlrev_b64 v[1:2], 2, v[1:2]
	s_waitcnt lgkmcnt(0)
	v_add_co_u32 v1, vcc_lo, s0, v1
	v_add_co_ci_u32_e64 v2, null, s1, v2, vcc_lo
	s_lshl_b32 s0, s9, 4
	s_add_i32 s0, s8, s0
	global_load_dword v5, v[1:2], off
	s_add_i32 s0, s0, -16
	s_ashr_i32 s1, s0, 31
	s_lshl_b64 s[0:1], s[0:1], 3
	s_add_u32 s0, s2, s0
	s_addc_u32 s1, s3, s1
	s_add_i32 s5, s9, -2
	s_load_dword s10, s[0:1], 0x4
	s_cmp_lt_i32 s5, s4
	s_cbranch_scc1 .LBB60_4
; %bb.2:
	s_load_dword s11, s[0:1], 0x0
	s_lshl_b32 s0, s12, 6
	s_waitcnt lgkmcnt(0)
	v_mov_b32_e32 v6, s10
	s_ashr_i32 s1, s0, 31
	s_lshl_b64 s[0:1], s[0:1], 2
	s_add_u32 s5, s2, s0
	s_addc_u32 s7, s3, s1
	s_add_i32 s6, s6, 1
	s_mul_i32 s1, s8, 0x48
	s_mul_i32 s0, s14, s6
	s_lshl_b32 s6, s0, 4
	s_mulk_i32 s0, 0x480
	s_add_i32 s6, s8, s6
	s_add_i32 s1, s1, s0
	s_lshl_b32 s0, s12, 4
	v_add3_u32 v3, s1, v0, 0xfffff700
	s_add_i32 s0, s6, s0
	v_mov_b32_e32 v0, s11
	s_add_i32 s6, s9, -1
	s_sub_i32 s0, s0, 32
.LBB60_3:                               ; =>This Inner Loop Header: Depth=1
	v_ashrrev_i32_e32 v4, 31, v3
	s_ashr_i32 s1, s0, 31
	s_lshl_b64 s[8:9], s[0:1], 3
	s_add_u32 s8, s2, s8
	v_lshlrev_b64 v[7:8], 2, v[3:4]
	s_addc_u32 s9, s3, s9
	v_add_nc_u32_e32 v3, 0xfffffb80, v3
	s_add_i32 s6, s6, -1
	s_add_i32 s0, s0, -16
	s_cmp_le_i32 s6, s4
	v_add_co_u32 v7, vcc_lo, s5, v7
	v_add_co_ci_u32_e64 v8, null, s7, v8, vcc_lo
	s_load_dwordx2 s[8:9], s[8:9], 0x0
	global_load_dword v4, v[7:8], off
	v_max_f32_e32 v7, v0, v0
	s_waitcnt lgkmcnt(0)
	v_max_f32_e64 v8, s8, s8
	v_max_f32_e32 v7, v7, v8
	v_sub_f32_e32 v8, s8, v7
	v_sub_f32_e32 v0, v0, v7
	v_mul_f32_e32 v9, 0x3fb8aa3b, v8
	v_mul_f32_e32 v12, 0x3fb8aa3b, v0
	v_cmp_ngt_f32_e32 vcc_lo, 0xc2ce8ed0, v8
	v_fma_f32 v10, 0x3fb8aa3b, v8, -v9
	v_rndne_f32_e32 v11, v9
	v_fma_f32 v13, 0x3fb8aa3b, v0, -v12
	v_rndne_f32_e32 v14, v12
	v_fmac_f32_e32 v10, 0x32a5705f, v8
	v_sub_f32_e32 v9, v9, v11
	v_fmac_f32_e32 v13, 0x32a5705f, v0
	v_cvt_i32_f32_e32 v11, v11
	v_add_f32_e32 v9, v9, v10
	v_sub_f32_e32 v10, v12, v14
	v_exp_f32_e32 v9, v9
	v_add_f32_e32 v10, v10, v13
	v_exp_f32_e32 v10, v10
	v_ldexp_f32 v9, v9, v11
	v_cvt_i32_f32_e32 v11, v14
	v_cndmask_b32_e32 v9, 0, v9, vcc_lo
	v_cmp_nlt_f32_e32 vcc_lo, 0x42b17218, v8
	v_ldexp_f32 v10, v10, v11
	v_mov_b32_e32 v11, v6
	v_cndmask_b32_e32 v9, 0x7f800000, v9, vcc_lo
	v_cmp_ngt_f32_e32 vcc_lo, 0xc2ce8ed0, v0
	v_cndmask_b32_e32 v10, 0, v10, vcc_lo
	v_cmp_le_f32_e32 vcc_lo, 0xc1a00000, v8
	v_cndmask_b32_e32 v8, 0, v9, vcc_lo
	v_cmp_nlt_f32_e32 vcc_lo, 0x42b17218, v0
	s_waitcnt vmcnt(1)
	v_mov_b32_e32 v9, v5
	v_cndmask_b32_e32 v5, 0x7f800000, v10, vcc_lo
	v_mul_f32_e32 v10, s9, v8
	v_cmp_le_f32_e32 vcc_lo, 0xc1a00000, v0
	v_mov_b32_e32 v0, v7
	v_mov_b32_e32 v6, v10
	v_cndmask_b32_e32 v12, 0, v5, vcc_lo
	v_fmac_f32_e32 v6, v11, v12
	s_waitcnt vmcnt(0)
	v_mul_f32_e32 v5, v4, v8
	v_fmac_f32_e32 v5, v9, v12
	s_cbranch_scc0 .LBB60_3
	s_branch .LBB60_5
.LBB60_4:
	s_waitcnt lgkmcnt(0)
	v_mov_b32_e32 v6, s10
.LBB60_5:
	s_waitcnt vmcnt(0)
	v_div_scale_f32 v0, null, v6, v6, v5
	v_rcp_f32_e32 v3, v0
	v_fma_f32 v4, -v0, v3, 1.0
	v_fmac_f32_e32 v3, v4, v3
	v_div_scale_f32 v4, vcc_lo, v5, v6, v5
	v_mul_f32_e32 v7, v4, v3
	v_fma_f32 v8, -v0, v7, v4
	v_fmac_f32_e32 v7, v8, v3
	v_fma_f32 v0, -v0, v7, v4
	v_div_fmas_f32 v0, v0, v3, v7
	v_div_fixup_f32 v0, v0, v6, v5
	global_store_dword v[1:2], v0, off
.LBB60_6:
	s_endpgm
	.section	.rodata,"a",@progbits
	.p2align	6, 0x0
	.amdhsa_kernel _ZL33flash_attn_stream_k_fixup_uniformILi72ELi16ELi1EEvPfPK15HIP_vector_typeIfLj2EEiiiiiiS1_IjLj3EES5_S5_
		.amdhsa_group_segment_fixed_size 0
		.amdhsa_private_segment_fixed_size 0
		.amdhsa_kernarg_size 76
		.amdhsa_user_sgpr_count 6
		.amdhsa_user_sgpr_private_segment_buffer 1
		.amdhsa_user_sgpr_dispatch_ptr 0
		.amdhsa_user_sgpr_queue_ptr 0
		.amdhsa_user_sgpr_kernarg_segment_ptr 1
		.amdhsa_user_sgpr_dispatch_id 0
		.amdhsa_user_sgpr_flat_scratch_init 0
		.amdhsa_user_sgpr_private_segment_size 0
		.amdhsa_wavefront_size32 1
		.amdhsa_uses_dynamic_stack 0
		.amdhsa_system_sgpr_private_segment_wavefront_offset 0
		.amdhsa_system_sgpr_workgroup_id_x 1
		.amdhsa_system_sgpr_workgroup_id_y 1
		.amdhsa_system_sgpr_workgroup_id_z 1
		.amdhsa_system_sgpr_workgroup_info 0
		.amdhsa_system_vgpr_workitem_id 0
		.amdhsa_next_free_vgpr 15
		.amdhsa_next_free_sgpr 24
		.amdhsa_reserve_vcc 1
		.amdhsa_reserve_flat_scratch 0
		.amdhsa_float_round_mode_32 0
		.amdhsa_float_round_mode_16_64 0
		.amdhsa_float_denorm_mode_32 3
		.amdhsa_float_denorm_mode_16_64 3
		.amdhsa_dx10_clamp 1
		.amdhsa_ieee_mode 1
		.amdhsa_fp16_overflow 0
		.amdhsa_workgroup_processor_mode 1
		.amdhsa_memory_ordered 1
		.amdhsa_forward_progress 1
		.amdhsa_shared_vgpr_count 0
		.amdhsa_exception_fp_ieee_invalid_op 0
		.amdhsa_exception_fp_denorm_src 0
		.amdhsa_exception_fp_ieee_div_zero 0
		.amdhsa_exception_fp_ieee_overflow 0
		.amdhsa_exception_fp_ieee_underflow 0
		.amdhsa_exception_fp_ieee_inexact 0
		.amdhsa_exception_int_div_zero 0
	.end_amdhsa_kernel
	.section	.text._ZL33flash_attn_stream_k_fixup_uniformILi72ELi16ELi1EEvPfPK15HIP_vector_typeIfLj2EEiiiiiiS1_IjLj3EES5_S5_,"axG",@progbits,_ZL33flash_attn_stream_k_fixup_uniformILi72ELi16ELi1EEvPfPK15HIP_vector_typeIfLj2EEiiiiiiS1_IjLj3EES5_S5_,comdat
.Lfunc_end60:
	.size	_ZL33flash_attn_stream_k_fixup_uniformILi72ELi16ELi1EEvPfPK15HIP_vector_typeIfLj2EEiiiiiiS1_IjLj3EES5_S5_, .Lfunc_end60-_ZL33flash_attn_stream_k_fixup_uniformILi72ELi16ELi1EEvPfPK15HIP_vector_typeIfLj2EEiiiiiiS1_IjLj3EES5_S5_
                                        ; -- End function
	.set _ZL33flash_attn_stream_k_fixup_uniformILi72ELi16ELi1EEvPfPK15HIP_vector_typeIfLj2EEiiiiiiS1_IjLj3EES5_S5_.num_vgpr, 15
	.set _ZL33flash_attn_stream_k_fixup_uniformILi72ELi16ELi1EEvPfPK15HIP_vector_typeIfLj2EEiiiiiiS1_IjLj3EES5_S5_.num_agpr, 0
	.set _ZL33flash_attn_stream_k_fixup_uniformILi72ELi16ELi1EEvPfPK15HIP_vector_typeIfLj2EEiiiiiiS1_IjLj3EES5_S5_.numbered_sgpr, 24
	.set _ZL33flash_attn_stream_k_fixup_uniformILi72ELi16ELi1EEvPfPK15HIP_vector_typeIfLj2EEiiiiiiS1_IjLj3EES5_S5_.num_named_barrier, 0
	.set _ZL33flash_attn_stream_k_fixup_uniformILi72ELi16ELi1EEvPfPK15HIP_vector_typeIfLj2EEiiiiiiS1_IjLj3EES5_S5_.private_seg_size, 0
	.set _ZL33flash_attn_stream_k_fixup_uniformILi72ELi16ELi1EEvPfPK15HIP_vector_typeIfLj2EEiiiiiiS1_IjLj3EES5_S5_.uses_vcc, 1
	.set _ZL33flash_attn_stream_k_fixup_uniformILi72ELi16ELi1EEvPfPK15HIP_vector_typeIfLj2EEiiiiiiS1_IjLj3EES5_S5_.uses_flat_scratch, 0
	.set _ZL33flash_attn_stream_k_fixup_uniformILi72ELi16ELi1EEvPfPK15HIP_vector_typeIfLj2EEiiiiiiS1_IjLj3EES5_S5_.has_dyn_sized_stack, 0
	.set _ZL33flash_attn_stream_k_fixup_uniformILi72ELi16ELi1EEvPfPK15HIP_vector_typeIfLj2EEiiiiiiS1_IjLj3EES5_S5_.has_recursion, 0
	.set _ZL33flash_attn_stream_k_fixup_uniformILi72ELi16ELi1EEvPfPK15HIP_vector_typeIfLj2EEiiiiiiS1_IjLj3EES5_S5_.has_indirect_call, 0
	.section	.AMDGPU.csdata,"",@progbits
; Kernel info:
; codeLenInByte = 828
; TotalNumSgprs: 26
; NumVgprs: 15
; ScratchSize: 0
; MemoryBound: 0
; FloatMode: 240
; IeeeMode: 1
; LDSByteSize: 0 bytes/workgroup (compile time only)
; SGPRBlocks: 0
; VGPRBlocks: 1
; NumSGPRsForWavesPerEU: 26
; NumVGPRsForWavesPerEU: 15
; Occupancy: 16
; WaveLimiterHint : 0
; COMPUTE_PGM_RSRC2:SCRATCH_EN: 0
; COMPUTE_PGM_RSRC2:USER_SGPR: 6
; COMPUTE_PGM_RSRC2:TRAP_HANDLER: 0
; COMPUTE_PGM_RSRC2:TGID_X_EN: 1
; COMPUTE_PGM_RSRC2:TGID_Y_EN: 1
; COMPUTE_PGM_RSRC2:TGID_Z_EN: 1
; COMPUTE_PGM_RSRC2:TIDIG_COMP_CNT: 0
	.section	.text._ZL33flash_attn_stream_k_fixup_generalILi72ELi16ELi1EEvPfPK15HIP_vector_typeIfLj2EEiiiiS1_IjLj3EES5_S5_S5_,"axG",@progbits,_ZL33flash_attn_stream_k_fixup_generalILi72ELi16ELi1EEvPfPK15HIP_vector_typeIfLj2EEiiiiS1_IjLj3EES5_S5_S5_,comdat
	.globl	_ZL33flash_attn_stream_k_fixup_generalILi72ELi16ELi1EEvPfPK15HIP_vector_typeIfLj2EEiiiiS1_IjLj3EES5_S5_S5_ ; -- Begin function _ZL33flash_attn_stream_k_fixup_generalILi72ELi16ELi1EEvPfPK15HIP_vector_typeIfLj2EEiiiiS1_IjLj3EES5_S5_S5_
	.p2align	8
	.type	_ZL33flash_attn_stream_k_fixup_generalILi72ELi16ELi1EEvPfPK15HIP_vector_typeIfLj2EEiiiiS1_IjLj3EES5_S5_S5_,@function
_ZL33flash_attn_stream_k_fixup_generalILi72ELi16ELi1EEvPfPK15HIP_vector_typeIfLj2EEiiiiS1_IjLj3EES5_S5_S5_: ; @_ZL33flash_attn_stream_k_fixup_generalILi72ELi16ELi1EEvPfPK15HIP_vector_typeIfLj2EEiiiiS1_IjLj3EES5_S5_S5_
; %bb.0:
	s_clause 0x1
	s_load_dwordx4 s[0:3], s[4:5], 0x10
	s_load_dword s9, s[4:5], 0x50
	s_mov_b32 s16, 0
	s_waitcnt lgkmcnt(0)
	s_mul_hi_i32 s17, s3, s6
	s_mul_i32 s18, s3, s6
	s_cmp_lg_u64 s[16:17], 0
	s_cbranch_scc0 .LBB61_21
; %bb.1:
	s_add_u32 s10, s9, 0
	s_addc_u32 s11, 0, 0
	s_xor_b64 s[10:11], s[10:11], 0
	v_cvt_f32_u32_e32 v1, s10
	v_cvt_f32_u32_e32 v2, s11
	s_sub_u32 s14, 0, s10
	s_subb_u32 s15, 0, s11
	v_fmamk_f32 v1, v2, 0x4f800000, v1
	v_rcp_f32_e32 v1, v1
	v_mul_f32_e32 v1, 0x5f7ffffc, v1
	v_mul_f32_e32 v2, 0x2f800000, v1
	v_trunc_f32_e32 v2, v2
	v_fmamk_f32 v1, v2, 0xcf800000, v1
	v_cvt_u32_f32_e32 v2, v2
	v_cvt_u32_f32_e32 v1, v1
	v_readfirstlane_b32 s12, v2
	v_readfirstlane_b32 s13, v1
	s_mul_i32 s19, s14, s12
	s_mul_hi_u32 s21, s14, s13
	s_mul_i32 s20, s15, s13
	s_add_i32 s19, s21, s19
	s_mul_i32 s22, s14, s13
	s_add_i32 s19, s19, s20
	s_mul_hi_u32 s21, s13, s22
	s_mul_i32 s24, s13, s19
	s_mul_hi_u32 s23, s12, s22
	s_mul_i32 s20, s12, s22
	s_mul_hi_u32 s22, s13, s19
	s_add_u32 s21, s21, s24
	s_addc_u32 s22, 0, s22
	s_mul_hi_u32 s25, s12, s19
	s_add_u32 s20, s21, s20
	s_mul_i32 s19, s12, s19
	s_addc_u32 s20, s22, s23
	s_addc_u32 s21, s25, 0
	s_add_u32 s19, s20, s19
	s_addc_u32 s20, 0, s21
	s_add_u32 s13, s13, s19
	s_cselect_b32 s19, -1, 0
	s_mul_hi_u32 s21, s14, s13
	s_cmp_lg_u32 s19, 0
	s_mul_i32 s19, s14, s13
	s_addc_u32 s12, s12, s20
	s_mul_i32 s15, s15, s13
	s_mul_i32 s14, s14, s12
	s_mul_hi_u32 s20, s13, s19
	s_add_i32 s14, s21, s14
	s_mul_hi_u32 s21, s12, s19
	s_add_i32 s14, s14, s15
	s_mul_i32 s15, s12, s19
	s_mul_i32 s23, s13, s14
	s_mul_hi_u32 s22, s13, s14
	s_add_u32 s20, s20, s23
	s_addc_u32 s22, 0, s22
	s_mul_hi_u32 s19, s12, s14
	s_add_u32 s15, s20, s15
	s_mul_i32 s14, s12, s14
	s_addc_u32 s15, s22, s21
	s_addc_u32 s19, s19, 0
	s_add_u32 s14, s15, s14
	s_addc_u32 s15, 0, s19
	s_add_u32 s19, s13, s14
	s_cselect_b32 s13, -1, 0
	s_cmp_lg_u32 s13, 0
	s_addc_u32 s20, s12, s15
	s_ashr_i32 s12, s17, 31
	s_add_u32 s14, s18, s12
	s_mov_b32 s13, s12
	s_addc_u32 s15, s17, s12
	s_xor_b64 s[14:15], s[14:15], s[12:13]
	s_mul_i32 s21, s14, s20
	s_mul_hi_u32 s22, s14, s19
	s_mul_hi_u32 s17, s14, s20
	;; [unrolled: 1-line block ×3, first 2 shown]
	s_mul_i32 s19, s15, s19
	s_add_u32 s21, s22, s21
	s_addc_u32 s17, 0, s17
	s_mul_hi_u32 s23, s15, s20
	s_add_u32 s19, s21, s19
	s_mul_i32 s20, s15, s20
	s_addc_u32 s17, s17, s24
	s_addc_u32 s19, s23, 0
	s_add_u32 s17, s17, s20
	s_addc_u32 s19, 0, s19
	s_mul_hi_u32 s20, s10, s17
	s_mul_i32 s21, s10, s19
	s_mul_i32 s22, s11, s17
	s_add_i32 s20, s20, s21
	s_mul_i32 s21, s10, s17
	s_add_i32 s20, s20, s22
	s_sub_i32 s22, s15, s20
	s_sub_u32 s14, s14, s21
	s_cselect_b32 s21, -1, 0
	s_cmp_lg_u32 s21, 0
	s_subb_u32 s22, s22, s11
	s_sub_u32 s23, s14, s10
	s_cselect_b32 s24, -1, 0
	s_cmp_lg_u32 s24, 0
	s_subb_u32 s22, s22, 0
	s_cmp_ge_u32 s22, s11
	s_cselect_b32 s24, -1, 0
	s_cmp_ge_u32 s23, s10
	s_cselect_b32 s23, -1, 0
	s_cmp_eq_u32 s22, s11
	s_cselect_b32 s22, s23, s24
	s_add_u32 s23, s17, 1
	s_addc_u32 s24, s19, 0
	s_add_u32 s25, s17, 2
	s_addc_u32 s26, s19, 0
	s_cmp_lg_u32 s22, 0
	s_cselect_b32 s22, s25, s23
	s_cselect_b32 s23, s26, s24
	s_cmp_lg_u32 s21, 0
	s_subb_u32 s15, s15, s20
	s_cmp_ge_u32 s15, s11
	s_cselect_b32 s20, -1, 0
	s_cmp_ge_u32 s14, s10
	s_cselect_b32 s10, -1, 0
	s_cmp_eq_u32 s15, s11
	s_cselect_b32 s10, s10, s20
	s_cmp_lg_u32 s10, 0
	s_cselect_b32 s11, s23, s19
	s_cselect_b32 s10, s22, s17
	s_xor_b64 s[12:13], s[12:13], 0
	s_xor_b64 s[10:11], s[10:11], s[12:13]
	s_sub_u32 s10, s10, s12
	s_load_dwordx4 s[12:15], s[4:5], 0x44
	s_andn2_b32 vcc_lo, exec_lo, s16
	s_cbranch_vccnz .LBB61_3
.LBB61_2:
	v_cvt_f32_u32_e32 v1, s9
	s_sub_i32 s11, 0, s9
	v_rcp_iflag_f32_e32 v1, v1
	v_mul_f32_e32 v1, 0x4f7ffffe, v1
	v_cvt_u32_f32_e32 v1, v1
	v_readfirstlane_b32 s10, v1
	s_mul_i32 s11, s11, s10
	s_mul_hi_u32 s11, s10, s11
	s_add_i32 s10, s10, s11
	s_mul_hi_u32 s10, s18, s10
	s_mul_i32 s11, s10, s9
	s_waitcnt lgkmcnt(0)
	s_add_i32 s15, s10, 1
	s_sub_i32 s11, s18, s11
	s_sub_i32 s16, s11, s9
	s_cmp_ge_u32 s11, s9
	s_cselect_b32 s10, s15, s10
	s_cselect_b32 s11, s16, s11
	s_add_i32 s15, s10, 1
	s_cmp_ge_u32 s11, s9
	s_cselect_b32 s10, s15, s10
.LBB61_3:
	s_add_i32 s11, s6, 1
	s_mov_b32 s16, 0
	s_mul_hi_i32 s17, s3, s11
	s_mul_i32 s11, s3, s11
	s_cmp_lg_u64 s[16:17], 0
	s_cbranch_scc0 .LBB61_22
; %bb.4:
	s_add_u32 s18, s9, 0
	s_addc_u32 s19, 0, 0
	s_xor_b64 s[18:19], s[18:19], 0
	v_cvt_f32_u32_e32 v1, s18
	v_cvt_f32_u32_e32 v2, s19
	s_sub_u32 s21, 0, s18
	s_subb_u32 s22, 0, s19
	v_fmamk_f32 v1, v2, 0x4f800000, v1
	v_rcp_f32_e32 v1, v1
	v_mul_f32_e32 v1, 0x5f7ffffc, v1
	v_mul_f32_e32 v2, 0x2f800000, v1
	v_trunc_f32_e32 v2, v2
	v_fmamk_f32 v1, v2, 0xcf800000, v1
	v_cvt_u32_f32_e32 v2, v2
	v_cvt_u32_f32_e32 v1, v1
	s_waitcnt lgkmcnt(0)
	v_readfirstlane_b32 s15, v2
	v_readfirstlane_b32 s20, v1
	s_mul_i32 s23, s21, s15
	s_mul_hi_u32 s25, s21, s20
	s_mul_i32 s24, s22, s20
	s_add_i32 s23, s25, s23
	s_mul_i32 s26, s21, s20
	s_add_i32 s23, s23, s24
	s_mul_hi_u32 s25, s20, s26
	s_mul_i32 s28, s20, s23
	s_mul_hi_u32 s27, s15, s26
	s_mul_i32 s24, s15, s26
	s_mul_hi_u32 s26, s20, s23
	s_add_u32 s25, s25, s28
	s_addc_u32 s26, 0, s26
	s_mul_hi_u32 s29, s15, s23
	s_add_u32 s24, s25, s24
	s_mul_i32 s23, s15, s23
	s_addc_u32 s24, s26, s27
	s_addc_u32 s25, s29, 0
	s_add_u32 s23, s24, s23
	s_addc_u32 s24, 0, s25
	s_add_u32 s20, s20, s23
	s_cselect_b32 s23, -1, 0
	s_mul_hi_u32 s25, s21, s20
	s_cmp_lg_u32 s23, 0
	s_mul_i32 s23, s21, s20
	s_addc_u32 s15, s15, s24
	s_mul_i32 s22, s22, s20
	s_mul_i32 s21, s21, s15
	s_mul_hi_u32 s24, s20, s23
	s_add_i32 s21, s25, s21
	s_mul_hi_u32 s25, s15, s23
	s_add_i32 s21, s21, s22
	s_mul_i32 s22, s15, s23
	s_mul_i32 s27, s20, s21
	s_mul_hi_u32 s26, s20, s21
	s_add_u32 s24, s24, s27
	s_addc_u32 s26, 0, s26
	s_mul_hi_u32 s23, s15, s21
	s_add_u32 s22, s24, s22
	s_mul_i32 s21, s15, s21
	s_addc_u32 s22, s26, s25
	s_addc_u32 s23, s23, 0
	s_add_u32 s21, s22, s21
	s_addc_u32 s22, 0, s23
	s_add_u32 s24, s20, s21
	s_cselect_b32 s20, -1, 0
	s_cmp_lg_u32 s20, 0
	s_addc_u32 s15, s15, s22
	s_ashr_i32 s20, s17, 31
	s_add_u32 s22, s11, s20
	s_mov_b32 s21, s20
	s_addc_u32 s23, s17, s20
	s_xor_b64 s[22:23], s[22:23], s[20:21]
	s_mul_i32 s25, s22, s15
	s_mul_hi_u32 s26, s22, s24
	s_mul_hi_u32 s17, s22, s15
	s_mul_hi_u32 s28, s23, s24
	s_mul_i32 s24, s23, s24
	s_add_u32 s25, s26, s25
	s_addc_u32 s17, 0, s17
	s_mul_hi_u32 s27, s23, s15
	s_add_u32 s24, s25, s24
	s_mul_i32 s15, s23, s15
	s_addc_u32 s17, s17, s28
	s_addc_u32 s24, s27, 0
	s_add_u32 s15, s17, s15
	s_addc_u32 s17, 0, s24
	s_mul_hi_u32 s24, s18, s15
	s_mul_i32 s25, s18, s17
	s_mul_i32 s26, s19, s15
	s_add_i32 s24, s24, s25
	s_mul_i32 s25, s18, s15
	s_add_i32 s24, s24, s26
	s_sub_i32 s26, s23, s24
	s_sub_u32 s22, s22, s25
	s_cselect_b32 s25, -1, 0
	s_cmp_lg_u32 s25, 0
	s_subb_u32 s26, s26, s19
	s_sub_u32 s27, s22, s18
	s_cselect_b32 s28, -1, 0
	s_cmp_lg_u32 s28, 0
	s_subb_u32 s26, s26, 0
	s_cmp_ge_u32 s26, s19
	s_cselect_b32 s28, -1, 0
	s_cmp_ge_u32 s27, s18
	s_cselect_b32 s27, -1, 0
	s_cmp_eq_u32 s26, s19
	s_cselect_b32 s26, s27, s28
	s_add_u32 s27, s15, 1
	s_addc_u32 s28, s17, 0
	s_add_u32 s29, s15, 2
	s_addc_u32 s30, s17, 0
	s_cmp_lg_u32 s26, 0
	s_cselect_b32 s26, s29, s27
	s_cselect_b32 s27, s30, s28
	s_cmp_lg_u32 s25, 0
	s_subb_u32 s23, s23, s24
	s_cmp_ge_u32 s23, s19
	s_cselect_b32 s24, -1, 0
	s_cmp_ge_u32 s22, s18
	s_cselect_b32 s18, -1, 0
	s_cmp_eq_u32 s23, s19
	s_cselect_b32 s18, s18, s24
	s_cmp_lg_u32 s18, 0
	s_cselect_b32 s19, s27, s17
	s_cselect_b32 s18, s26, s15
	s_xor_b64 s[20:21], s[20:21], 0
	s_xor_b64 s[18:19], s[18:19], s[20:21]
	s_sub_u32 s18, s18, s20
	s_andn2_b32 vcc_lo, exec_lo, s16
	s_cbranch_vccnz .LBB61_6
.LBB61_5:
	v_cvt_f32_u32_e32 v1, s9
	s_sub_i32 s16, 0, s9
	v_rcp_iflag_f32_e32 v1, v1
	v_mul_f32_e32 v1, 0x4f7ffffe, v1
	v_cvt_u32_f32_e32 v1, v1
	s_waitcnt lgkmcnt(0)
	v_readfirstlane_b32 s15, v1
	s_mul_i32 s16, s16, s15
	s_mul_hi_u32 s16, s15, s16
	s_add_i32 s15, s15, s16
	s_mul_hi_u32 s15, s11, s15
	s_mul_i32 s16, s15, s9
	s_sub_i32 s11, s11, s16
	s_add_i32 s16, s15, 1
	s_sub_i32 s17, s11, s9
	s_cmp_ge_u32 s11, s9
	s_cselect_b32 s15, s16, s15
	s_cselect_b32 s11, s17, s11
	s_add_i32 s16, s15, 1
	s_cmp_ge_u32 s11, s9
	s_cselect_b32 s18, s16, s15
.LBB61_6:
	s_cmp_eq_u32 s10, s18
	s_waitcnt lgkmcnt(0)
	s_mul_hi_u32 s11, s10, s12
	s_cselect_b32 s15, -1, 0
	s_add_i32 s11, s11, s10
	s_lshr_b32 s11, s11, s13
	s_mul_i32 s16, s11, s14
	s_cmp_eq_u32 s16, s10
	s_mul_hi_u32 s16, s18, s12
	s_cselect_b32 s17, -1, 0
	s_add_i32 s16, s16, s18
	s_lshr_b32 s16, s16, s13
	s_cmp_eq_u32 s11, s16
	s_mul_i32 s16, s16, s14
	s_cselect_b32 s19, -1, 0
	s_cmp_lg_u32 s16, s18
	s_cselect_b32 s16, -1, 0
	s_or_b32 s15, s15, s17
	s_and_b32 s16, s19, s16
	s_or_b32 s15, s15, s16
	s_and_b32 vcc_lo, exec_lo, s15
	s_cbranch_vccnz .LBB61_24
; %bb.7:
	s_clause 0x1
	s_load_dwordx8 s[20:27], s[4:5], 0x20
	s_load_dword s16, s[4:5], 0x40
	s_waitcnt lgkmcnt(0)
	s_mul_hi_u32 s15, s10, s20
	s_add_i32 s15, s15, s10
	s_lshr_b32 s15, s15, s21
	s_mul_i32 s17, s15, s22
	s_sub_i32 s17, s10, s17
	s_mul_hi_u32 s18, s17, s23
	s_add_i32 s18, s17, s18
	s_lshr_b32 s21, s18, s24
	s_mul_i32 s18, s21, s25
	s_sub_i32 s17, s17, s18
	;; [unrolled: 5-line block ×3, first 2 shown]
	s_mul_hi_u32 s17, s16, s12
	s_add_i32 s16, s16, s17
	s_lshr_b32 s20, s16, s13
	s_lshl_b32 s16, s20, 4
	s_add_i32 s16, s16, s7
	s_cmp_lt_i32 s16, s0
	s_cselect_b32 s16, -1, 0
	s_add_i32 s22, s22, s8
	s_cmp_lt_i32 s22, s2
	s_cselect_b32 s17, -1, 0
	s_and_b32 s16, s16, s17
	s_andn2_b32 vcc_lo, exec_lo, s16
	s_cbranch_vccnz .LBB61_24
; %bb.8:
	s_load_dwordx4 s[16:19], s[4:5], 0x0
	s_mov_b32 s4, 0
	s_lshl_b32 s24, s9, 6
	s_mov_b32 s25, s4
	s_add_i32 s8, s7, s8
	s_lshl_b64 s[24:25], s[24:25], 2
	s_mul_i32 s0, s15, s0
	s_mul_i32 s21, s21, s2
	v_cvt_f32_u32_e32 v3, s9
	v_rcp_iflag_f32_e32 v3, v3
	s_waitcnt lgkmcnt(0)
	s_add_u32 s2, s18, s24
	s_addc_u32 s15, s19, s25
	s_add_i32 s0, s0, s7
	s_add_i32 s5, s22, s21
	s_mul_i32 s0, s0, s1
	s_mul_i32 s1, s1, s20
	s_add_i32 s0, s5, s0
	s_mulk_i32 s1, 0x480
	s_mulk_i32 s0, 0x48
	v_mul_f32_e32 v7, 0x4f7ffffe, v3
	v_add3_u32 v1, s1, s0, v0
	s_lshl_b32 s0, s6, 4
	s_add_i32 s0, s0, s8
	v_ashrrev_i32_e32 v2, 31, v1
	s_ashr_i32 s1, s0, 31
	s_lshl_b64 s[0:1], s[0:1], 3
	v_lshlrev_b64 v[1:2], 2, v[1:2]
	s_add_u32 s0, s18, s0
	s_addc_u32 s1, s19, s1
	s_load_dwordx2 s[0:1], s[0:1], 0x0
	v_add_co_u32 v1, vcc_lo, s16, v1
	v_add_co_ci_u32_e64 v2, null, s17, v2, vcc_lo
	s_add_i32 s17, s6, -1
	v_mad_u64_u32 v[3:4], null, 0x48, s8, v[0:1]
	global_load_dword v5, v[1:2], off
	v_cvt_u32_f32_e32 v0, v7
	s_sub_i32 s16, 0, s9
	s_waitcnt lgkmcnt(0)
	v_mov_b32_e32 v4, s1
	v_mov_b32_e32 v6, s0
.LBB61_9:                               ; =>This Inner Loop Header: Depth=1
	s_mul_hi_i32 s5, s17, s3
	s_mul_i32 s6, s17, s3
	s_cmp_lg_u64 s[4:5], 0
	s_mov_b32 s7, -1
                                        ; implicit-def: $sgpr0_sgpr1
	s_cbranch_scc0 .LBB61_11
; %bb.10:                               ;   in Loop: Header=BB61_9 Depth=1
	s_add_u32 s0, s9, 0
	s_addc_u32 s1, 0, 0
	s_xor_b64 s[0:1], s[0:1], 0
	v_cvt_f32_u32_e32 v7, s0
	v_cvt_f32_u32_e32 v8, s1
	s_sub_u32 s21, 0, s0
	s_subb_u32 s22, 0, s1
	v_fmac_f32_e32 v7, 0x4f800000, v8
	v_rcp_f32_e32 v7, v7
	v_mul_f32_e32 v7, 0x5f7ffffc, v7
	v_mul_f32_e32 v8, 0x2f800000, v7
	v_trunc_f32_e32 v8, v8
	v_fmac_f32_e32 v7, 0xcf800000, v8
	v_cvt_u32_f32_e32 v8, v8
	v_cvt_u32_f32_e32 v7, v7
	v_readfirstlane_b32 s7, v8
	v_readfirstlane_b32 s20, v7
	s_mul_i32 s23, s21, s7
	s_mul_hi_u32 s25, s21, s20
	s_mul_i32 s24, s22, s20
	s_add_i32 s23, s25, s23
	s_mul_i32 s26, s21, s20
	s_add_i32 s23, s23, s24
	s_mul_hi_u32 s25, s20, s26
	s_mul_i32 s28, s20, s23
	s_mul_hi_u32 s27, s7, s26
	s_mul_i32 s24, s7, s26
	s_mul_hi_u32 s26, s20, s23
	s_add_u32 s25, s25, s28
	s_addc_u32 s26, 0, s26
	s_mul_hi_u32 s29, s7, s23
	s_add_u32 s24, s25, s24
	s_mul_i32 s23, s7, s23
	s_addc_u32 s24, s26, s27
	s_addc_u32 s25, s29, 0
	s_add_u32 s23, s24, s23
	s_addc_u32 s24, 0, s25
	s_add_u32 s20, s20, s23
	s_cselect_b32 s23, -1, 0
	s_mul_hi_u32 s25, s21, s20
	s_cmp_lg_u32 s23, 0
	s_mul_i32 s23, s21, s20
	s_addc_u32 s7, s7, s24
	s_mul_i32 s22, s22, s20
	s_mul_i32 s21, s21, s7
	s_mul_hi_u32 s24, s20, s23
	s_add_i32 s21, s25, s21
	s_mul_hi_u32 s25, s7, s23
	s_add_i32 s21, s21, s22
	s_mul_i32 s22, s7, s23
	s_mul_i32 s27, s20, s21
	s_mul_hi_u32 s26, s20, s21
	s_add_u32 s24, s24, s27
	s_addc_u32 s26, 0, s26
	s_mul_hi_u32 s23, s7, s21
	s_add_u32 s22, s24, s22
	s_mul_i32 s21, s7, s21
	s_addc_u32 s22, s26, s25
	s_addc_u32 s23, s23, 0
	s_add_u32 s21, s22, s21
	s_addc_u32 s22, 0, s23
	s_add_u32 s24, s20, s21
	s_cselect_b32 s20, -1, 0
	s_cmp_lg_u32 s20, 0
	s_addc_u32 s7, s7, s22
	s_ashr_i32 s20, s5, 31
	s_add_u32 s22, s6, s20
	s_mov_b32 s21, s20
	s_addc_u32 s23, s5, s20
	s_xor_b64 s[22:23], s[22:23], s[20:21]
	s_mul_i32 s25, s22, s7
	s_mul_hi_u32 s26, s22, s24
	s_mul_hi_u32 s5, s22, s7
	;; [unrolled: 1-line block ×3, first 2 shown]
	s_mul_i32 s24, s23, s24
	s_add_u32 s25, s26, s25
	s_addc_u32 s5, 0, s5
	s_mul_hi_u32 s27, s23, s7
	s_add_u32 s24, s25, s24
	s_mul_i32 s7, s23, s7
	s_addc_u32 s5, s5, s28
	s_addc_u32 s24, s27, 0
	s_add_u32 s5, s5, s7
	s_addc_u32 s7, 0, s24
	s_mul_hi_u32 s24, s0, s5
	s_mul_i32 s25, s0, s7
	s_mul_i32 s26, s1, s5
	s_add_i32 s24, s24, s25
	s_mul_i32 s25, s0, s5
	s_add_i32 s24, s24, s26
	s_sub_i32 s26, s23, s24
	s_sub_u32 s22, s22, s25
	s_cselect_b32 s25, -1, 0
	s_cmp_lg_u32 s25, 0
	s_subb_u32 s26, s26, s1
	s_sub_u32 s27, s22, s0
	s_cselect_b32 s28, -1, 0
	s_cmp_lg_u32 s28, 0
	s_subb_u32 s26, s26, 0
	s_cmp_ge_u32 s26, s1
	s_cselect_b32 s28, -1, 0
	s_cmp_ge_u32 s27, s0
	s_cselect_b32 s27, -1, 0
	s_cmp_eq_u32 s26, s1
	s_cselect_b32 s26, s27, s28
	s_add_u32 s27, s5, 1
	s_addc_u32 s28, s7, 0
	s_add_u32 s29, s5, 2
	s_addc_u32 s30, s7, 0
	s_cmp_lg_u32 s26, 0
	s_cselect_b32 s26, s29, s27
	s_cselect_b32 s27, s30, s28
	s_cmp_lg_u32 s25, 0
	s_subb_u32 s23, s23, s24
	s_cmp_ge_u32 s23, s1
	s_cselect_b32 s24, -1, 0
	s_cmp_ge_u32 s22, s0
	s_cselect_b32 s0, -1, 0
	s_cmp_eq_u32 s23, s1
	s_cselect_b32 s0, s0, s24
	s_cmp_lg_u32 s0, 0
	s_cselect_b32 s1, s27, s7
	s_cselect_b32 s0, s26, s5
	s_xor_b64 s[20:21], s[20:21], 0
	s_mov_b32 s7, 0
	s_xor_b64 s[0:1], s[0:1], s[20:21]
	s_sub_u32 s0, s0, s20
.LBB61_11:                              ;   in Loop: Header=BB61_9 Depth=1
	s_andn2_b32 vcc_lo, exec_lo, s7
	s_cbranch_vccnz .LBB61_13
; %bb.12:                               ;   in Loop: Header=BB61_9 Depth=1
	v_readfirstlane_b32 s0, v0
	s_mul_i32 s1, s16, s0
	s_mul_hi_u32 s1, s0, s1
	s_add_i32 s0, s0, s1
	s_mul_hi_u32 s0, s6, s0
	s_mul_i32 s1, s0, s9
	s_add_i32 s5, s0, 1
	s_sub_i32 s1, s6, s1
	s_sub_i32 s6, s1, s9
	s_cmp_ge_u32 s1, s9
	s_cselect_b32 s0, s5, s0
	s_cselect_b32 s1, s6, s1
	s_add_i32 s5, s0, 1
	s_cmp_ge_u32 s1, s9
	s_cselect_b32 s0, s5, s0
.LBB61_13:                              ;   in Loop: Header=BB61_9 Depth=1
	s_cmp_lg_u32 s10, s0
	s_mov_b32 s6, -1
                                        ; implicit-def: $sgpr5
                                        ; implicit-def: $vgpr8
                                        ; implicit-def: $vgpr7
                                        ; implicit-def: $vgpr9
                                        ; implicit-def: $sgpr1
                                        ; implicit-def: $sgpr20
	s_cbranch_scc0 .LBB61_18
; %bb.14:                               ;   in Loop: Header=BB61_9 Depth=1
	s_add_i32 s1, s17, s9
	s_mov_b32 s7, s4
	s_lshl_b32 s1, s1, 4
	s_mov_b32 s20, s10
	s_add_i32 s6, s1, s8
	s_mul_hi_u32 s1, s0, s12
	s_lshl_b64 s[6:7], s[6:7], 3
	s_add_u32 s6, s18, s6
	s_addc_u32 s7, s19, s7
	s_add_i32 s1, s1, s0
	s_lshr_b32 s1, s1, s13
	s_mul_i32 s5, s1, s14
	s_cmp_eq_u32 s5, s0
	s_cselect_b32 s5, -1, 0
	s_cmp_lt_u32 s1, s11
	s_cselect_b32 s1, -1, 0
	s_or_b32 s1, s1, s5
	s_mov_b32 s5, -1
	s_and_b32 vcc_lo, exec_lo, s1
	s_mov_b32 s1, s17
	s_cbranch_vccnz .LBB61_16
; %bb.15:                               ;   in Loop: Header=BB61_9 Depth=1
	s_add_i32 s1, s17, -1
	s_mov_b32 s5, 0
	s_mov_b32 s20, s0
.LBB61_16:                              ;   in Loop: Header=BB61_9 Depth=1
	v_mad_u64_u32 v[7:8], null, 0x480, s17, v[3:4]
	s_load_dwordx2 s[6:7], s[6:7], 0x0
	v_ashrrev_i32_e32 v8, 31, v7
	v_lshlrev_b64 v[7:8], 2, v[7:8]
	v_add_co_u32 v7, vcc_lo, s2, v7
	v_add_co_ci_u32_e64 v8, null, s15, v8, vcc_lo
	s_waitcnt lgkmcnt(0)
	v_max_f32_e64 v9, s6, s6
	global_load_dword v8, v[7:8], off
	v_max_f32_e32 v7, v6, v6
	v_max_f32_e32 v7, v7, v9
	v_sub_f32_e32 v9, s6, v7
	v_sub_f32_e32 v10, v6, v7
	v_mul_f32_e32 v11, 0x3fb8aa3b, v9
	v_mul_f32_e32 v12, 0x3fb8aa3b, v10
	v_cmp_ngt_f32_e32 vcc_lo, 0xc2ce8ed0, v9
	v_fma_f32 v13, 0x3fb8aa3b, v9, -v11
	v_rndne_f32_e32 v14, v11
	v_fma_f32 v15, 0x3fb8aa3b, v10, -v12
	v_rndne_f32_e32 v16, v12
	v_fmac_f32_e32 v13, 0x32a5705f, v9
	v_sub_f32_e32 v11, v11, v14
	v_fmac_f32_e32 v15, 0x32a5705f, v10
	v_sub_f32_e32 v12, v12, v16
	v_add_f32_e32 v11, v11, v13
	v_cvt_i32_f32_e32 v13, v14
	v_add_f32_e32 v12, v12, v15
	v_cvt_i32_f32_e32 v14, v16
	v_exp_f32_e32 v11, v11
	v_exp_f32_e32 v12, v12
	v_ldexp_f32 v11, v11, v13
	v_ldexp_f32 v12, v12, v14
	v_cndmask_b32_e32 v11, 0, v11, vcc_lo
	v_cmp_ngt_f32_e32 vcc_lo, 0xc2ce8ed0, v10
	v_cndmask_b32_e32 v12, 0, v12, vcc_lo
	v_cmp_nlt_f32_e32 vcc_lo, 0x42b17218, v9
	v_cndmask_b32_e32 v11, 0x7f800000, v11, vcc_lo
	v_cmp_nlt_f32_e32 vcc_lo, 0x42b17218, v10
	v_cndmask_b32_e32 v12, 0x7f800000, v12, vcc_lo
	v_cmp_le_f32_e32 vcc_lo, 0xc1a00000, v9
	v_cndmask_b32_e32 v9, 0, v11, vcc_lo
	v_cmp_le_f32_e32 vcc_lo, 0xc1a00000, v10
	v_cndmask_b32_e32 v10, 0, v12, vcc_lo
	s_waitcnt vmcnt(0)
	v_mul_f32_e32 v8, v8, v9
	v_mul_f32_e32 v9, s7, v9
	v_fmac_f32_e32 v8, v5, v10
	v_fmac_f32_e32 v9, v4, v10
	s_cbranch_execz .LBB61_19
.LBB61_17:                              ;   in Loop: Header=BB61_9 Depth=1
	s_andn2_b32 vcc_lo, exec_lo, s5
	s_cbranch_vccnz .LBB61_20
	s_branch .LBB61_23
.LBB61_18:                              ;   in Loop: Header=BB61_9 Depth=1
	s_andn2_b32 vcc_lo, exec_lo, s6
	s_cbranch_vccnz .LBB61_17
.LBB61_19:                              ;   in Loop: Header=BB61_9 Depth=1
	v_mov_b32_e32 v9, v4
	v_mov_b32_e32 v7, v6
	s_waitcnt vmcnt(0)
	v_mov_b32_e32 v8, v5
	s_add_i32 s1, s17, -1
	s_mov_b32 s20, s10
	s_cbranch_execz .LBB61_23
.LBB61_20:                              ;   in Loop: Header=BB61_9 Depth=1
	v_mov_b32_e32 v4, v9
	v_mov_b32_e32 v6, v7
	s_waitcnt vmcnt(0)
	v_mov_b32_e32 v5, v8
	s_mov_b32 s10, s20
	s_mov_b32 s17, s1
	s_branch .LBB61_9
.LBB61_21:
                                        ; implicit-def: $sgpr10_sgpr11
	s_load_dwordx4 s[12:15], s[4:5], 0x44
	s_branch .LBB61_2
.LBB61_22:
                                        ; implicit-def: $sgpr18_sgpr19
	s_branch .LBB61_5
.LBB61_23:
	v_div_scale_f32 v0, null, v9, v9, v8
	v_rcp_f32_e32 v3, v0
	v_fma_f32 v4, -v0, v3, 1.0
	v_fmac_f32_e32 v3, v4, v3
	v_div_scale_f32 v4, vcc_lo, v8, v9, v8
	s_waitcnt vmcnt(0)
	v_mul_f32_e32 v5, v4, v3
	v_fma_f32 v6, -v0, v5, v4
	v_fmac_f32_e32 v5, v6, v3
	v_fma_f32 v0, -v0, v5, v4
	v_div_fmas_f32 v0, v0, v3, v5
	v_div_fixup_f32 v0, v0, v9, v8
	global_store_dword v[1:2], v0, off
.LBB61_24:
	s_endpgm
	.section	.rodata,"a",@progbits
	.p2align	6, 0x0
	.amdhsa_kernel _ZL33flash_attn_stream_k_fixup_generalILi72ELi16ELi1EEvPfPK15HIP_vector_typeIfLj2EEiiiiS1_IjLj3EES5_S5_S5_
		.amdhsa_group_segment_fixed_size 0
		.amdhsa_private_segment_fixed_size 0
		.amdhsa_kernarg_size 336
		.amdhsa_user_sgpr_count 6
		.amdhsa_user_sgpr_private_segment_buffer 1
		.amdhsa_user_sgpr_dispatch_ptr 0
		.amdhsa_user_sgpr_queue_ptr 0
		.amdhsa_user_sgpr_kernarg_segment_ptr 1
		.amdhsa_user_sgpr_dispatch_id 0
		.amdhsa_user_sgpr_flat_scratch_init 0
		.amdhsa_user_sgpr_private_segment_size 0
		.amdhsa_wavefront_size32 1
		.amdhsa_uses_dynamic_stack 0
		.amdhsa_system_sgpr_private_segment_wavefront_offset 0
		.amdhsa_system_sgpr_workgroup_id_x 1
		.amdhsa_system_sgpr_workgroup_id_y 1
		.amdhsa_system_sgpr_workgroup_id_z 1
		.amdhsa_system_sgpr_workgroup_info 0
		.amdhsa_system_vgpr_workitem_id 0
		.amdhsa_next_free_vgpr 17
		.amdhsa_next_free_sgpr 31
		.amdhsa_reserve_vcc 1
		.amdhsa_reserve_flat_scratch 0
		.amdhsa_float_round_mode_32 0
		.amdhsa_float_round_mode_16_64 0
		.amdhsa_float_denorm_mode_32 3
		.amdhsa_float_denorm_mode_16_64 3
		.amdhsa_dx10_clamp 1
		.amdhsa_ieee_mode 1
		.amdhsa_fp16_overflow 0
		.amdhsa_workgroup_processor_mode 1
		.amdhsa_memory_ordered 1
		.amdhsa_forward_progress 1
		.amdhsa_shared_vgpr_count 0
		.amdhsa_exception_fp_ieee_invalid_op 0
		.amdhsa_exception_fp_denorm_src 0
		.amdhsa_exception_fp_ieee_div_zero 0
		.amdhsa_exception_fp_ieee_overflow 0
		.amdhsa_exception_fp_ieee_underflow 0
		.amdhsa_exception_fp_ieee_inexact 0
		.amdhsa_exception_int_div_zero 0
	.end_amdhsa_kernel
	.section	.text._ZL33flash_attn_stream_k_fixup_generalILi72ELi16ELi1EEvPfPK15HIP_vector_typeIfLj2EEiiiiS1_IjLj3EES5_S5_S5_,"axG",@progbits,_ZL33flash_attn_stream_k_fixup_generalILi72ELi16ELi1EEvPfPK15HIP_vector_typeIfLj2EEiiiiS1_IjLj3EES5_S5_S5_,comdat
.Lfunc_end61:
	.size	_ZL33flash_attn_stream_k_fixup_generalILi72ELi16ELi1EEvPfPK15HIP_vector_typeIfLj2EEiiiiS1_IjLj3EES5_S5_S5_, .Lfunc_end61-_ZL33flash_attn_stream_k_fixup_generalILi72ELi16ELi1EEvPfPK15HIP_vector_typeIfLj2EEiiiiS1_IjLj3EES5_S5_S5_
                                        ; -- End function
	.set _ZL33flash_attn_stream_k_fixup_generalILi72ELi16ELi1EEvPfPK15HIP_vector_typeIfLj2EEiiiiS1_IjLj3EES5_S5_S5_.num_vgpr, 17
	.set _ZL33flash_attn_stream_k_fixup_generalILi72ELi16ELi1EEvPfPK15HIP_vector_typeIfLj2EEiiiiS1_IjLj3EES5_S5_S5_.num_agpr, 0
	.set _ZL33flash_attn_stream_k_fixup_generalILi72ELi16ELi1EEvPfPK15HIP_vector_typeIfLj2EEiiiiS1_IjLj3EES5_S5_S5_.numbered_sgpr, 31
	.set _ZL33flash_attn_stream_k_fixup_generalILi72ELi16ELi1EEvPfPK15HIP_vector_typeIfLj2EEiiiiS1_IjLj3EES5_S5_S5_.num_named_barrier, 0
	.set _ZL33flash_attn_stream_k_fixup_generalILi72ELi16ELi1EEvPfPK15HIP_vector_typeIfLj2EEiiiiS1_IjLj3EES5_S5_S5_.private_seg_size, 0
	.set _ZL33flash_attn_stream_k_fixup_generalILi72ELi16ELi1EEvPfPK15HIP_vector_typeIfLj2EEiiiiS1_IjLj3EES5_S5_S5_.uses_vcc, 1
	.set _ZL33flash_attn_stream_k_fixup_generalILi72ELi16ELi1EEvPfPK15HIP_vector_typeIfLj2EEiiiiS1_IjLj3EES5_S5_S5_.uses_flat_scratch, 0
	.set _ZL33flash_attn_stream_k_fixup_generalILi72ELi16ELi1EEvPfPK15HIP_vector_typeIfLj2EEiiiiS1_IjLj3EES5_S5_S5_.has_dyn_sized_stack, 0
	.set _ZL33flash_attn_stream_k_fixup_generalILi72ELi16ELi1EEvPfPK15HIP_vector_typeIfLj2EEiiiiS1_IjLj3EES5_S5_S5_.has_recursion, 0
	.set _ZL33flash_attn_stream_k_fixup_generalILi72ELi16ELi1EEvPfPK15HIP_vector_typeIfLj2EEiiiiS1_IjLj3EES5_S5_S5_.has_indirect_call, 0
	.section	.AMDGPU.csdata,"",@progbits
; Kernel info:
; codeLenInByte = 2940
; TotalNumSgprs: 33
; NumVgprs: 17
; ScratchSize: 0
; MemoryBound: 0
; FloatMode: 240
; IeeeMode: 1
; LDSByteSize: 0 bytes/workgroup (compile time only)
; SGPRBlocks: 0
; VGPRBlocks: 2
; NumSGPRsForWavesPerEU: 33
; NumVGPRsForWavesPerEU: 17
; Occupancy: 16
; WaveLimiterHint : 0
; COMPUTE_PGM_RSRC2:SCRATCH_EN: 0
; COMPUTE_PGM_RSRC2:USER_SGPR: 6
; COMPUTE_PGM_RSRC2:TRAP_HANDLER: 0
; COMPUTE_PGM_RSRC2:TGID_X_EN: 1
; COMPUTE_PGM_RSRC2:TGID_Y_EN: 1
; COMPUTE_PGM_RSRC2:TGID_Z_EN: 1
; COMPUTE_PGM_RSRC2:TIDIG_COMP_CNT: 0
	.section	.text._ZL15flash_attn_tileILi72ELi72ELi8ELi1ELb0EEvPKcS1_S1_S1_S1_PKiPfP15HIP_vector_typeIfLj2EEffffjfiS5_IjLj3EEiiiiiiiiiiiliiliiiiil,"axG",@progbits,_ZL15flash_attn_tileILi72ELi72ELi8ELi1ELb0EEvPKcS1_S1_S1_S1_PKiPfP15HIP_vector_typeIfLj2EEffffjfiS5_IjLj3EEiiiiiiiiiiiliiliiiiil,comdat
	.globl	_ZL15flash_attn_tileILi72ELi72ELi8ELi1ELb0EEvPKcS1_S1_S1_S1_PKiPfP15HIP_vector_typeIfLj2EEffffjfiS5_IjLj3EEiiiiiiiiiiiliiliiiiil ; -- Begin function _ZL15flash_attn_tileILi72ELi72ELi8ELi1ELb0EEvPKcS1_S1_S1_S1_PKiPfP15HIP_vector_typeIfLj2EEffffjfiS5_IjLj3EEiiiiiiiiiiiliiliiiiil
	.p2align	8
	.type	_ZL15flash_attn_tileILi72ELi72ELi8ELi1ELb0EEvPKcS1_S1_S1_S1_PKiPfP15HIP_vector_typeIfLj2EEffffjfiS5_IjLj3EEiiiiiiiiiiiliiliiiiil,@function
_ZL15flash_attn_tileILi72ELi72ELi8ELi1ELb0EEvPKcS1_S1_S1_S1_PKiPfP15HIP_vector_typeIfLj2EEffffjfiS5_IjLj3EEiiiiiiiiiiiliiliiiiil: ; @_ZL15flash_attn_tileILi72ELi72ELi8ELi1ELb0EEvPKcS1_S1_S1_S1_PKiPfP15HIP_vector_typeIfLj2EEffffjfiS5_IjLj3EEiiiiiiiiiiiliiliiiiil
; %bb.0:
	s_add_u32 s6, s6, s11
	s_addc_u32 s7, s7, 0
	s_setreg_b32 hwreg(HW_REG_FLAT_SCR_LO), s6
	s_setreg_b32 hwreg(HW_REG_FLAT_SCR_HI), s7
	s_clause 0x1
	s_load_dwordx4 s[28:31], s[4:5], 0x5c
	s_load_dwordx2 s[44:45], s[4:5], 0x80
	s_add_u32 s0, s0, s11
	s_addc_u32 s1, s1, 0
	s_mov_b32 s34, s9
	s_mov_b64 s[42:43], 0
	s_waitcnt lgkmcnt(0)
	v_cvt_f32_u32_e32 v2, s31
	s_sub_i32 s7, 0, s31
	v_rcp_iflag_f32_e32 v2, v2
	v_mul_f32_e32 v2, 0x4f7ffffe, v2
	v_cvt_u32_f32_e32 v2, v2
	v_readfirstlane_b32 s6, v2
	s_mul_i32 s7, s7, s6
	s_mul_hi_u32 s7, s6, s7
	s_add_i32 s6, s6, s7
	s_mul_hi_u32 s6, s10, s6
	s_mul_i32 s7, s6, s31
	s_add_i32 s9, s6, 1
	s_sub_i32 s7, s10, s7
	s_sub_i32 s11, s7, s31
	s_cmp_ge_u32 s7, s31
	s_cselect_b32 s6, s9, s6
	s_cselect_b32 s7, s11, s7
	s_add_i32 s9, s6, 1
	s_cmp_ge_u32 s7, s31
	s_cselect_b32 s33, s9, s6
	s_abs_i32 s6, s45
	s_abs_i32 s12, s31
	v_cvt_f32_u32_e32 v2, s6
	s_sub_i32 s9, 0, s6
	s_xor_b32 s11, s31, s45
	s_ashr_i32 s11, s11, 31
	v_rcp_iflag_f32_e32 v2, v2
	v_mul_f32_e32 v2, 0x4f7ffffe, v2
	v_cvt_u32_f32_e32 v2, v2
	v_readfirstlane_b32 s7, v2
	s_mul_i32 s9, s9, s7
	s_mul_hi_u32 s9, s7, s9
	s_add_i32 s7, s7, s9
	s_mul_i32 s9, s33, s31
	s_mul_hi_u32 s7, s12, s7
	s_sub_i32 s40, s10, s9
	s_mul_i32 s13, s7, s6
	s_add_i32 s10, s7, 1
	s_sub_i32 s9, s12, s13
	s_sub_i32 s12, s9, s6
	s_cmp_ge_u32 s9, s6
	s_cselect_b32 s7, s10, s7
	s_cselect_b32 s9, s12, s9
	s_add_i32 s10, s7, 1
	s_cmp_ge_u32 s9, s6
	s_clause 0x1
	s_load_dwordx16 s[12:27], s[4:5], 0x0
	s_load_dwordx2 s[46:47], s[4:5], 0xb8
	s_cselect_b32 s6, s10, s7
	s_xor_b32 s6, s6, s11
	s_sub_i32 s10, s6, s11
	s_abs_i32 s35, s10
	v_cvt_f32_u32_e32 v2, s35
	s_sub_i32 s6, 0, s35
	v_rcp_iflag_f32_e32 v2, v2
	s_waitcnt lgkmcnt(0)
	s_cmp_eq_u64 s[18:19], 0
	v_mul_f32_e32 v2, 0x4f7ffffe, v2
	v_cvt_u32_f32_e32 v2, v2
	v_readfirstlane_b32 s11, v2
	s_mul_i32 s6, s6, s11
	s_mul_hi_u32 s6, s11, s6
	s_cbranch_scc1 .LBB62_2
; %bb.1:
	s_abs_i32 s7, s46
	s_abs_i32 s38, s33
	v_cvt_f32_u32_e32 v2, s7
	s_sub_i32 s36, 0, s7
	v_rcp_iflag_f32_e32 v2, v2
	v_mul_f32_e32 v2, 0x4f7ffffe, v2
	v_cvt_u32_f32_e32 v2, v2
	v_readfirstlane_b32 s9, v2
	s_mul_i32 s36, s36, s9
	s_mul_hi_u32 s36, s9, s36
	s_add_i32 s9, s9, s36
	s_load_dwordx2 s[36:37], s[4:5], 0xc8
	s_mul_hi_u32 s9, s38, s9
	s_mul_i32 s9, s9, s7
	s_sub_i32 s9, s38, s9
	s_ashr_i32 s38, s33, 31
	s_sub_i32 s39, s9, s7
	s_cmp_ge_u32 s9, s7
	s_cselect_b32 s9, s39, s9
	s_sub_i32 s39, s9, s7
	s_cmp_ge_u32 s9, s7
	s_cselect_b32 s7, s39, s9
	s_xor_b32 s7, s7, s38
	s_sub_i32 s7, s7, s38
	s_ashr_i32 s9, s7, 31
	s_waitcnt lgkmcnt(0)
	s_mul_hi_u32 s38, s36, s7
	s_mul_i32 s9, s36, s9
	s_mul_i32 s37, s37, s7
	s_add_i32 s9, s38, s9
	s_mul_i32 s7, s36, s7
	s_add_i32 s9, s9, s37
	s_add_u32 s42, s18, s7
	s_addc_u32 s43, s19, s9
.LBB62_2:
	s_clause 0x1
	s_load_dwordx4 s[36:39], s[4:5], 0x40
	s_load_dword s7, s[4:5], 0x50
	v_mov_b32_e32 v15, 1.0
	s_add_i32 s11, s11, s6
	s_waitcnt lgkmcnt(0)
	v_cmp_le_f32_e64 s9, s37, 0
	s_abs_i32 s37, s40
	s_and_b32 vcc_lo, exec_lo, s9
	s_cbranch_vccnz .LBB62_4
; %bb.3:
	v_sub_co_u32 v3, vcc_lo, s40, s7
	v_mov_b32_e32 v2, s38
	s_add_i32 s6, s40, 1
	v_lshlrev_b32_e32 v3, 1, v3
	v_cndmask_b32_e32 v2, s39, v2, vcc_lo
	v_or_b32_e32 v3, 1, v3
	v_cndmask_b32_e64 v3, v3, s6, vcc_lo
	v_cmp_neq_f32_e32 vcc_lo, 1.0, v2
	s_mov_b32 s6, 0x3e76c4e1
	v_cvt_f32_i32_e32 v3, v3
	v_cndmask_b32_e32 v4, 1.0, v3, vcc_lo
	v_cmp_neq_f32_e32 vcc_lo, 0, v4
	v_cndmask_b32_e32 v5, 1.0, v2, vcc_lo
	v_frexp_mant_f32_e64 v2, |v5|
	v_cmp_eq_f32_e64 s9, 0, v5
	v_cmp_gt_f32_e32 vcc_lo, 0x3f2aaaab, v2
	v_cndmask_b32_e64 v3, 1.0, 2.0, vcc_lo
	v_mul_f32_e32 v2, v2, v3
	v_add_f32_e32 v3, 1.0, v2
	v_add_f32_e32 v7, -1.0, v2
	v_rcp_f32_e32 v6, v3
	v_add_f32_e32 v9, -1.0, v3
	v_sub_f32_e32 v2, v2, v9
	v_mul_f32_e32 v8, v7, v6
	v_mul_f32_e32 v10, v3, v8
	v_fma_f32 v3, v8, v3, -v10
	v_fmac_f32_e32 v3, v8, v2
	v_add_f32_e32 v2, v10, v3
	v_sub_f32_e32 v9, v7, v2
	v_sub_f32_e32 v10, v2, v10
	;; [unrolled: 1-line block ×5, first 2 shown]
	v_add_f32_e32 v2, v3, v2
	v_add_f32_e32 v2, v9, v2
	v_mul_f32_e32 v2, v6, v2
	v_add_f32_e32 v6, v8, v2
	v_sub_f32_e32 v3, v6, v8
	v_mul_f32_e32 v7, v6, v6
	v_sub_f32_e32 v8, v2, v3
	v_fma_f32 v2, v6, v6, -v7
	v_add_f32_e32 v3, v8, v8
	v_fmac_f32_e32 v2, v6, v3
	v_add_f32_e32 v9, v7, v2
	v_fmaak_f32 v3, s6, v9, 0x3e91f4c4
	v_sub_f32_e32 v7, v9, v7
	v_mul_f32_e32 v14, v6, v9
	v_fmaak_f32 v3, v9, v3, 0x3ecccdef
	v_sub_f32_e32 v7, v2, v7
	v_fma_f32 v15, v9, v6, -v14
	v_mul_f32_e32 v10, v9, v3
	v_fmac_f32_e32 v15, v9, v8
	v_ldexp_f32 v8, v8, 1
	v_fma_f32 v11, v9, v3, -v10
	v_fmac_f32_e32 v15, v7, v6
	v_fmac_f32_e32 v11, v7, v3
	v_cvt_f64_f32_e64 v[2:3], |v5|
	v_add_f32_e32 v12, v10, v11
	v_sub_f32_e32 v10, v12, v10
	v_add_f32_e32 v13, 0x3f2aaaaa, v12
	v_sub_f32_e32 v10, v11, v10
	v_add_f32_e32 v11, 0xbf2aaaaa, v13
	v_add_f32_e32 v10, 0x31739010, v10
	v_sub_f32_e32 v11, v12, v11
	v_frexp_exp_i32_f64_e32 v2, v[2:3]
	v_add_f32_e32 v9, v10, v11
	v_add_f32_e32 v10, v14, v15
	;; [unrolled: 1-line block ×3, first 2 shown]
	v_sub_f32_e32 v12, v10, v14
	v_sub_f32_e32 v3, v13, v7
	v_mul_f32_e32 v11, v10, v7
	v_sub_f32_e32 v12, v15, v12
	v_add_f32_e32 v3, v9, v3
	v_fma_f32 v9, v10, v7, -v11
	v_subrev_co_ci_u32_e64 v2, null, 0, v2, vcc_lo
	v_fmac_f32_e32 v9, v10, v3
	v_ldexp_f32 v3, v6, 1
	v_cvt_f32_i32_e32 v2, v2
	v_fmac_f32_e32 v9, v12, v7
	v_add_f32_e32 v6, v11, v9
	v_add_f32_e32 v7, v3, v6
	v_sub_f32_e32 v10, v6, v11
	v_mul_f32_e32 v11, 0x3f317218, v2
	v_sub_f32_e32 v3, v7, v3
	v_sub_f32_e32 v9, v9, v10
	v_fma_f32 v10, 0x3f317218, v2, -v11
	v_sub_f32_e32 v3, v6, v3
	v_add_f32_e32 v6, v8, v9
	v_fmamk_f32 v2, v2, 0xb102e308, v10
	v_add_f32_e32 v3, v6, v3
	v_add_f32_e32 v6, v11, v2
	;; [unrolled: 1-line block ×3, first 2 shown]
	v_sub_f32_e32 v11, v6, v11
	v_add_f32_e32 v9, v6, v8
	v_sub_f32_e32 v7, v8, v7
	v_sub_f32_e32 v2, v2, v11
	;; [unrolled: 1-line block ×6, first 2 shown]
	v_add_f32_e32 v8, v2, v3
	v_sub_f32_e32 v6, v6, v12
	v_add_f32_e32 v6, v7, v6
	v_sub_f32_e32 v7, v8, v2
	;; [unrolled: 2-line block ×3, first 2 shown]
	v_sub_f32_e32 v3, v3, v7
	v_add_f32_e32 v10, v9, v6
	v_sub_f32_e32 v2, v2, v8
	v_sub_f32_e32 v7, v10, v9
	v_add_f32_e32 v2, v3, v2
	v_sub_f32_e32 v3, v6, v7
	v_add_f32_e32 v2, v2, v3
	v_add_f32_e32 v3, v10, v2
	v_sub_f32_e32 v6, v3, v10
	v_mul_f32_e32 v7, v4, v3
	v_sub_f32_e32 v2, v2, v6
	v_fma_f32 v3, v4, v3, -v7
	v_cmp_class_f32_e64 vcc_lo, v7, 0x204
	v_fmac_f32_e32 v3, v4, v2
	v_add_f32_e32 v2, v7, v3
	v_cndmask_b32_e32 v6, v2, v7, vcc_lo
	v_sub_f32_e32 v2, v2, v7
	v_cmp_eq_f32_e32 vcc_lo, 0x42b17218, v6
	v_sub_f32_e32 v2, v3, v2
	v_cndmask_b32_e64 v8, 0, 0x37000000, vcc_lo
	v_cmp_neq_f32_e64 vcc_lo, 0x7f800000, |v6|
	v_sub_f32_e32 v9, v6, v8
	v_cndmask_b32_e32 v2, 0, v2, vcc_lo
	v_trunc_f32_e32 v6, v4
	v_mul_f32_e32 v10, 0x3fb8aa3b, v9
	v_cmp_ngt_f32_e32 vcc_lo, 0xc2ce8ed0, v9
	v_add_f32_e32 v2, v8, v2
	v_fma_f32 v11, 0x3fb8aa3b, v9, -v10
	v_rndne_f32_e32 v12, v10
	v_fmamk_f32 v11, v9, 0x32a5705f, v11
	v_sub_f32_e32 v10, v10, v12
	v_cvt_i32_f32_e32 v7, v12
	v_add_f32_e32 v10, v10, v11
	v_exp_f32_e32 v10, v10
	v_ldexp_f32 v3, v10, v7
	v_mul_f32_e32 v7, 0.5, v4
	v_cndmask_b32_e32 v3, 0, v3, vcc_lo
	v_cmp_nlt_f32_e32 vcc_lo, 0x42b17218, v9
	v_trunc_f32_e32 v10, v7
	v_cndmask_b32_e32 v3, 0x7f800000, v3, vcc_lo
	v_cmp_eq_f32_e32 vcc_lo, v6, v4
	v_cmp_neq_f32_e64 s6, v10, v7
	v_fma_f32 v2, v3, v2, v3
	v_cmp_class_f32_e64 s7, v3, 0x204
	s_and_b32 s6, vcc_lo, s6
	v_cndmask_b32_e64 v6, 1.0, v5, s6
	v_cndmask_b32_e64 v2, v2, v3, s7
	v_cmp_gt_f32_e64 s7, 0, v4
	v_bfi_b32 v2, 0x7fffffff, v2, v6
	s_xor_b32 s7, s7, s9
	v_cndmask_b32_e64 v6, 0, v5, s6
	v_cndmask_b32_e64 v3, 0x7f800000, 0, s7
	v_cmp_class_f32_e64 s6, v5, 0x204
	v_cndmask_b32_e32 v4, 0x7fc00000, v2, vcc_lo
	v_cmp_gt_f32_e32 vcc_lo, 0, v5
	v_bfi_b32 v3, 0x7fffffff, v3, v6
	v_cndmask_b32_e32 v2, v2, v4, vcc_lo
	s_or_b32 vcc_lo, s9, s6
	v_cndmask_b32_e32 v2, v2, v3, vcc_lo
	v_cmp_o_f32_e32 vcc_lo, v5, v5
	v_cndmask_b32_e32 v15, 0x7fc00000, v2, vcc_lo
.LBB62_4:
	s_lshl_b32 s7, s8, 3
	s_movk_i32 s9, 0x90
	v_cmp_gt_u32_e64 s6, 18, v0
	v_mad_u32_u24 v18, v1, s9, 0x14e0
	v_lshlrev_b32_e32 v12, 3, v0
	v_add_nc_u32_e32 v2, s7, v1
	s_mul_hi_u32 s7, s37, s11
	s_and_saveexec_b32 s9, s6
	s_cbranch_execz .LBB62_6
; %bb.5:
	v_mul_hi_u32 v3, s28, v2
	s_load_dwordx4 s[48:51], s[4:5], 0x70
	v_add_nc_u32_e32 v7, v18, v12
	v_add_nc_u32_e32 v3, v2, v3
	v_lshrrev_b32_e32 v3, s29, v3
	v_mul_lo_u32 v3, v3, s30
	s_waitcnt lgkmcnt(0)
	s_mul_i32 s11, s33, s50
	s_mul_i32 s18, s40, s49
	s_ashr_i32 s19, s11, 31
	s_add_u32 s11, s12, s11
	s_addc_u32 s12, s13, s19
	s_ashr_i32 s13, s18, 31
	s_add_u32 s11, s11, s18
	v_sub_nc_u32_e32 v5, v2, v3
	s_addc_u32 s18, s12, s13
	s_ashr_i32 s49, s48, 31
	s_lshr_b64 s[12:13], s[48:49], 2
	v_mad_u64_u32 v[3:4], null, s12, v5, 0
	s_lshr_b32 s12, s49, 2
	v_mad_u64_u32 v[4:5], null, s12, v5, v[4:5]
	v_lshlrev_b32_e32 v5, 4, v0
	v_lshlrev_b64 v[3:4], 2, v[3:4]
	v_add_co_u32 v3, vcc_lo, s11, v3
	v_add_co_ci_u32_e64 v4, null, s18, v4, vcc_lo
	v_add_co_u32 v3, vcc_lo, v3, v5
	v_add_co_ci_u32_e64 v4, null, 0, v4, vcc_lo
	global_load_dwordx4 v[3:6], v[3:4], off
	s_waitcnt vmcnt(0)
	v_fma_mixlo_f16 v4, s36, v4, 0
	v_fma_mixlo_f16 v3, s36, v3, 0
	;; [unrolled: 1-line block ×4, first 2 shown]
	v_lshlrev_b32_e32 v4, 16, v4
	v_and_b32_e32 v3, 0xffff, v3
	v_and_b32_e32 v5, 0xffff, v5
	v_lshlrev_b32_e32 v6, 16, v6
	v_or_b32_e32 v3, v4, v3
	v_or3_b32 v4, v6, v5, 0
	v_or3_b32 v3, 0, 0, v3
	ds_write_b64 v7, v[3:4]
.LBB62_6:
	s_or_b32 exec_lo, exec_lo, s9
	s_ashr_i32 s41, s40, 31
	s_ashr_i32 s12, s10, 31
	s_cmp_eq_u64 s[22:23], 0
	s_waitcnt lgkmcnt(0)
	s_barrier
	buffer_gl0_inv
	s_cbranch_scc1 .LBB62_8
; %bb.7:
	s_load_dword s9, s[4:5], 0xd0
	s_waitcnt lgkmcnt(0)
	s_mul_i32 s9, s9, s33
	s_add_i32 s8, s9, s8
	s_mov_b32 s9, 0
	s_lshl_b64 s[8:9], s[8:9], 2
	s_add_u32 s8, s22, s8
	s_addc_u32 s9, s23, s9
	s_load_dword s44, s[8:9], 0x0
.LBB62_8:
	s_clause 0x2
	s_load_dwordx2 s[22:23], s[4:5], 0x8c
	s_load_dwordx4 s[8:11], s[4:5], 0x98
	s_load_dwordx2 s[38:39], s[4:5], 0xa8
	s_ashr_i32 s13, s33, 31
	s_ashr_i32 s18, s47, 1
	s_mul_i32 s36, s7, s35
	v_lshl_add_u32 v17, v1, 5, v0
	v_lshrrev_b32_e32 v23, 3, v0
	v_lshlrev_b32_e32 v22, 2, v0
	v_mul_u32_u24_e32 v21, 0xa0, v0
	v_lshl_add_u32 v14, v1, 6, 0x1960
	v_mbcnt_lo_u32_b32 v13, -1, 0
	s_waitcnt lgkmcnt(0)
	s_ashr_i32 s19, s22, 2
	s_mul_hi_u32 s22, s8, s33
	s_mul_i32 s45, s8, s13
	s_mul_i32 s9, s9, s33
	s_add_i32 s22, s22, s45
	s_mul_i32 s8, s8, s33
	s_ashr_i32 s10, s10, 2
	s_add_i32 s22, s22, s9
	s_add_u32 s8, s14, s8
	s_addc_u32 s9, s15, s22
	s_sub_i32 s14, s37, s36
	s_xor_b32 s12, s41, s12
	s_add_i32 s15, s7, 1
	s_sub_i32 s22, s14, s35
	s_cmp_ge_u32 s14, s35
	s_mul_i32 s13, s38, s13
	s_cselect_b32 s7, s15, s7
	s_cselect_b32 s14, s22, s14
	s_add_i32 s15, s7, 1
	s_cmp_ge_u32 s14, s35
	s_mul_hi_u32 s22, s38, s33
	s_cselect_b32 s7, s15, s7
	s_xor_b32 s7, s7, s12
	s_sub_i32 s7, s7, s12
	s_mul_i32 s12, s39, s33
	s_mul_i32 s14, s7, s23
	;; [unrolled: 1-line block ×3, first 2 shown]
	s_ashr_i32 s15, s14, 31
	s_add_u32 s14, s8, s14
	s_addc_u32 s15, s9, s15
	s_add_i32 s8, s22, s13
	s_mul_i32 s7, s7, s11
	s_add_i32 s8, s8, s12
	s_add_u32 s9, s16, s23
	s_addc_u32 s8, s17, s8
	s_ashr_i32 s12, s7, 31
	s_add_u32 s11, s9, s7
	s_addc_u32 s12, s8, s12
	s_lshl_b32 s13, s34, 5
	s_sub_i32 s16, s44, 32
	s_cmp_ge_i32 s13, s16
	s_cbranch_scc1 .LBB62_19
; %bb.9:
	v_mul_hi_u32 v4, s28, v2
	v_lshl_add_u32 v7, v1, 2, v23
	v_and_b32_e32 v6, 28, v22
	v_mul_lo_u32 v3, s19, v17
	v_mul_lo_u32 v9, s10, v17
	v_mbcnt_lo_u32_b32 v25, -1, 0
	v_mul_lo_u32 v5, s19, v7
	v_mul_lo_u32 v19, s10, v7
	v_add_nc_u32_e32 v4, v2, v4
	v_lshlrev_b32_e32 v8, 2, v6
	v_lshlrev_b32_e32 v28, 2, v6
	s_movk_i32 s8, 0x80
	v_ashrrev_i32_e32 v10, 31, v9
	v_lshrrev_b32_e32 v4, s29, v4
	v_mad_u32_u24 v29, 0xa0, v7, v8
	v_mad_u32_u24 v30, 0x90, v7, v8
	v_ashrrev_i32_e32 v6, 31, v5
	v_ashrrev_i32_e32 v20, 31, v19
	v_mul_lo_u32 v11, v4, s30
	v_ashrrev_i32_e32 v4, 31, v3
	s_movk_i32 s9, 0x90
	v_lshlrev_b64 v[5:6], 2, v[5:6]
	v_cmp_gt_u32_e64 s7, 32, v17
	v_mov_b32_e32 v16, 0
	v_lshlrev_b64 v[3:4], 2, v[3:4]
	s_cmp_lg_u64 s[42:43], 0
	v_sub_nc_u32_e32 v7, v2, v11
	v_mov_b32_e32 v40, 0xfeffffff
	v_mad_u32_u24 v26, 0xa0, v17, s8
	v_mad_u32_u24 v27, v17, s9, 0x80
	v_xor_b32_e32 v31, 16, v25
	v_mad_u64_u32 v[7:8], null, v7, s18, v[0:1]
	v_lshlrev_b64 v[8:9], 2, v[9:10]
	v_lshlrev_b64 v[10:11], 2, v[19:20]
	v_xor_b32_e32 v32, 8, v25
	v_xor_b32_e32 v33, 4, v25
	;; [unrolled: 1-line block ×4, first 2 shown]
	v_mov_b32_e32 v36, 0x10001
	v_add_nc_u32_e32 v37, 0x800, v12
	v_add_nc_u32_e32 v38, 0x1000, v12
	v_mov_b32_e32 v19, 0
	v_mov_b32_e32 v39, 0
	s_cselect_b32 s17, -1, 0
	s_add_u32 s8, s4, 0xd0
	s_addc_u32 s9, s5, 0
.LBB62_10:                              ; =>This Inner Loop Header: Depth=1
	s_mul_hi_i32 s23, s13, s19
	s_mul_i32 s22, s13, s19
	s_lshl_b64 s[22:23], s[22:23], 2
	s_add_u32 s22, s14, s22
	s_addc_u32 s23, s15, s23
	s_and_saveexec_b32 s35, s7
	s_cbranch_execz .LBB62_12
; %bb.11:                               ;   in Loop: Header=BB62_10 Depth=1
	v_add_co_u32 v41, vcc_lo, s22, v3
	v_add_co_ci_u32_e64 v42, null, s23, v4, vcc_lo
	global_load_dwordx4 v[41:44], v[41:42], off offset:128
	s_waitcnt vmcnt(0)
	ds_write_b128 v26, v[41:44]
.LBB62_12:                              ;   in Loop: Header=BB62_10 Depth=1
	s_or_b32 exec_lo, exec_lo, s35
	v_add_co_u32 v20, vcc_lo, s22, v5
	v_add_co_ci_u32_e64 v24, null, s23, v6, vcc_lo
	v_add_co_u32 v41, vcc_lo, v20, v28
	v_add_co_ci_u32_e64 v42, null, 0, v24, vcc_lo
	v_mov_b32_e32 v20, 0
	s_andn2_b32 vcc_lo, exec_lo, s17
	global_load_dwordx4 v[41:44], v[41:42], off
	s_waitcnt vmcnt(0)
	ds_write_b128 v29, v[41:44]
	s_waitcnt lgkmcnt(0)
	s_barrier
	buffer_gl0_inv
	ds_read_b128 v[41:44], v21
	ds_read_b128 v[45:48], v18
	s_waitcnt lgkmcnt(0)
	;;#ASMSTART
	v_dot2_f32_f16 v20, v41, v45, v20
	;;#ASMEND
	;;#ASMSTART
	v_dot2_f32_f16 v20, v42, v46, v20
	;;#ASMEND
	;;#ASMSTART
	v_dot2_f32_f16 v20, v43, v47, v20
	;;#ASMEND
	;;#ASMSTART
	v_dot2_f32_f16 v20, v44, v48, v20
	;;#ASMEND
	ds_read_b128 v[41:44], v21 offset:16
	ds_read_b128 v[45:48], v18 offset:16
	s_waitcnt lgkmcnt(0)
	;;#ASMSTART
	v_dot2_f32_f16 v20, v41, v45, v20
	;;#ASMEND
	;;#ASMSTART
	v_dot2_f32_f16 v20, v42, v46, v20
	;;#ASMEND
	;;#ASMSTART
	v_dot2_f32_f16 v20, v43, v47, v20
	;;#ASMEND
	;;#ASMSTART
	v_dot2_f32_f16 v20, v44, v48, v20
	;;#ASMEND
	ds_read_b128 v[41:44], v21 offset:32
	ds_read_b128 v[45:48], v18 offset:32
	;; [unrolled: 15-line block ×8, first 2 shown]
	s_waitcnt lgkmcnt(0)
	;;#ASMSTART
	v_dot2_f32_f16 v20, v41, v45, v20
	;;#ASMEND
	;;#ASMSTART
	v_dot2_f32_f16 v20, v42, v46, v20
	;;#ASMEND
	;; [unrolled: 3-line block ×4, first 2 shown]
	s_cbranch_vccnz .LBB62_14
; %bb.13:                               ;   in Loop: Header=BB62_10 Depth=1
	v_add_nc_u32_e32 v41, s13, v7
	v_ashrrev_i32_e32 v42, 31, v41
	v_lshlrev_b64 v[41:42], 1, v[41:42]
	v_add_co_u32 v41, vcc_lo, s42, v41
	v_add_co_ci_u32_e64 v42, null, s43, v42, vcc_lo
	global_load_ushort v24, v[41:42], off
	s_waitcnt vmcnt(0)
	v_cvt_f32_f16_e32 v24, v24
	v_mul_f32_e32 v24, v15, v24
	s_branch .LBB62_15
.LBB62_14:                              ;   in Loop: Header=BB62_10 Depth=1
	v_mov_b32_e32 v24, 0
.LBB62_15:                              ;   in Loop: Header=BB62_10 Depth=1
	v_add_f32_e32 v20, v20, v24
	v_cmp_gt_i32_e32 vcc_lo, 32, v31
	v_max_f32_e32 v41, v40, v40
	s_mul_hi_i32 s23, s13, s10
	s_mul_i32 s22, s13, s10
	v_add_f32_e32 v42, 0x40051340, v20
	v_cndmask_b32_e32 v24, v25, v31, vcc_lo
	v_cmp_gt_i32_e32 vcc_lo, 32, v32
	s_lshl_b64 s[22:23], s[22:23], 2
	v_max_f32_e32 v41, v41, v42
	v_lshlrev_b32_e32 v24, 2, v24
	v_cndmask_b32_e32 v42, v25, v32, vcc_lo
	v_cmp_gt_i32_e32 vcc_lo, 32, v33
	s_add_u32 s22, s11, s22
	s_addc_u32 s23, s12, s23
	ds_bpermute_b32 v24, v24, v41
	v_lshlrev_b32_e32 v42, 2, v42
	s_barrier
	s_waitcnt lgkmcnt(0)
	buffer_gl0_inv
	v_max_f32_e32 v24, v24, v24
	v_max_f32_e32 v24, v41, v24
	ds_bpermute_b32 v41, v42, v24
	v_cndmask_b32_e32 v42, v25, v33, vcc_lo
	v_cmp_gt_i32_e32 vcc_lo, 32, v34
	v_lshlrev_b32_e32 v42, 2, v42
	s_waitcnt lgkmcnt(0)
	v_max_f32_e32 v41, v41, v41
	v_max_f32_e32 v24, v24, v41
	ds_bpermute_b32 v41, v42, v24
	v_cndmask_b32_e32 v42, v25, v34, vcc_lo
	v_cmp_gt_i32_e32 vcc_lo, 32, v35
	v_lshlrev_b32_e32 v42, 2, v42
	s_waitcnt lgkmcnt(0)
	v_max_f32_e32 v41, v41, v41
	v_max_f32_e32 v24, v24, v41
	ds_bpermute_b32 v41, v42, v24
	v_cndmask_b32_e32 v42, v25, v35, vcc_lo
	v_lshlrev_b32_e32 v42, 2, v42
	s_waitcnt lgkmcnt(0)
	v_max_f32_e32 v41, v41, v41
	v_max_f32_e32 v24, v24, v41
	ds_bpermute_b32 v41, v42, v24
	s_waitcnt lgkmcnt(0)
	v_max_f32_e32 v41, v41, v41
	v_max_f32_e32 v24, v24, v41
	v_sub_f32_e32 v20, v20, v24
	v_mul_f32_e32 v41, 0x3fb8aa3b, v20
	v_cmp_ngt_f32_e32 vcc_lo, 0xc2ce8ed0, v20
	v_fma_f32 v42, 0x3fb8aa3b, v20, -v41
	v_rndne_f32_e32 v43, v41
	v_fmac_f32_e32 v42, 0x32a5705f, v20
	v_sub_f32_e32 v41, v41, v43
	v_add_f32_e32 v41, v41, v42
	v_cvt_i32_f32_e32 v42, v43
	v_exp_f32_e32 v41, v41
	v_ldexp_f32 v41, v41, v42
	v_lshl_add_u32 v42, v0, 1, v14
	v_cndmask_b32_e32 v41, 0, v41, vcc_lo
	v_cmp_nlt_f32_e32 vcc_lo, 0x42b17218, v20
	v_cndmask_b32_e32 v20, 0x7f800000, v41, vcc_lo
	v_cvt_f16_f32_e32 v41, v20
	ds_write_b16 v42, v41
	s_and_saveexec_b32 s35, s7
	s_cbranch_execz .LBB62_17
; %bb.16:                               ;   in Loop: Header=BB62_10 Depth=1
	v_add_co_u32 v41, vcc_lo, s22, v8
	v_add_co_ci_u32_e64 v42, null, s23, v9, vcc_lo
	global_load_dwordx4 v[41:44], v[41:42], off offset:128
	s_waitcnt vmcnt(0)
	ds_write_b128 v27, v[41:44]
.LBB62_17:                              ;   in Loop: Header=BB62_10 Depth=1
	s_or_b32 exec_lo, exec_lo, s35
	v_add_co_u32 v41, vcc_lo, s22, v10
	v_add_co_ci_u32_e64 v42, null, s23, v11, vcc_lo
	v_sub_f32_e32 v48, v40, v24
	v_add_co_u32 v41, vcc_lo, v41, v28
	v_add_co_ci_u32_e64 v42, null, 0, v42, vcc_lo
	v_mul_f32_e32 v40, 0x3fb8aa3b, v48
	v_cmp_ngt_f32_e32 vcc_lo, 0xc2ce8ed0, v48
	global_load_dwordx4 v[41:44], v[41:42], off
	v_fma_f32 v45, 0x3fb8aa3b, v48, -v40
	v_rndne_f32_e32 v46, v40
	v_fmac_f32_e32 v45, 0x32a5705f, v48
	v_sub_f32_e32 v40, v40, v46
	v_cvt_i32_f32_e32 v46, v46
	v_add_f32_e32 v40, v40, v45
	v_exp_f32_e32 v45, v40
	v_ldexp_f32 v49, v45, v46
	v_cndmask_b32_e32 v49, 0, v49, vcc_lo
	v_cmp_nlt_f32_e32 vcc_lo, 0x42b17218, v48
	v_cndmask_b32_e32 v60, 0x7f800000, v49, vcc_lo
	v_cvt_f16_f32_e32 v56, v60
	v_fmac_f32_e32 v20, v39, v60
	v_mul_u32_u24_sdwa v61, v56, v36 dst_sel:DWORD dst_unused:UNUSED_PAD src0_sel:WORD_0 src1_sel:DWORD
	s_waitcnt vmcnt(0)
	ds_write_b128 v30, v[41:44]
	s_waitcnt lgkmcnt(0)
	s_barrier
	buffer_gl0_inv
	ds_read_b128 v[40:43], v14
	ds_read2_b64 v[44:47], v12 offset1:18
	ds_read_b128 v[48:51], v14 offset:16
	ds_read2_b64 v[52:55], v12 offset0:36 offset1:54
	s_waitcnt lgkmcnt(3)
	v_mul_u32_u24_sdwa v57, v40, v36 dst_sel:DWORD dst_unused:UNUSED_PAD src0_sel:WORD_0 src1_sel:DWORD
	v_mul_u32_u24_sdwa v40, v40, v36 dst_sel:DWORD dst_unused:UNUSED_PAD src0_sel:WORD_1 src1_sel:DWORD
	s_waitcnt lgkmcnt(2)
	v_pk_mul_f16 v44, v44, v57
	v_pk_mul_f16 v45, v45, v57
	ds_read2_b64 v[56:59], v12 offset0:72 offset1:90
	v_pk_fma_f16 v16, v16, v61, v44
	v_pk_fma_f16 v19, v19, v61, v45
	v_mul_u32_u24_sdwa v61, v41, v36 dst_sel:DWORD dst_unused:UNUSED_PAD src0_sel:WORD_0 src1_sel:DWORD
	v_pk_fma_f16 v16, v46, v40, v16
	v_pk_fma_f16 v19, v47, v40, v19
	ds_read2_b64 v[44:47], v12 offset0:108 offset1:126
	v_mul_u32_u24_sdwa v40, v41, v36 dst_sel:DWORD dst_unused:UNUSED_PAD src0_sel:WORD_1 src1_sel:DWORD
	v_mul_u32_u24_sdwa v41, v42, v36 dst_sel:DWORD dst_unused:UNUSED_PAD src0_sel:WORD_0 src1_sel:DWORD
	s_waitcnt lgkmcnt(2)
	v_pk_fma_f16 v16, v52, v61, v16
	v_pk_fma_f16 v19, v53, v61, v19
	v_mul_u32_u24_sdwa v61, v51, v36 dst_sel:DWORD dst_unused:UNUSED_PAD src0_sel:WORD_1 src1_sel:DWORD
	v_pk_fma_f16 v16, v54, v40, v16
	v_pk_fma_f16 v19, v55, v40, v19
	ds_read2_b64 v[52:55], v12 offset0:144 offset1:162
	v_mul_u32_u24_sdwa v40, v42, v36 dst_sel:DWORD dst_unused:UNUSED_PAD src0_sel:WORD_1 src1_sel:DWORD
	s_waitcnt lgkmcnt(2)
	v_pk_fma_f16 v16, v56, v41, v16
	v_pk_fma_f16 v19, v57, v41, v19
	v_mul_u32_u24_sdwa v41, v43, v36 dst_sel:DWORD dst_unused:UNUSED_PAD src0_sel:WORD_0 src1_sel:DWORD
	v_pk_fma_f16 v16, v58, v40, v16
	v_pk_fma_f16 v19, v59, v40, v19
	ds_read2_b64 v[56:59], v12 offset0:180 offset1:198
	v_mul_u32_u24_sdwa v40, v43, v36 dst_sel:DWORD dst_unused:UNUSED_PAD src0_sel:WORD_1 src1_sel:DWORD
	s_waitcnt lgkmcnt(2)
	v_pk_fma_f16 v16, v44, v41, v16
	v_pk_fma_f16 v19, v45, v41, v19
	v_mul_u32_u24_sdwa v44, v48, v36 dst_sel:DWORD dst_unused:UNUSED_PAD src0_sel:WORD_0 src1_sel:DWORD
	v_mul_u32_u24_sdwa v45, v48, v36 dst_sel:DWORD dst_unused:UNUSED_PAD src0_sel:WORD_1 src1_sel:DWORD
	v_mul_u32_u24_sdwa v48, v49, v36 dst_sel:DWORD dst_unused:UNUSED_PAD src0_sel:WORD_0 src1_sel:DWORD
	v_pk_fma_f16 v16, v46, v40, v16
	v_pk_fma_f16 v19, v47, v40, v19
	ds_read2_b64 v[40:43], v12 offset0:216 offset1:234
	v_mul_u32_u24_sdwa v49, v49, v36 dst_sel:DWORD dst_unused:UNUSED_PAD src0_sel:WORD_1 src1_sel:DWORD
	s_waitcnt lgkmcnt(2)
	v_pk_fma_f16 v16, v52, v44, v16
	v_pk_fma_f16 v19, v53, v44, v19
	v_add_nc_u32_e32 v44, 0x400, v12
	v_pk_fma_f16 v16, v54, v45, v16
	v_pk_fma_f16 v19, v55, v45, v19
	ds_read2_b64 v[44:47], v44 offset0:124 offset1:142
	ds_read_b128 v[52:55], v14 offset:32
	s_waitcnt lgkmcnt(3)
	v_pk_fma_f16 v16, v56, v48, v16
	v_pk_fma_f16 v19, v57, v48, v19
	v_mul_u32_u24_sdwa v48, v50, v36 dst_sel:DWORD dst_unused:UNUSED_PAD src0_sel:WORD_0 src1_sel:DWORD
	v_pk_fma_f16 v16, v58, v49, v16
	v_pk_fma_f16 v19, v59, v49, v19
	ds_read2_b64 v[56:59], v37 offset0:32 offset1:50
	v_mul_u32_u24_sdwa v49, v50, v36 dst_sel:DWORD dst_unused:UNUSED_PAD src0_sel:WORD_1 src1_sel:DWORD
	s_waitcnt lgkmcnt(3)
	v_pk_fma_f16 v16, v40, v48, v16
	v_pk_fma_f16 v19, v41, v48, v19
	v_mul_u32_u24_sdwa v48, v51, v36 dst_sel:DWORD dst_unused:UNUSED_PAD src0_sel:WORD_0 src1_sel:DWORD
	v_pk_fma_f16 v16, v42, v49, v16
	v_pk_fma_f16 v19, v43, v49, v19
	ds_read2_b64 v[40:43], v37 offset0:68 offset1:86
	s_waitcnt lgkmcnt(3)
	v_pk_fma_f16 v16, v44, v48, v16
	v_pk_fma_f16 v19, v45, v48, v19
	ds_read_b128 v[48:51], v14 offset:48
	s_waitcnt lgkmcnt(3)
	v_mul_u32_u24_sdwa v62, v52, v36 dst_sel:DWORD dst_unused:UNUSED_PAD src0_sel:WORD_0 src1_sel:DWORD
	v_mul_u32_u24_sdwa v52, v52, v36 dst_sel:DWORD dst_unused:UNUSED_PAD src0_sel:WORD_1 src1_sel:DWORD
	v_pk_fma_f16 v16, v46, v61, v16
	v_pk_fma_f16 v19, v47, v61, v19
	ds_read2_b64 v[44:47], v37 offset0:104 offset1:122
	v_mul_u32_u24_sdwa v61, v53, v36 dst_sel:DWORD dst_unused:UNUSED_PAD src0_sel:WORD_0 src1_sel:DWORD
	s_waitcnt lgkmcnt(3)
	v_pk_fma_f16 v16, v56, v62, v16
	v_pk_fma_f16 v19, v57, v62, v19
	;; [unrolled: 1-line block ×4, first 2 shown]
	ds_read2_b64 v[56:59], v37 offset0:140 offset1:158
	v_mul_u32_u24_sdwa v52, v53, v36 dst_sel:DWORD dst_unused:UNUSED_PAD src0_sel:WORD_1 src1_sel:DWORD
	v_mul_u32_u24_sdwa v53, v54, v36 dst_sel:DWORD dst_unused:UNUSED_PAD src0_sel:WORD_0 src1_sel:DWORD
	s_waitcnt lgkmcnt(3)
	v_pk_fma_f16 v16, v40, v61, v16
	v_pk_fma_f16 v19, v41, v61, v19
	v_pk_fma_f16 v16, v42, v52, v16
	v_pk_fma_f16 v19, v43, v52, v19
	ds_read2_b64 v[40:43], v37 offset0:176 offset1:194
	v_mul_u32_u24_sdwa v52, v54, v36 dst_sel:DWORD dst_unused:UNUSED_PAD src0_sel:WORD_1 src1_sel:DWORD
	s_waitcnt lgkmcnt(2)
	v_pk_fma_f16 v16, v44, v53, v16
	v_pk_fma_f16 v19, v45, v53, v19
	v_mul_u32_u24_sdwa v53, v55, v36 dst_sel:DWORD dst_unused:UNUSED_PAD src0_sel:WORD_0 src1_sel:DWORD
	v_pk_fma_f16 v16, v46, v52, v16
	v_pk_fma_f16 v19, v47, v52, v19
	ds_read2_b64 v[44:47], v37 offset0:212 offset1:230
	v_mul_u32_u24_sdwa v52, v55, v36 dst_sel:DWORD dst_unused:UNUSED_PAD src0_sel:WORD_1 src1_sel:DWORD
	s_waitcnt lgkmcnt(2)
	v_pk_fma_f16 v16, v56, v53, v16
	v_pk_fma_f16 v19, v57, v53, v19
	v_add_nc_u32_e32 v53, 0xc00, v12
	v_mul_u32_u24_sdwa v56, v48, v36 dst_sel:DWORD dst_unused:UNUSED_PAD src0_sel:WORD_0 src1_sel:DWORD
	v_mul_u32_u24_sdwa v48, v48, v36 dst_sel:DWORD dst_unused:UNUSED_PAD src0_sel:WORD_1 src1_sel:DWORD
	v_pk_fma_f16 v16, v58, v52, v16
	v_pk_fma_f16 v19, v59, v52, v19
	ds_read2_b64 v[52:55], v53 offset0:120 offset1:138
	s_waitcnt lgkmcnt(2)
	v_pk_fma_f16 v16, v40, v56, v16
	v_pk_fma_f16 v19, v41, v56, v19
	v_mul_u32_u24_sdwa v40, v49, v36 dst_sel:DWORD dst_unused:UNUSED_PAD src0_sel:WORD_0 src1_sel:DWORD
	ds_read2_b64 v[56:59], v38 offset0:28 offset1:46
	v_mul_u32_u24_sdwa v41, v49, v36 dst_sel:DWORD dst_unused:UNUSED_PAD src0_sel:WORD_1 src1_sel:DWORD
	v_pk_fma_f16 v16, v42, v48, v16
	v_pk_fma_f16 v19, v43, v48, v19
	s_waitcnt lgkmcnt(0)
	s_barrier
	buffer_gl0_inv
	v_pk_fma_f16 v16, v44, v40, v16
	v_pk_fma_f16 v19, v45, v40, v19
	s_load_dword s22, s[8:9], 0x4
	v_mul_u32_u24_sdwa v40, v50, v36 dst_sel:DWORD dst_unused:UNUSED_PAD src0_sel:WORD_0 src1_sel:DWORD
	v_pk_fma_f16 v16, v46, v41, v16
	v_pk_fma_f16 v19, v47, v41, v19
	v_mul_u32_u24_sdwa v41, v50, v36 dst_sel:DWORD dst_unused:UNUSED_PAD src0_sel:WORD_1 src1_sel:DWORD
	v_pk_fma_f16 v16, v52, v40, v16
	v_pk_fma_f16 v19, v53, v40, v19
	v_mul_u32_u24_sdwa v40, v51, v36 dst_sel:DWORD dst_unused:UNUSED_PAD src0_sel:WORD_0 src1_sel:DWORD
	v_pk_fma_f16 v16, v54, v41, v16
	v_pk_fma_f16 v19, v55, v41, v19
	v_mul_u32_u24_sdwa v41, v51, v36 dst_sel:DWORD dst_unused:UNUSED_PAD src0_sel:WORD_1 src1_sel:DWORD
	v_pk_fma_f16 v16, v56, v40, v16
	v_pk_fma_f16 v19, v57, v40, v19
	s_waitcnt lgkmcnt(0)
	s_lshl_b32 s22, s22, 5
	s_add_i32 s13, s22, s13
	v_pk_fma_f16 v16, v58, v41, v16
	v_pk_fma_f16 v19, v59, v41, v19
	s_cmp_lt_i32 s13, s16
	s_cbranch_scc0 .LBB62_20
; %bb.18:                               ;   in Loop: Header=BB62_10 Depth=1
	v_mov_b32_e32 v40, v24
	v_mov_b32_e32 v39, v20
	s_branch .LBB62_10
.LBB62_19:
	v_mov_b32_e32 v19, 0
	v_mov_b32_e32 v20, 0
	;; [unrolled: 1-line block ×4, first 2 shown]
.LBB62_20:
	s_cmp_gt_i32 s44, s13
	s_cbranch_scc1 .LBB62_23
; %bb.21:
	v_mbcnt_lo_u32_b32 v10, -1, 0
	v_mov_b32_e32 v9, 32
	v_xor_b32_e32 v4, 16, v10
	v_xor_b32_e32 v5, 8, v10
	v_xor_b32_e32 v6, 4, v10
	v_xor_b32_e32 v7, 2, v10
	v_xor_b32_e32 v8, 1, v10
	s_cbranch_execz .LBB62_24
; %bb.22:
	v_mov_b32_e32 v3, v24
	v_mov_b32_e32 v13, v10
	s_branch .LBB62_33
.LBB62_23:
                                        ; implicit-def: $vgpr10
                                        ; implicit-def: $vgpr9
                                        ; implicit-def: $vgpr4
                                        ; implicit-def: $vgpr5
                                        ; implicit-def: $vgpr6
                                        ; implicit-def: $vgpr7
                                        ; implicit-def: $vgpr8
.LBB62_24:
	s_mul_hi_i32 s9, s13, s19
	s_mul_i32 s8, s13, s19
	s_sub_i32 s16, s44, s13
	s_lshl_b64 s[22:23], s[8:9], 2
	v_cmp_gt_u32_e64 s8, 32, v17
	s_add_u32 s9, s14, s22
	s_addc_u32 s14, s15, s23
	v_cmp_gt_i32_e32 vcc_lo, s16, v17
	s_and_saveexec_b32 s15, s8
	s_cbranch_execz .LBB62_26
; %bb.25:
	v_mul_lo_u32 v3, s19, v17
	s_mov_b64 s[22:23], src_private_base
	v_mov_b32_e32 v5, 0
	v_mul_u32_u24_e32 v7, 0xa0, v17
	buffer_store_dword v5, off, s[0:3], 0
	buffer_store_dword v5, off, s[0:3], 0 offset:4
	buffer_store_dword v5, off, s[0:3], 0 offset:8
	buffer_store_dword v5, off, s[0:3], 0 offset:12
	v_ashrrev_i32_e32 v4, 31, v3
	v_lshlrev_b64 v[3:4], 2, v[3:4]
	v_add_co_u32 v3, s7, s9, v3
	v_add_co_ci_u32_e64 v4, null, s14, v4, s7
	v_add_co_u32 v3, s7, 0x80, v3
	v_add_co_ci_u32_e64 v4, null, 0, v4, s7
	v_cndmask_b32_e32 v3, 0, v3, vcc_lo
	v_cndmask_b32_e32 v4, s23, v4, vcc_lo
	flat_load_dwordx4 v[3:6], v[3:4]
	s_waitcnt vmcnt(0) lgkmcnt(0)
	ds_write_b128 v7, v[3:6] offset:128
.LBB62_26:
	s_or_b32 exec_lo, exec_lo, s15
	v_lshl_add_u32 v1, v1, 2, v23
	v_and_b32_e32 v5, 28, v22
	s_mov_b64 s[22:23], src_private_base
	v_mov_b32_e32 v9, 0
	v_mul_lo_u32 v3, s19, v1
	v_lshlrev_b32_e32 v10, 2, v5
	v_mad_u32_u24 v8, 0xa0, v1, v10
	v_ashrrev_i32_e32 v4, 31, v3
	v_lshlrev_b64 v[3:4], 2, v[3:4]
	v_add_co_u32 v3, s7, s9, v3
	v_add_co_ci_u32_e64 v4, null, s14, v4, s7
	s_mov_b32 s14, exec_lo
	v_add_co_u32 v6, s7, v3, v10
	v_add_co_ci_u32_e64 v4, null, 0, v4, s7
	v_cmp_gt_i32_e64 s7, s16, v1
	v_mov_b32_e32 v3, 0
	buffer_store_dword v3, off, s[0:3], 0
	buffer_store_dword v3, off, s[0:3], 0 offset:4
	buffer_store_dword v3, off, s[0:3], 0 offset:8
	;; [unrolled: 1-line block ×3, first 2 shown]
	v_cndmask_b32_e64 v5, s23, v4, s7
	v_cndmask_b32_e64 v4, 0, v6, s7
	flat_load_dwordx4 v[4:7], v[4:5]
	s_waitcnt vmcnt(0) lgkmcnt(0)
	ds_write_b128 v8, v[4:7]
	s_waitcnt lgkmcnt(0)
	s_waitcnt_vscnt null, 0x0
	s_barrier
	buffer_gl0_inv
	ds_read_b128 v[4:7], v21
	ds_read_b128 v[25:28], v18
	s_waitcnt lgkmcnt(0)
	;;#ASMSTART
	v_dot2_f32_f16 v9, v4, v25, v9
	;;#ASMEND
	;;#ASMSTART
	v_dot2_f32_f16 v9, v5, v26, v9
	;;#ASMEND
	;;#ASMSTART
	v_dot2_f32_f16 v9, v6, v27, v9
	;;#ASMEND
	;;#ASMSTART
	v_dot2_f32_f16 v9, v7, v28, v9
	;;#ASMEND
	ds_read_b128 v[4:7], v21 offset:16
	ds_read_b128 v[25:28], v18 offset:16
	s_waitcnt lgkmcnt(0)
	;;#ASMSTART
	v_dot2_f32_f16 v9, v4, v25, v9
	;;#ASMEND
	;;#ASMSTART
	v_dot2_f32_f16 v9, v5, v26, v9
	;;#ASMEND
	;;#ASMSTART
	v_dot2_f32_f16 v9, v6, v27, v9
	;;#ASMEND
	;;#ASMSTART
	v_dot2_f32_f16 v9, v7, v28, v9
	;;#ASMEND
	ds_read_b128 v[4:7], v21 offset:32
	ds_read_b128 v[25:28], v18 offset:32
	;; [unrolled: 15-line block ×8, first 2 shown]
	v_mov_b32_e32 v6, v24
	s_waitcnt lgkmcnt(0)
	;;#ASMSTART
	v_dot2_f32_f16 v9, v25, v29, v9
	;;#ASMEND
	;;#ASMSTART
	v_dot2_f32_f16 v9, v26, v30, v9
	;;#ASMEND
	;; [unrolled: 3-line block ×4, first 2 shown]
	v_cmpx_gt_i32_e64 s16, v0
	s_cbranch_execz .LBB62_30
; %bb.27:
	s_cmp_eq_u64 s[42:43], 0
	s_cbranch_scc1 .LBB62_29
; %bb.28:
	v_mul_hi_u32 v3, s28, v2
	v_add_nc_u32_e32 v3, v2, v3
	v_lshrrev_b32_e32 v3, s29, v3
	v_mul_lo_u32 v3, v3, s30
	v_sub_nc_u32_e32 v3, v2, v3
	v_mul_lo_u32 v3, v3, s18
	v_add3_u32 v3, v3, v0, s13
	v_ashrrev_i32_e32 v4, 31, v3
	v_lshlrev_b64 v[3:4], 1, v[3:4]
	v_add_co_u32 v3, s9, s42, v3
	v_add_co_ci_u32_e64 v4, null, s43, v4, s9
	global_load_ushort v3, v[3:4], off
	s_waitcnt vmcnt(0)
	v_cvt_f32_f16_e32 v3, v3
	v_mul_f32_e32 v3, v15, v3
.LBB62_29:
	v_add_f32_e32 v9, v9, v3
	v_max_f32_e32 v4, v24, v24
	v_add_f32_e32 v3, 0x40051340, v9
	v_max_f32_e32 v6, v4, v3
.LBB62_30:
	s_or_b32 exec_lo, exec_lo, s14
	v_xor_b32_e32 v4, 16, v13
	v_xor_b32_e32 v5, 8, v13
	s_mul_hi_i32 s15, s13, s10
	s_mul_i32 s14, s13, s10
	v_cmp_gt_i32_e64 s9, 32, v4
	s_lshl_b64 s[14:15], s[14:15], 2
	s_barrier
	buffer_gl0_inv
	v_cndmask_b32_e64 v3, v13, v4, s9
	v_cmp_gt_i32_e64 s9, 32, v5
	v_lshlrev_b32_e32 v3, 2, v3
	v_cndmask_b32_e64 v7, v13, v5, s9
	ds_bpermute_b32 v3, v3, v6
	v_max_f32_e32 v6, v6, v6
	v_lshlrev_b32_e32 v7, 2, v7
	s_waitcnt lgkmcnt(0)
	v_max_f32_e32 v3, v3, v3
	v_max_f32_e32 v3, v6, v3
	v_xor_b32_e32 v6, 4, v13
	ds_bpermute_b32 v7, v7, v3
	v_cmp_gt_i32_e64 s9, 32, v6
	v_cndmask_b32_e64 v8, v13, v6, s9
	v_lshlrev_b32_e32 v8, 2, v8
	s_waitcnt lgkmcnt(0)
	v_max_f32_e32 v7, v7, v7
	v_max_f32_e32 v3, v3, v7
	v_xor_b32_e32 v7, 2, v13
	ds_bpermute_b32 v8, v8, v3
	v_cmp_gt_i32_e64 s9, 32, v7
	v_cndmask_b32_e64 v11, v13, v7, s9
	;; [unrolled: 8-line block ×3, first 2 shown]
	v_lshlrev_b32_e32 v15, 2, v15
	s_waitcnt lgkmcnt(0)
	v_max_f32_e32 v11, v11, v11
	v_max_f32_e32 v3, v3, v11
	ds_bpermute_b32 v11, v15, v3
	s_waitcnt lgkmcnt(0)
	v_max_f32_e32 v11, v11, v11
	v_max_f32_e32 v3, v3, v11
	v_sub_f32_e32 v9, v9, v3
	v_mul_f32_e32 v11, 0x3fb8aa3b, v9
	v_cmp_ngt_f32_e64 s9, 0xc2ce8ed0, v9
	v_fma_f32 v15, 0x3fb8aa3b, v9, -v11
	v_rndne_f32_e32 v18, v11
	v_fmac_f32_e32 v15, 0x32a5705f, v9
	v_sub_f32_e32 v11, v11, v18
	v_add_f32_e32 v11, v11, v15
	v_cvt_i32_f32_e32 v15, v18
	v_lshl_add_u32 v18, v0, 1, v14
	v_exp_f32_e32 v11, v11
	v_ldexp_f32 v11, v11, v15
	v_cndmask_b32_e64 v11, 0, v11, s9
	v_cmp_nlt_f32_e64 s9, 0x42b17218, v9
	v_mov_b32_e32 v9, 32
	v_cndmask_b32_e64 v11, 0x7f800000, v11, s9
	v_cmp_gt_u32_e64 s9, s16, v0
	v_cndmask_b32_e64 v11, 0, v11, s9
	s_add_u32 s9, s11, s14
	s_addc_u32 s11, s12, s15
	v_cvt_f16_f32_e32 v15, v11
	ds_write_b16 v18, v15
	s_and_saveexec_b32 s12, s8
	s_cbranch_execz .LBB62_32
; %bb.31:
	v_mul_lo_u32 v21, s10, v17
	s_mov_b64 s[14:15], src_private_base
	v_mov_b32_e32 v23, 0
	buffer_store_dword v23, off, s[0:3], 0
	buffer_store_dword v23, off, s[0:3], 0 offset:4
	buffer_store_dword v23, off, s[0:3], 0 offset:8
	;; [unrolled: 1-line block ×3, first 2 shown]
	v_ashrrev_i32_e32 v22, 31, v21
	v_lshlrev_b64 v[21:22], 2, v[21:22]
	v_add_co_u32 v15, s8, s9, v21
	v_add_co_ci_u32_e64 v18, null, s11, v22, s8
	v_add_co_u32 v15, s8, 0x80, v15
	v_add_co_ci_u32_e64 v18, null, 0, v18, s8
	v_cndmask_b32_e32 v21, 0, v15, vcc_lo
	v_mul_u32_u24_e32 v15, 0x90, v17
	v_cndmask_b32_e32 v22, s15, v18, vcc_lo
	flat_load_dwordx4 v[25:28], v[21:22]
	s_waitcnt vmcnt(0) lgkmcnt(0)
	ds_write_b128 v15, v[25:28] offset:128
.LBB62_32:
	s_or_b32 exec_lo, exec_lo, s12
	v_mul_lo_u32 v17, s10, v1
	s_mov_b64 s[12:13], src_private_base
	v_mov_b32_e32 v21, 0
	v_mad_u32_u24 v1, 0x90, v1, v10
	buffer_store_dword v21, off, s[0:3], 0
	buffer_store_dword v21, off, s[0:3], 0 offset:4
	buffer_store_dword v21, off, s[0:3], 0 offset:8
	;; [unrolled: 1-line block ×3, first 2 shown]
	v_ashrrev_i32_e32 v18, 31, v17
	v_lshlrev_b64 v[17:18], 2, v[17:18]
	v_add_co_u32 v15, vcc_lo, s9, v17
	v_add_co_ci_u32_e64 v17, null, s11, v18, vcc_lo
	v_add_co_u32 v15, vcc_lo, v15, v10
	v_add_co_ci_u32_e64 v17, null, 0, v17, vcc_lo
	v_cndmask_b32_e64 v18, s13, v17, s7
	v_cndmask_b32_e64 v17, 0, v15, s7
	v_sub_f32_e32 v15, v24, v3
	flat_load_dwordx4 v[25:28], v[17:18]
	v_mul_f32_e32 v17, 0x3fb8aa3b, v15
	v_cmp_ngt_f32_e32 vcc_lo, 0xc2ce8ed0, v15
	v_fma_f32 v18, 0x3fb8aa3b, v15, -v17
	v_rndne_f32_e32 v21, v17
	v_fmac_f32_e32 v18, 0x32a5705f, v15
	v_sub_f32_e32 v17, v17, v21
	v_add_f32_e32 v17, v17, v18
	v_exp_f32_e32 v10, v17
	v_cvt_i32_f32_e32 v17, v21
	s_waitcnt vmcnt(0) lgkmcnt(0)
	ds_write_b128 v1, v[25:28]
	s_waitcnt lgkmcnt(0)
	s_waitcnt_vscnt null, 0x0
	s_barrier
	buffer_gl0_inv
	ds_read_b128 v[21:24], v14
	v_ldexp_f32 v1, v10, v17
	ds_read2_b64 v[25:28], v12 offset1:18
	v_mov_b32_e32 v10, 0x10001
	ds_read_b128 v[29:32], v14 offset:16
	ds_read2_b64 v[33:36], v12 offset0:36 offset1:54
	ds_read2_b64 v[37:40], v12 offset0:72 offset1:90
	v_cndmask_b32_e32 v1, 0, v1, vcc_lo
	v_cmp_nlt_f32_e32 vcc_lo, 0x42b17218, v15
	v_cndmask_b32_e32 v1, 0x7f800000, v1, vcc_lo
	v_cvt_f16_f32_e32 v15, v1
	v_fmac_f32_e32 v11, v20, v1
	s_waitcnt lgkmcnt(4)
	v_mul_u32_u24_sdwa v17, v21, v10 dst_sel:DWORD dst_unused:UNUSED_PAD src0_sel:WORD_0 src1_sel:DWORD
	v_mul_u32_u24_sdwa v21, v21, v10 dst_sel:DWORD dst_unused:UNUSED_PAD src0_sel:WORD_1 src1_sel:DWORD
	v_mul_u32_u24_sdwa v15, v15, v10 dst_sel:DWORD dst_unused:UNUSED_PAD src0_sel:WORD_0 src1_sel:DWORD
	v_mov_b32_e32 v20, v11
	s_waitcnt lgkmcnt(3)
	v_pk_mul_f16 v18, v25, v17
	v_pk_mul_f16 v17, v26, v17
	v_pk_fma_f16 v16, v16, v15, v18
	v_pk_fma_f16 v15, v19, v15, v17
	v_mul_u32_u24_sdwa v19, v22, v10 dst_sel:DWORD dst_unused:UNUSED_PAD src0_sel:WORD_0 src1_sel:DWORD
	v_mul_u32_u24_sdwa v22, v22, v10 dst_sel:DWORD dst_unused:UNUSED_PAD src0_sel:WORD_1 src1_sel:DWORD
	v_pk_fma_f16 v25, v27, v21, v16
	v_pk_fma_f16 v21, v28, v21, v15
	ds_read2_b64 v[15:18], v12 offset0:108 offset1:126
	s_waitcnt lgkmcnt(2)
	v_pk_fma_f16 v25, v33, v19, v25
	v_pk_fma_f16 v19, v34, v19, v21
	v_mul_u32_u24_sdwa v21, v23, v10 dst_sel:DWORD dst_unused:UNUSED_PAD src0_sel:WORD_0 src1_sel:DWORD
	v_pk_fma_f16 v33, v35, v22, v25
	v_pk_fma_f16 v19, v36, v22, v19
	ds_read2_b64 v[25:28], v12 offset0:144 offset1:162
	v_mul_u32_u24_sdwa v22, v23, v10 dst_sel:DWORD dst_unused:UNUSED_PAD src0_sel:WORD_1 src1_sel:DWORD
	s_waitcnt lgkmcnt(2)
	v_pk_fma_f16 v23, v37, v21, v33
	v_pk_fma_f16 v19, v38, v21, v19
	v_mul_u32_u24_sdwa v21, v24, v10 dst_sel:DWORD dst_unused:UNUSED_PAD src0_sel:WORD_0 src1_sel:DWORD
	ds_read2_b64 v[33:36], v12 offset0:180 offset1:198
	v_add_nc_u32_e32 v37, 0x800, v12
	v_pk_fma_f16 v23, v39, v22, v23
	v_pk_fma_f16 v19, v40, v22, v19
	v_mul_u32_u24_sdwa v22, v24, v10 dst_sel:DWORD dst_unused:UNUSED_PAD src0_sel:WORD_1 src1_sel:DWORD
	v_mul_u32_u24_sdwa v38, v31, v10 dst_sel:DWORD dst_unused:UNUSED_PAD src0_sel:WORD_0 src1_sel:DWORD
	s_waitcnt lgkmcnt(2)
	v_pk_fma_f16 v15, v15, v21, v23
	v_pk_fma_f16 v16, v16, v21, v19
	v_mul_u32_u24_sdwa v19, v29, v10 dst_sel:DWORD dst_unused:UNUSED_PAD src0_sel:WORD_0 src1_sel:DWORD
	v_mul_u32_u24_sdwa v23, v29, v10 dst_sel:DWORD dst_unused:UNUSED_PAD src0_sel:WORD_1 src1_sel:DWORD
	v_mul_u32_u24_sdwa v29, v30, v10 dst_sel:DWORD dst_unused:UNUSED_PAD src0_sel:WORD_1 src1_sel:DWORD
	v_pk_fma_f16 v21, v17, v22, v15
	v_pk_fma_f16 v22, v18, v22, v16
	ds_read2_b64 v[15:18], v12 offset0:216 offset1:234
	s_waitcnt lgkmcnt(2)
	v_pk_fma_f16 v21, v25, v19, v21
	v_pk_fma_f16 v19, v26, v19, v22
	v_add_nc_u32_e32 v22, 0x400, v12
	v_mul_u32_u24_sdwa v25, v30, v10 dst_sel:DWORD dst_unused:UNUSED_PAD src0_sel:WORD_0 src1_sel:DWORD
	v_pk_fma_f16 v26, v27, v23, v21
	v_pk_fma_f16 v19, v28, v23, v19
	ds_read2_b64 v[21:24], v22 offset0:124 offset1:142
	s_waitcnt lgkmcnt(2)
	v_pk_fma_f16 v30, v33, v25, v26
	v_pk_fma_f16 v19, v34, v25, v19
	ds_read_b128 v[25:28], v14 offset:32
	v_pk_fma_f16 v30, v35, v29, v30
	v_pk_fma_f16 v19, v36, v29, v19
	ds_read2_b64 v[33:36], v37 offset0:32 offset1:50
	v_mul_u32_u24_sdwa v29, v31, v10 dst_sel:DWORD dst_unused:UNUSED_PAD src0_sel:WORD_1 src1_sel:DWORD
	s_waitcnt lgkmcnt(3)
	v_pk_fma_f16 v15, v15, v38, v30
	v_pk_fma_f16 v16, v16, v38, v19
	v_mul_u32_u24_sdwa v19, v32, v10 dst_sel:DWORD dst_unused:UNUSED_PAD src0_sel:WORD_0 src1_sel:DWORD
	v_mul_u32_u24_sdwa v38, v32, v10 dst_sel:DWORD dst_unused:UNUSED_PAD src0_sel:WORD_1 src1_sel:DWORD
	v_pk_fma_f16 v30, v17, v29, v15
	v_pk_fma_f16 v29, v18, v29, v16
	ds_read2_b64 v[15:18], v37 offset0:68 offset1:86
	s_waitcnt lgkmcnt(3)
	v_pk_fma_f16 v21, v21, v19, v30
	v_pk_fma_f16 v19, v22, v19, v29
	ds_read_b128 v[29:32], v14 offset:48
	s_waitcnt lgkmcnt(3)
	v_mul_u32_u24_sdwa v14, v25, v10 dst_sel:DWORD dst_unused:UNUSED_PAD src0_sel:WORD_0 src1_sel:DWORD
	v_mul_u32_u24_sdwa v25, v25, v10 dst_sel:DWORD dst_unused:UNUSED_PAD src0_sel:WORD_1 src1_sel:DWORD
	v_pk_fma_f16 v39, v23, v38, v21
	v_pk_fma_f16 v19, v24, v38, v19
	ds_read2_b64 v[21:24], v37 offset0:104 offset1:122
	s_waitcnt lgkmcnt(3)
	v_pk_fma_f16 v33, v33, v14, v39
	v_pk_fma_f16 v14, v34, v14, v19
	v_mul_u32_u24_sdwa v19, v26, v10 dst_sel:DWORD dst_unused:UNUSED_PAD src0_sel:WORD_0 src1_sel:DWORD
	v_pk_fma_f16 v38, v35, v25, v33
	v_pk_fma_f16 v14, v36, v25, v14
	ds_read2_b64 v[33:36], v37 offset0:140 offset1:158
	v_mul_u32_u24_sdwa v25, v26, v10 dst_sel:DWORD dst_unused:UNUSED_PAD src0_sel:WORD_1 src1_sel:DWORD
	s_waitcnt lgkmcnt(3)
	v_pk_fma_f16 v15, v15, v19, v38
	v_pk_fma_f16 v14, v16, v19, v14
	v_mul_u32_u24_sdwa v19, v27, v10 dst_sel:DWORD dst_unused:UNUSED_PAD src0_sel:WORD_0 src1_sel:DWORD
	v_pk_fma_f16 v26, v17, v25, v15
	v_pk_fma_f16 v18, v18, v25, v14
	ds_read2_b64 v[14:17], v37 offset0:176 offset1:194
	v_mul_u32_u24_sdwa v25, v27, v10 dst_sel:DWORD dst_unused:UNUSED_PAD src0_sel:WORD_1 src1_sel:DWORD
	s_waitcnt lgkmcnt(2)
	v_pk_fma_f16 v21, v21, v19, v26
	v_pk_fma_f16 v18, v22, v19, v18
	v_mul_u32_u24_sdwa v19, v28, v10 dst_sel:DWORD dst_unused:UNUSED_PAD src0_sel:WORD_0 src1_sel:DWORD
	v_pk_fma_f16 v26, v23, v25, v21
	v_pk_fma_f16 v18, v24, v25, v18
	ds_read2_b64 v[21:24], v37 offset0:212 offset1:230
	v_mul_u32_u24_sdwa v25, v28, v10 dst_sel:DWORD dst_unused:UNUSED_PAD src0_sel:WORD_1 src1_sel:DWORD
	s_waitcnt lgkmcnt(2)
	v_pk_fma_f16 v26, v33, v19, v26
	v_pk_fma_f16 v18, v34, v19, v18
	v_add_nc_u32_e32 v19, 0xc00, v12
	v_mul_u32_u24_sdwa v33, v29, v10 dst_sel:DWORD dst_unused:UNUSED_PAD src0_sel:WORD_0 src1_sel:DWORD
	v_add_nc_u32_e32 v12, 0x1000, v12
	v_pk_fma_f16 v34, v35, v25, v26
	v_pk_fma_f16 v18, v36, v25, v18
	ds_read2_b64 v[25:28], v19 offset0:120 offset1:138
	v_mul_u32_u24_sdwa v19, v29, v10 dst_sel:DWORD dst_unused:UNUSED_PAD src0_sel:WORD_1 src1_sel:DWORD
	s_waitcnt lgkmcnt(2)
	v_pk_fma_f16 v14, v14, v33, v34
	v_pk_fma_f16 v15, v15, v33, v18
	v_mul_u32_u24_sdwa v18, v30, v10 dst_sel:DWORD dst_unused:UNUSED_PAD src0_sel:WORD_0 src1_sel:DWORD
	v_pk_fma_f16 v29, v16, v19, v14
	v_pk_fma_f16 v19, v17, v19, v15
	ds_read2_b64 v[14:17], v12 offset0:28 offset1:46
	v_mul_u32_u24_sdwa v12, v30, v10 dst_sel:DWORD dst_unused:UNUSED_PAD src0_sel:WORD_1 src1_sel:DWORD
	s_waitcnt lgkmcnt(0)
	v_pk_fma_f16 v21, v21, v18, v29
	v_pk_fma_f16 v18, v22, v18, v19
	v_mul_u32_u24_sdwa v19, v31, v10 dst_sel:DWORD dst_unused:UNUSED_PAD src0_sel:WORD_0 src1_sel:DWORD
	s_barrier
	buffer_gl0_inv
	v_pk_fma_f16 v21, v23, v12, v21
	v_pk_fma_f16 v12, v24, v12, v18
	v_mul_u32_u24_sdwa v18, v31, v10 dst_sel:DWORD dst_unused:UNUSED_PAD src0_sel:WORD_1 src1_sel:DWORD
	v_pk_fma_f16 v21, v25, v19, v21
	v_pk_fma_f16 v12, v26, v19, v12
	v_mul_u32_u24_sdwa v19, v32, v10 dst_sel:DWORD dst_unused:UNUSED_PAD src0_sel:WORD_0 src1_sel:DWORD
	v_mul_u32_u24_sdwa v10, v32, v10 dst_sel:DWORD dst_unused:UNUSED_PAD src0_sel:WORD_1 src1_sel:DWORD
	v_pk_fma_f16 v21, v27, v18, v21
	v_pk_fma_f16 v12, v28, v18, v12
	;; [unrolled: 1-line block ×6, first 2 shown]
.LBB62_33:
	v_cmp_lt_i32_e32 vcc_lo, v4, v9
	s_cmp_eq_u64 s[20:21], 0
	s_cselect_b32 s7, -1, 0
	s_cmp_lg_u32 s34, 0
	v_cndmask_b32_e32 v1, v13, v4, vcc_lo
	v_cmp_lt_i32_e32 vcc_lo, v5, v9
	s_cselect_b32 s8, -1, 0
	s_or_b32 s7, s8, s7
	v_lshlrev_b32_e32 v1, 2, v1
	v_cndmask_b32_e32 v4, v13, v5, vcc_lo
	v_cmp_lt_i32_e32 vcc_lo, v6, v9
	ds_bpermute_b32 v1, v1, v20
	v_lshlrev_b32_e32 v4, 2, v4
	v_cndmask_b32_e32 v5, v13, v6, vcc_lo
	v_cmp_lt_i32_e32 vcc_lo, v7, v9
	v_lshlrev_b32_e32 v5, 2, v5
	s_waitcnt lgkmcnt(0)
	v_add_f32_e32 v1, v20, v1
	ds_bpermute_b32 v4, v4, v1
	s_waitcnt lgkmcnt(0)
	v_add_f32_e32 v1, v1, v4
	ds_bpermute_b32 v4, v5, v1
	v_cndmask_b32_e32 v5, v13, v7, vcc_lo
	v_cmp_lt_i32_e32 vcc_lo, v8, v9
	v_lshlrev_b32_e32 v5, 2, v5
	s_waitcnt lgkmcnt(0)
	v_add_f32_e32 v1, v1, v4
	ds_bpermute_b32 v4, v5, v1
	v_cndmask_b32_e32 v5, v13, v8, vcc_lo
	s_and_b32 vcc_lo, exec_lo, s7
	v_lshlrev_b32_e32 v5, 2, v5
	s_waitcnt lgkmcnt(0)
	v_add_f32_e32 v1, v1, v4
	ds_bpermute_b32 v4, v5, v1
	s_waitcnt lgkmcnt(0)
	v_add_f32_e32 v4, v1, v4
	s_cbranch_vccnz .LBB62_35
; %bb.34:
	s_lshl_b64 s[8:9], s[40:41], 2
	v_mov_b32_e32 v1, 0
	s_add_u32 s8, s20, s8
	s_addc_u32 s9, s21, s9
	v_max_f32_e32 v5, v3, v3
	global_load_dword v1, v1, s[8:9]
	s_waitcnt vmcnt(0)
	v_max_f32_e32 v6, v1, v1
	v_max_f32_e32 v5, v5, v6
	v_sub_f32_e32 v3, v3, v5
	v_sub_f32_e32 v1, v1, v5
	v_mul_f32_e32 v6, 0x3fb8aa3b, v3
	v_mul_f32_e32 v7, 0x3fb8aa3b, v1
	v_cmp_ngt_f32_e32 vcc_lo, 0xc2ce8ed0, v3
	v_fma_f32 v8, 0x3fb8aa3b, v3, -v6
	v_rndne_f32_e32 v9, v6
	v_fma_f32 v10, 0x3fb8aa3b, v1, -v7
	v_rndne_f32_e32 v11, v7
	v_fmac_f32_e32 v8, 0x32a5705f, v3
	v_sub_f32_e32 v6, v6, v9
	v_fmac_f32_e32 v10, 0x32a5705f, v1
	v_sub_f32_e32 v7, v7, v11
	v_add_f32_e32 v6, v6, v8
	v_cvt_i32_f32_e32 v8, v9
	v_add_f32_e32 v7, v7, v10
	v_cvt_i32_f32_e32 v9, v11
	v_exp_f32_e32 v6, v6
	v_exp_f32_e32 v7, v7
	v_ldexp_f32 v6, v6, v8
	v_ldexp_f32 v7, v7, v9
	v_cndmask_b32_e32 v6, 0, v6, vcc_lo
	v_cmp_ngt_f32_e32 vcc_lo, 0xc2ce8ed0, v1
	v_cndmask_b32_e32 v7, 0, v7, vcc_lo
	v_cmp_nlt_f32_e32 vcc_lo, 0x42b17218, v3
	v_cndmask_b32_e32 v3, 0x7f800000, v6, vcc_lo
	v_cmp_nlt_f32_e32 vcc_lo, 0x42b17218, v1
	v_mov_b32_e32 v6, 0x10001
	v_cndmask_b32_e32 v1, 0x7f800000, v7, vcc_lo
	v_cvt_f16_f32_e32 v7, v3
	v_fmac_f32_e32 v1, v4, v3
	v_mul_u32_u24_sdwa v3, v7, v6 dst_sel:DWORD dst_unused:UNUSED_PAD src0_sel:WORD_0 src1_sel:DWORD
	v_mov_b32_e32 v4, v1
	v_pk_mul_f16 v16, v16, v3
	v_pk_mul_f16 v19, v19, v3
	v_mov_b32_e32 v3, v5
.LBB62_35:
	s_mov_b32 s7, exec_lo
	v_cmpx_gt_i32_e64 s30, v2
	s_cbranch_execz .LBB62_40
; %bb.36:
	s_load_dword s4, s[4:5], 0xd4
	v_mad_u64_u32 v[1:2], null, s33, s30, v[2:3]
	v_mad_u64_u32 v[1:2], null, v1, s31, s[40:41]
	s_waitcnt lgkmcnt(0)
	v_mad_u64_u32 v[1:2], null, s4, v1, s[34:35]
	s_cmp_lg_u32 s4, 1
	s_cselect_b32 s4, -1, 0
	s_and_saveexec_b32 s5, s6
	s_cbranch_execz .LBB62_38
; %bb.37:
	v_div_scale_f32 v2, null, v4, v4, 1.0
	v_div_scale_f32 v7, vcc_lo, 1.0, v4, 1.0
	v_cvt_f32_f16_e32 v11, v19
	v_rcp_f32_e32 v5, v2
	v_cvt_f32_f16_sdwa v12, v16 dst_sel:DWORD dst_unused:UNUSED_PAD src0_sel:WORD_1
	v_cvt_f32_f16_e32 v13, v16
	v_fma_f32 v6, -v2, v5, 1.0
	v_fmac_f32_e32 v5, v6, v5
	v_mul_f32_e32 v6, v7, v5
	v_fma_f32 v8, -v2, v6, v7
	v_fmac_f32_e32 v6, v8, v5
	v_fma_f32 v2, -v2, v6, v7
	v_cvt_f32_f16_sdwa v7, v19 dst_sel:DWORD dst_unused:UNUSED_PAD src0_sel:WORD_1
	v_div_fmas_f32 v2, v2, v5, v6
	v_mul_lo_u32 v5, 0x48, v1
	v_mov_b32_e32 v6, 0
	v_div_fixup_f32 v2, v2, v4, 1.0
	v_lshl_add_u32 v5, v0, 2, v5
	v_cndmask_b32_e64 v2, v2, 1.0, s4
	v_lshlrev_b64 v[9:10], 2, v[5:6]
	v_mul_f32_e32 v8, v2, v7
	v_mul_f32_e32 v7, v2, v11
	;; [unrolled: 1-line block ×4, first 2 shown]
	v_add_co_u32 v9, vcc_lo, s24, v9
	v_add_co_ci_u32_e64 v10, null, s25, v10, vcc_lo
	global_store_dwordx4 v[9:10], v[5:8], off
.LBB62_38:
	s_or_b32 exec_lo, exec_lo, s5
	v_cmp_eq_u32_e32 vcc_lo, 0, v0
	s_and_b32 s4, vcc_lo, s4
	s_and_b32 exec_lo, exec_lo, s4
	s_cbranch_execz .LBB62_40
; %bb.39:
	v_ashrrev_i32_e32 v2, 31, v1
	v_lshlrev_b64 v[0:1], 3, v[1:2]
	v_add_co_u32 v0, vcc_lo, s26, v0
	v_add_co_ci_u32_e64 v1, null, s27, v1, vcc_lo
	global_store_dwordx2 v[0:1], v[3:4], off
.LBB62_40:
	s_endpgm
	.section	.rodata,"a",@progbits
	.p2align	6, 0x0
	.amdhsa_kernel _ZL15flash_attn_tileILi72ELi72ELi8ELi1ELb0EEvPKcS1_S1_S1_S1_PKiPfP15HIP_vector_typeIfLj2EEffffjfiS5_IjLj3EEiiiiiiiiiiiliiliiiiil
		.amdhsa_group_segment_fixed_size 7008
		.amdhsa_private_segment_fixed_size 32
		.amdhsa_kernarg_size 464
		.amdhsa_user_sgpr_count 8
		.amdhsa_user_sgpr_private_segment_buffer 1
		.amdhsa_user_sgpr_dispatch_ptr 0
		.amdhsa_user_sgpr_queue_ptr 0
		.amdhsa_user_sgpr_kernarg_segment_ptr 1
		.amdhsa_user_sgpr_dispatch_id 0
		.amdhsa_user_sgpr_flat_scratch_init 1
		.amdhsa_user_sgpr_private_segment_size 0
		.amdhsa_wavefront_size32 1
		.amdhsa_uses_dynamic_stack 0
		.amdhsa_system_sgpr_private_segment_wavefront_offset 1
		.amdhsa_system_sgpr_workgroup_id_x 1
		.amdhsa_system_sgpr_workgroup_id_y 1
		.amdhsa_system_sgpr_workgroup_id_z 1
		.amdhsa_system_sgpr_workgroup_info 0
		.amdhsa_system_vgpr_workitem_id 1
		.amdhsa_next_free_vgpr 63
		.amdhsa_next_free_sgpr 52
		.amdhsa_reserve_vcc 1
		.amdhsa_reserve_flat_scratch 1
		.amdhsa_float_round_mode_32 0
		.amdhsa_float_round_mode_16_64 0
		.amdhsa_float_denorm_mode_32 3
		.amdhsa_float_denorm_mode_16_64 3
		.amdhsa_dx10_clamp 1
		.amdhsa_ieee_mode 1
		.amdhsa_fp16_overflow 0
		.amdhsa_workgroup_processor_mode 1
		.amdhsa_memory_ordered 1
		.amdhsa_forward_progress 1
		.amdhsa_shared_vgpr_count 0
		.amdhsa_exception_fp_ieee_invalid_op 0
		.amdhsa_exception_fp_denorm_src 0
		.amdhsa_exception_fp_ieee_div_zero 0
		.amdhsa_exception_fp_ieee_overflow 0
		.amdhsa_exception_fp_ieee_underflow 0
		.amdhsa_exception_fp_ieee_inexact 0
		.amdhsa_exception_int_div_zero 0
	.end_amdhsa_kernel
	.section	.text._ZL15flash_attn_tileILi72ELi72ELi8ELi1ELb0EEvPKcS1_S1_S1_S1_PKiPfP15HIP_vector_typeIfLj2EEffffjfiS5_IjLj3EEiiiiiiiiiiiliiliiiiil,"axG",@progbits,_ZL15flash_attn_tileILi72ELi72ELi8ELi1ELb0EEvPKcS1_S1_S1_S1_PKiPfP15HIP_vector_typeIfLj2EEffffjfiS5_IjLj3EEiiiiiiiiiiiliiliiiiil,comdat
.Lfunc_end62:
	.size	_ZL15flash_attn_tileILi72ELi72ELi8ELi1ELb0EEvPKcS1_S1_S1_S1_PKiPfP15HIP_vector_typeIfLj2EEffffjfiS5_IjLj3EEiiiiiiiiiiiliiliiiiil, .Lfunc_end62-_ZL15flash_attn_tileILi72ELi72ELi8ELi1ELb0EEvPKcS1_S1_S1_S1_PKiPfP15HIP_vector_typeIfLj2EEffffjfiS5_IjLj3EEiiiiiiiiiiiliiliiiiil
                                        ; -- End function
	.set _ZL15flash_attn_tileILi72ELi72ELi8ELi1ELb0EEvPKcS1_S1_S1_S1_PKiPfP15HIP_vector_typeIfLj2EEffffjfiS5_IjLj3EEiiiiiiiiiiiliiliiiiil.num_vgpr, 63
	.set _ZL15flash_attn_tileILi72ELi72ELi8ELi1ELb0EEvPKcS1_S1_S1_S1_PKiPfP15HIP_vector_typeIfLj2EEffffjfiS5_IjLj3EEiiiiiiiiiiiliiliiiiil.num_agpr, 0
	.set _ZL15flash_attn_tileILi72ELi72ELi8ELi1ELb0EEvPKcS1_S1_S1_S1_PKiPfP15HIP_vector_typeIfLj2EEffffjfiS5_IjLj3EEiiiiiiiiiiiliiliiiiil.numbered_sgpr, 52
	.set _ZL15flash_attn_tileILi72ELi72ELi8ELi1ELb0EEvPKcS1_S1_S1_S1_PKiPfP15HIP_vector_typeIfLj2EEffffjfiS5_IjLj3EEiiiiiiiiiiiliiliiiiil.num_named_barrier, 0
	.set _ZL15flash_attn_tileILi72ELi72ELi8ELi1ELb0EEvPKcS1_S1_S1_S1_PKiPfP15HIP_vector_typeIfLj2EEffffjfiS5_IjLj3EEiiiiiiiiiiiliiliiiiil.private_seg_size, 32
	.set _ZL15flash_attn_tileILi72ELi72ELi8ELi1ELb0EEvPKcS1_S1_S1_S1_PKiPfP15HIP_vector_typeIfLj2EEffffjfiS5_IjLj3EEiiiiiiiiiiiliiliiiiil.uses_vcc, 1
	.set _ZL15flash_attn_tileILi72ELi72ELi8ELi1ELb0EEvPKcS1_S1_S1_S1_PKiPfP15HIP_vector_typeIfLj2EEffffjfiS5_IjLj3EEiiiiiiiiiiiliiliiiiil.uses_flat_scratch, 1
	.set _ZL15flash_attn_tileILi72ELi72ELi8ELi1ELb0EEvPKcS1_S1_S1_S1_PKiPfP15HIP_vector_typeIfLj2EEffffjfiS5_IjLj3EEiiiiiiiiiiiliiliiiiil.has_dyn_sized_stack, 0
	.set _ZL15flash_attn_tileILi72ELi72ELi8ELi1ELb0EEvPKcS1_S1_S1_S1_PKiPfP15HIP_vector_typeIfLj2EEffffjfiS5_IjLj3EEiiiiiiiiiiiliiliiiiil.has_recursion, 0
	.set _ZL15flash_attn_tileILi72ELi72ELi8ELi1ELb0EEvPKcS1_S1_S1_S1_PKiPfP15HIP_vector_typeIfLj2EEffffjfiS5_IjLj3EEiiiiiiiiiiiliiliiiiil.has_indirect_call, 0
	.section	.AMDGPU.csdata,"",@progbits
; Kernel info:
; codeLenInByte = 9168
; TotalNumSgprs: 54
; NumVgprs: 63
; ScratchSize: 32
; MemoryBound: 0
; FloatMode: 240
; IeeeMode: 1
; LDSByteSize: 7008 bytes/workgroup (compile time only)
; SGPRBlocks: 0
; VGPRBlocks: 7
; NumSGPRsForWavesPerEU: 54
; NumVGPRsForWavesPerEU: 63
; Occupancy: 16
; WaveLimiterHint : 1
; COMPUTE_PGM_RSRC2:SCRATCH_EN: 1
; COMPUTE_PGM_RSRC2:USER_SGPR: 8
; COMPUTE_PGM_RSRC2:TRAP_HANDLER: 0
; COMPUTE_PGM_RSRC2:TGID_X_EN: 1
; COMPUTE_PGM_RSRC2:TGID_Y_EN: 1
; COMPUTE_PGM_RSRC2:TGID_Z_EN: 1
; COMPUTE_PGM_RSRC2:TIDIG_COMP_CNT: 1
	.section	.text._ZL33flash_attn_stream_k_fixup_uniformILi72ELi8ELi1EEvPfPK15HIP_vector_typeIfLj2EEiiiiiiS1_IjLj3EES5_S5_,"axG",@progbits,_ZL33flash_attn_stream_k_fixup_uniformILi72ELi8ELi1EEvPfPK15HIP_vector_typeIfLj2EEiiiiiiS1_IjLj3EES5_S5_,comdat
	.globl	_ZL33flash_attn_stream_k_fixup_uniformILi72ELi8ELi1EEvPfPK15HIP_vector_typeIfLj2EEiiiiiiS1_IjLj3EES5_S5_ ; -- Begin function _ZL33flash_attn_stream_k_fixup_uniformILi72ELi8ELi1EEvPfPK15HIP_vector_typeIfLj2EEiiiiiiS1_IjLj3EES5_S5_
	.p2align	8
	.type	_ZL33flash_attn_stream_k_fixup_uniformILi72ELi8ELi1EEvPfPK15HIP_vector_typeIfLj2EEiiiiiiS1_IjLj3EES5_S5_,@function
_ZL33flash_attn_stream_k_fixup_uniformILi72ELi8ELi1EEvPfPK15HIP_vector_typeIfLj2EEiiiiiiS1_IjLj3EES5_S5_: ; @_ZL33flash_attn_stream_k_fixup_uniformILi72ELi8ELi1EEvPfPK15HIP_vector_typeIfLj2EEiiiiiiS1_IjLj3EES5_S5_
; %bb.0:
	s_clause 0x2
	s_load_dwordx8 s[12:19], s[4:5], 0x1c
	s_load_dwordx4 s[20:23], s[4:5], 0x3c
	s_load_dwordx2 s[10:11], s[4:5], 0x10
	s_waitcnt lgkmcnt(0)
	s_mul_hi_u32 s0, s15, s6
	s_add_i32 s0, s6, s0
	s_lshr_b32 s0, s0, s16
	s_mul_i32 s1, s0, s17
	s_sub_i32 s1, s6, s1
	s_mul_hi_u32 s2, s1, s18
	s_add_i32 s2, s1, s2
	s_lshr_b32 s9, s2, s19
	s_mul_i32 s2, s9, s20
	s_sub_i32 s1, s1, s2
	;; [unrolled: 5-line block ×3, first 2 shown]
	s_lshl_b32 s1, s15, 3
	s_add_i32 s1, s1, s7
	s_cmp_lt_i32 s1, s10
	s_cselect_b32 s1, -1, 0
	s_add_i32 s16, s16, s8
	s_cmp_lt_i32 s16, s13
	s_cselect_b32 s2, -1, 0
	s_and_b32 s1, s1, s2
	s_andn2_b32 vcc_lo, exec_lo, s1
	s_cbranch_vccnz .LBB63_6
; %bb.1:
	s_mul_i32 s10, s0, s10
	s_load_dwordx4 s[0:3], s[4:5], 0x0
	s_add_i32 s4, s10, s7
	s_mul_i32 s9, s9, s13
	s_mul_i32 s4, s4, s11
	s_add_i32 s5, s16, s9
	s_mul_i32 s9, s11, s15
	s_add_i32 s4, s5, s4
	s_mulk_i32 s9, 0x240
	s_mulk_i32 s4, 0x48
	s_add_i32 s8, s7, s8
	v_add3_u32 v1, s4, s9, v0
	s_mul_i32 s4, s14, s6
	s_add_i32 s9, s4, s14
	v_ashrrev_i32_e32 v2, 31, v1
	v_lshlrev_b64 v[1:2], 2, v[1:2]
	s_waitcnt lgkmcnt(0)
	v_add_co_u32 v1, vcc_lo, s0, v1
	v_add_co_ci_u32_e64 v2, null, s1, v2, vcc_lo
	s_lshl_b32 s0, s9, 3
	s_add_i32 s0, s8, s0
	global_load_dword v5, v[1:2], off
	s_add_i32 s0, s0, -8
	s_ashr_i32 s1, s0, 31
	s_lshl_b64 s[0:1], s[0:1], 3
	s_add_u32 s0, s2, s0
	s_addc_u32 s1, s3, s1
	s_add_i32 s5, s9, -2
	s_load_dword s10, s[0:1], 0x4
	s_cmp_lt_i32 s5, s4
	s_cbranch_scc1 .LBB63_4
; %bb.2:
	s_load_dword s11, s[0:1], 0x0
	s_lshl_b32 s0, s12, 5
	s_waitcnt lgkmcnt(0)
	v_mov_b32_e32 v6, s10
	s_ashr_i32 s1, s0, 31
	s_lshl_b64 s[0:1], s[0:1], 2
	s_add_u32 s5, s2, s0
	s_addc_u32 s7, s3, s1
	s_add_i32 s6, s6, 1
	s_mul_i32 s1, s8, 0x48
	s_mul_i32 s0, s14, s6
	s_lshl_b32 s6, s0, 3
	s_mulk_i32 s0, 0x240
	s_add_i32 s6, s8, s6
	s_add_i32 s1, s1, s0
	s_lshl_b32 s0, s12, 3
	v_add3_u32 v3, s1, v0, 0xfffffb80
	s_add_i32 s0, s6, s0
	v_mov_b32_e32 v0, s11
	s_add_i32 s6, s9, -1
	s_add_i32 s0, s0, -16
.LBB63_3:                               ; =>This Inner Loop Header: Depth=1
	v_ashrrev_i32_e32 v4, 31, v3
	s_ashr_i32 s1, s0, 31
	s_lshl_b64 s[8:9], s[0:1], 3
	s_add_u32 s8, s2, s8
	v_lshlrev_b64 v[7:8], 2, v[3:4]
	s_addc_u32 s9, s3, s9
	v_add_nc_u32_e32 v3, 0xfffffdc0, v3
	s_add_i32 s6, s6, -1
	s_add_i32 s0, s0, -8
	s_cmp_le_i32 s6, s4
	v_add_co_u32 v7, vcc_lo, s5, v7
	v_add_co_ci_u32_e64 v8, null, s7, v8, vcc_lo
	s_load_dwordx2 s[8:9], s[8:9], 0x0
	global_load_dword v4, v[7:8], off
	v_max_f32_e32 v7, v0, v0
	s_waitcnt lgkmcnt(0)
	v_max_f32_e64 v8, s8, s8
	v_max_f32_e32 v7, v7, v8
	v_sub_f32_e32 v8, s8, v7
	v_sub_f32_e32 v0, v0, v7
	v_mul_f32_e32 v9, 0x3fb8aa3b, v8
	v_mul_f32_e32 v12, 0x3fb8aa3b, v0
	v_cmp_ngt_f32_e32 vcc_lo, 0xc2ce8ed0, v8
	v_fma_f32 v10, 0x3fb8aa3b, v8, -v9
	v_rndne_f32_e32 v11, v9
	v_fma_f32 v13, 0x3fb8aa3b, v0, -v12
	v_rndne_f32_e32 v14, v12
	v_fmac_f32_e32 v10, 0x32a5705f, v8
	v_sub_f32_e32 v9, v9, v11
	v_fmac_f32_e32 v13, 0x32a5705f, v0
	v_cvt_i32_f32_e32 v11, v11
	v_add_f32_e32 v9, v9, v10
	v_sub_f32_e32 v10, v12, v14
	v_exp_f32_e32 v9, v9
	v_add_f32_e32 v10, v10, v13
	v_exp_f32_e32 v10, v10
	v_ldexp_f32 v9, v9, v11
	v_cvt_i32_f32_e32 v11, v14
	v_cndmask_b32_e32 v9, 0, v9, vcc_lo
	v_cmp_nlt_f32_e32 vcc_lo, 0x42b17218, v8
	v_ldexp_f32 v10, v10, v11
	v_mov_b32_e32 v11, v6
	v_cndmask_b32_e32 v9, 0x7f800000, v9, vcc_lo
	v_cmp_ngt_f32_e32 vcc_lo, 0xc2ce8ed0, v0
	v_cndmask_b32_e32 v10, 0, v10, vcc_lo
	v_cmp_le_f32_e32 vcc_lo, 0xc1a00000, v8
	v_cndmask_b32_e32 v8, 0, v9, vcc_lo
	v_cmp_nlt_f32_e32 vcc_lo, 0x42b17218, v0
	s_waitcnt vmcnt(1)
	v_mov_b32_e32 v9, v5
	v_cndmask_b32_e32 v5, 0x7f800000, v10, vcc_lo
	v_mul_f32_e32 v10, s9, v8
	v_cmp_le_f32_e32 vcc_lo, 0xc1a00000, v0
	v_mov_b32_e32 v0, v7
	v_mov_b32_e32 v6, v10
	v_cndmask_b32_e32 v12, 0, v5, vcc_lo
	v_fmac_f32_e32 v6, v11, v12
	s_waitcnt vmcnt(0)
	v_mul_f32_e32 v5, v4, v8
	v_fmac_f32_e32 v5, v9, v12
	s_cbranch_scc0 .LBB63_3
	s_branch .LBB63_5
.LBB63_4:
	s_waitcnt lgkmcnt(0)
	v_mov_b32_e32 v6, s10
.LBB63_5:
	s_waitcnt vmcnt(0)
	v_div_scale_f32 v0, null, v6, v6, v5
	v_rcp_f32_e32 v3, v0
	v_fma_f32 v4, -v0, v3, 1.0
	v_fmac_f32_e32 v3, v4, v3
	v_div_scale_f32 v4, vcc_lo, v5, v6, v5
	v_mul_f32_e32 v7, v4, v3
	v_fma_f32 v8, -v0, v7, v4
	v_fmac_f32_e32 v7, v8, v3
	v_fma_f32 v0, -v0, v7, v4
	v_div_fmas_f32 v0, v0, v3, v7
	v_div_fixup_f32 v0, v0, v6, v5
	global_store_dword v[1:2], v0, off
.LBB63_6:
	s_endpgm
	.section	.rodata,"a",@progbits
	.p2align	6, 0x0
	.amdhsa_kernel _ZL33flash_attn_stream_k_fixup_uniformILi72ELi8ELi1EEvPfPK15HIP_vector_typeIfLj2EEiiiiiiS1_IjLj3EES5_S5_
		.amdhsa_group_segment_fixed_size 0
		.amdhsa_private_segment_fixed_size 0
		.amdhsa_kernarg_size 76
		.amdhsa_user_sgpr_count 6
		.amdhsa_user_sgpr_private_segment_buffer 1
		.amdhsa_user_sgpr_dispatch_ptr 0
		.amdhsa_user_sgpr_queue_ptr 0
		.amdhsa_user_sgpr_kernarg_segment_ptr 1
		.amdhsa_user_sgpr_dispatch_id 0
		.amdhsa_user_sgpr_flat_scratch_init 0
		.amdhsa_user_sgpr_private_segment_size 0
		.amdhsa_wavefront_size32 1
		.amdhsa_uses_dynamic_stack 0
		.amdhsa_system_sgpr_private_segment_wavefront_offset 0
		.amdhsa_system_sgpr_workgroup_id_x 1
		.amdhsa_system_sgpr_workgroup_id_y 1
		.amdhsa_system_sgpr_workgroup_id_z 1
		.amdhsa_system_sgpr_workgroup_info 0
		.amdhsa_system_vgpr_workitem_id 0
		.amdhsa_next_free_vgpr 15
		.amdhsa_next_free_sgpr 24
		.amdhsa_reserve_vcc 1
		.amdhsa_reserve_flat_scratch 0
		.amdhsa_float_round_mode_32 0
		.amdhsa_float_round_mode_16_64 0
		.amdhsa_float_denorm_mode_32 3
		.amdhsa_float_denorm_mode_16_64 3
		.amdhsa_dx10_clamp 1
		.amdhsa_ieee_mode 1
		.amdhsa_fp16_overflow 0
		.amdhsa_workgroup_processor_mode 1
		.amdhsa_memory_ordered 1
		.amdhsa_forward_progress 1
		.amdhsa_shared_vgpr_count 0
		.amdhsa_exception_fp_ieee_invalid_op 0
		.amdhsa_exception_fp_denorm_src 0
		.amdhsa_exception_fp_ieee_div_zero 0
		.amdhsa_exception_fp_ieee_overflow 0
		.amdhsa_exception_fp_ieee_underflow 0
		.amdhsa_exception_fp_ieee_inexact 0
		.amdhsa_exception_int_div_zero 0
	.end_amdhsa_kernel
	.section	.text._ZL33flash_attn_stream_k_fixup_uniformILi72ELi8ELi1EEvPfPK15HIP_vector_typeIfLj2EEiiiiiiS1_IjLj3EES5_S5_,"axG",@progbits,_ZL33flash_attn_stream_k_fixup_uniformILi72ELi8ELi1EEvPfPK15HIP_vector_typeIfLj2EEiiiiiiS1_IjLj3EES5_S5_,comdat
.Lfunc_end63:
	.size	_ZL33flash_attn_stream_k_fixup_uniformILi72ELi8ELi1EEvPfPK15HIP_vector_typeIfLj2EEiiiiiiS1_IjLj3EES5_S5_, .Lfunc_end63-_ZL33flash_attn_stream_k_fixup_uniformILi72ELi8ELi1EEvPfPK15HIP_vector_typeIfLj2EEiiiiiiS1_IjLj3EES5_S5_
                                        ; -- End function
	.set _ZL33flash_attn_stream_k_fixup_uniformILi72ELi8ELi1EEvPfPK15HIP_vector_typeIfLj2EEiiiiiiS1_IjLj3EES5_S5_.num_vgpr, 15
	.set _ZL33flash_attn_stream_k_fixup_uniformILi72ELi8ELi1EEvPfPK15HIP_vector_typeIfLj2EEiiiiiiS1_IjLj3EES5_S5_.num_agpr, 0
	.set _ZL33flash_attn_stream_k_fixup_uniformILi72ELi8ELi1EEvPfPK15HIP_vector_typeIfLj2EEiiiiiiS1_IjLj3EES5_S5_.numbered_sgpr, 24
	.set _ZL33flash_attn_stream_k_fixup_uniformILi72ELi8ELi1EEvPfPK15HIP_vector_typeIfLj2EEiiiiiiS1_IjLj3EES5_S5_.num_named_barrier, 0
	.set _ZL33flash_attn_stream_k_fixup_uniformILi72ELi8ELi1EEvPfPK15HIP_vector_typeIfLj2EEiiiiiiS1_IjLj3EES5_S5_.private_seg_size, 0
	.set _ZL33flash_attn_stream_k_fixup_uniformILi72ELi8ELi1EEvPfPK15HIP_vector_typeIfLj2EEiiiiiiS1_IjLj3EES5_S5_.uses_vcc, 1
	.set _ZL33flash_attn_stream_k_fixup_uniformILi72ELi8ELi1EEvPfPK15HIP_vector_typeIfLj2EEiiiiiiS1_IjLj3EES5_S5_.uses_flat_scratch, 0
	.set _ZL33flash_attn_stream_k_fixup_uniformILi72ELi8ELi1EEvPfPK15HIP_vector_typeIfLj2EEiiiiiiS1_IjLj3EES5_S5_.has_dyn_sized_stack, 0
	.set _ZL33flash_attn_stream_k_fixup_uniformILi72ELi8ELi1EEvPfPK15HIP_vector_typeIfLj2EEiiiiiiS1_IjLj3EES5_S5_.has_recursion, 0
	.set _ZL33flash_attn_stream_k_fixup_uniformILi72ELi8ELi1EEvPfPK15HIP_vector_typeIfLj2EEiiiiiiS1_IjLj3EES5_S5_.has_indirect_call, 0
	.section	.AMDGPU.csdata,"",@progbits
; Kernel info:
; codeLenInByte = 828
; TotalNumSgprs: 26
; NumVgprs: 15
; ScratchSize: 0
; MemoryBound: 0
; FloatMode: 240
; IeeeMode: 1
; LDSByteSize: 0 bytes/workgroup (compile time only)
; SGPRBlocks: 0
; VGPRBlocks: 1
; NumSGPRsForWavesPerEU: 26
; NumVGPRsForWavesPerEU: 15
; Occupancy: 16
; WaveLimiterHint : 0
; COMPUTE_PGM_RSRC2:SCRATCH_EN: 0
; COMPUTE_PGM_RSRC2:USER_SGPR: 6
; COMPUTE_PGM_RSRC2:TRAP_HANDLER: 0
; COMPUTE_PGM_RSRC2:TGID_X_EN: 1
; COMPUTE_PGM_RSRC2:TGID_Y_EN: 1
; COMPUTE_PGM_RSRC2:TGID_Z_EN: 1
; COMPUTE_PGM_RSRC2:TIDIG_COMP_CNT: 0
	.section	.text._ZL33flash_attn_stream_k_fixup_generalILi72ELi8ELi1EEvPfPK15HIP_vector_typeIfLj2EEiiiiS1_IjLj3EES5_S5_S5_,"axG",@progbits,_ZL33flash_attn_stream_k_fixup_generalILi72ELi8ELi1EEvPfPK15HIP_vector_typeIfLj2EEiiiiS1_IjLj3EES5_S5_S5_,comdat
	.globl	_ZL33flash_attn_stream_k_fixup_generalILi72ELi8ELi1EEvPfPK15HIP_vector_typeIfLj2EEiiiiS1_IjLj3EES5_S5_S5_ ; -- Begin function _ZL33flash_attn_stream_k_fixup_generalILi72ELi8ELi1EEvPfPK15HIP_vector_typeIfLj2EEiiiiS1_IjLj3EES5_S5_S5_
	.p2align	8
	.type	_ZL33flash_attn_stream_k_fixup_generalILi72ELi8ELi1EEvPfPK15HIP_vector_typeIfLj2EEiiiiS1_IjLj3EES5_S5_S5_,@function
_ZL33flash_attn_stream_k_fixup_generalILi72ELi8ELi1EEvPfPK15HIP_vector_typeIfLj2EEiiiiS1_IjLj3EES5_S5_S5_: ; @_ZL33flash_attn_stream_k_fixup_generalILi72ELi8ELi1EEvPfPK15HIP_vector_typeIfLj2EEiiiiS1_IjLj3EES5_S5_S5_
; %bb.0:
	s_clause 0x1
	s_load_dwordx4 s[0:3], s[4:5], 0x10
	s_load_dword s9, s[4:5], 0x50
	s_mov_b32 s16, 0
	s_waitcnt lgkmcnt(0)
	s_mul_hi_i32 s17, s3, s6
	s_mul_i32 s18, s3, s6
	s_cmp_lg_u64 s[16:17], 0
	s_cbranch_scc0 .LBB64_21
; %bb.1:
	s_add_u32 s10, s9, 0
	s_addc_u32 s11, 0, 0
	s_xor_b64 s[10:11], s[10:11], 0
	v_cvt_f32_u32_e32 v1, s10
	v_cvt_f32_u32_e32 v2, s11
	s_sub_u32 s14, 0, s10
	s_subb_u32 s15, 0, s11
	v_fmamk_f32 v1, v2, 0x4f800000, v1
	v_rcp_f32_e32 v1, v1
	v_mul_f32_e32 v1, 0x5f7ffffc, v1
	v_mul_f32_e32 v2, 0x2f800000, v1
	v_trunc_f32_e32 v2, v2
	v_fmamk_f32 v1, v2, 0xcf800000, v1
	v_cvt_u32_f32_e32 v2, v2
	v_cvt_u32_f32_e32 v1, v1
	v_readfirstlane_b32 s12, v2
	v_readfirstlane_b32 s13, v1
	s_mul_i32 s19, s14, s12
	s_mul_hi_u32 s21, s14, s13
	s_mul_i32 s20, s15, s13
	s_add_i32 s19, s21, s19
	s_mul_i32 s22, s14, s13
	s_add_i32 s19, s19, s20
	s_mul_hi_u32 s21, s13, s22
	s_mul_i32 s24, s13, s19
	s_mul_hi_u32 s23, s12, s22
	s_mul_i32 s20, s12, s22
	s_mul_hi_u32 s22, s13, s19
	s_add_u32 s21, s21, s24
	s_addc_u32 s22, 0, s22
	s_mul_hi_u32 s25, s12, s19
	s_add_u32 s20, s21, s20
	s_mul_i32 s19, s12, s19
	s_addc_u32 s20, s22, s23
	s_addc_u32 s21, s25, 0
	s_add_u32 s19, s20, s19
	s_addc_u32 s20, 0, s21
	s_add_u32 s13, s13, s19
	s_cselect_b32 s19, -1, 0
	s_mul_hi_u32 s21, s14, s13
	s_cmp_lg_u32 s19, 0
	s_mul_i32 s19, s14, s13
	s_addc_u32 s12, s12, s20
	s_mul_i32 s15, s15, s13
	s_mul_i32 s14, s14, s12
	s_mul_hi_u32 s20, s13, s19
	s_add_i32 s14, s21, s14
	s_mul_hi_u32 s21, s12, s19
	s_add_i32 s14, s14, s15
	s_mul_i32 s15, s12, s19
	s_mul_i32 s23, s13, s14
	s_mul_hi_u32 s22, s13, s14
	s_add_u32 s20, s20, s23
	s_addc_u32 s22, 0, s22
	s_mul_hi_u32 s19, s12, s14
	s_add_u32 s15, s20, s15
	s_mul_i32 s14, s12, s14
	s_addc_u32 s15, s22, s21
	s_addc_u32 s19, s19, 0
	s_add_u32 s14, s15, s14
	s_addc_u32 s15, 0, s19
	s_add_u32 s19, s13, s14
	s_cselect_b32 s13, -1, 0
	s_cmp_lg_u32 s13, 0
	s_addc_u32 s20, s12, s15
	s_ashr_i32 s12, s17, 31
	s_add_u32 s14, s18, s12
	s_mov_b32 s13, s12
	s_addc_u32 s15, s17, s12
	s_xor_b64 s[14:15], s[14:15], s[12:13]
	s_mul_i32 s21, s14, s20
	s_mul_hi_u32 s22, s14, s19
	s_mul_hi_u32 s17, s14, s20
	;; [unrolled: 1-line block ×3, first 2 shown]
	s_mul_i32 s19, s15, s19
	s_add_u32 s21, s22, s21
	s_addc_u32 s17, 0, s17
	s_mul_hi_u32 s23, s15, s20
	s_add_u32 s19, s21, s19
	s_mul_i32 s20, s15, s20
	s_addc_u32 s17, s17, s24
	s_addc_u32 s19, s23, 0
	s_add_u32 s17, s17, s20
	s_addc_u32 s19, 0, s19
	s_mul_hi_u32 s20, s10, s17
	s_mul_i32 s21, s10, s19
	s_mul_i32 s22, s11, s17
	s_add_i32 s20, s20, s21
	s_mul_i32 s21, s10, s17
	s_add_i32 s20, s20, s22
	s_sub_i32 s22, s15, s20
	s_sub_u32 s14, s14, s21
	s_cselect_b32 s21, -1, 0
	s_cmp_lg_u32 s21, 0
	s_subb_u32 s22, s22, s11
	s_sub_u32 s23, s14, s10
	s_cselect_b32 s24, -1, 0
	s_cmp_lg_u32 s24, 0
	s_subb_u32 s22, s22, 0
	s_cmp_ge_u32 s22, s11
	s_cselect_b32 s24, -1, 0
	s_cmp_ge_u32 s23, s10
	s_cselect_b32 s23, -1, 0
	s_cmp_eq_u32 s22, s11
	s_cselect_b32 s22, s23, s24
	s_add_u32 s23, s17, 1
	s_addc_u32 s24, s19, 0
	s_add_u32 s25, s17, 2
	s_addc_u32 s26, s19, 0
	s_cmp_lg_u32 s22, 0
	s_cselect_b32 s22, s25, s23
	s_cselect_b32 s23, s26, s24
	s_cmp_lg_u32 s21, 0
	s_subb_u32 s15, s15, s20
	s_cmp_ge_u32 s15, s11
	s_cselect_b32 s20, -1, 0
	s_cmp_ge_u32 s14, s10
	s_cselect_b32 s10, -1, 0
	s_cmp_eq_u32 s15, s11
	s_cselect_b32 s10, s10, s20
	s_cmp_lg_u32 s10, 0
	s_cselect_b32 s11, s23, s19
	s_cselect_b32 s10, s22, s17
	s_xor_b64 s[12:13], s[12:13], 0
	s_xor_b64 s[10:11], s[10:11], s[12:13]
	s_sub_u32 s10, s10, s12
	s_load_dwordx4 s[12:15], s[4:5], 0x44
	s_andn2_b32 vcc_lo, exec_lo, s16
	s_cbranch_vccnz .LBB64_3
.LBB64_2:
	v_cvt_f32_u32_e32 v1, s9
	s_sub_i32 s11, 0, s9
	v_rcp_iflag_f32_e32 v1, v1
	v_mul_f32_e32 v1, 0x4f7ffffe, v1
	v_cvt_u32_f32_e32 v1, v1
	v_readfirstlane_b32 s10, v1
	s_mul_i32 s11, s11, s10
	s_mul_hi_u32 s11, s10, s11
	s_add_i32 s10, s10, s11
	s_mul_hi_u32 s10, s18, s10
	s_mul_i32 s11, s10, s9
	s_waitcnt lgkmcnt(0)
	s_add_i32 s15, s10, 1
	s_sub_i32 s11, s18, s11
	s_sub_i32 s16, s11, s9
	s_cmp_ge_u32 s11, s9
	s_cselect_b32 s10, s15, s10
	s_cselect_b32 s11, s16, s11
	s_add_i32 s15, s10, 1
	s_cmp_ge_u32 s11, s9
	s_cselect_b32 s10, s15, s10
.LBB64_3:
	s_add_i32 s11, s6, 1
	s_mov_b32 s16, 0
	s_mul_hi_i32 s17, s3, s11
	s_mul_i32 s11, s3, s11
	s_cmp_lg_u64 s[16:17], 0
	s_cbranch_scc0 .LBB64_22
; %bb.4:
	s_add_u32 s18, s9, 0
	s_addc_u32 s19, 0, 0
	s_xor_b64 s[18:19], s[18:19], 0
	v_cvt_f32_u32_e32 v1, s18
	v_cvt_f32_u32_e32 v2, s19
	s_sub_u32 s21, 0, s18
	s_subb_u32 s22, 0, s19
	v_fmamk_f32 v1, v2, 0x4f800000, v1
	v_rcp_f32_e32 v1, v1
	v_mul_f32_e32 v1, 0x5f7ffffc, v1
	v_mul_f32_e32 v2, 0x2f800000, v1
	v_trunc_f32_e32 v2, v2
	v_fmamk_f32 v1, v2, 0xcf800000, v1
	v_cvt_u32_f32_e32 v2, v2
	v_cvt_u32_f32_e32 v1, v1
	s_waitcnt lgkmcnt(0)
	v_readfirstlane_b32 s15, v2
	v_readfirstlane_b32 s20, v1
	s_mul_i32 s23, s21, s15
	s_mul_hi_u32 s25, s21, s20
	s_mul_i32 s24, s22, s20
	s_add_i32 s23, s25, s23
	s_mul_i32 s26, s21, s20
	s_add_i32 s23, s23, s24
	s_mul_hi_u32 s25, s20, s26
	s_mul_i32 s28, s20, s23
	s_mul_hi_u32 s27, s15, s26
	s_mul_i32 s24, s15, s26
	s_mul_hi_u32 s26, s20, s23
	s_add_u32 s25, s25, s28
	s_addc_u32 s26, 0, s26
	s_mul_hi_u32 s29, s15, s23
	s_add_u32 s24, s25, s24
	s_mul_i32 s23, s15, s23
	s_addc_u32 s24, s26, s27
	s_addc_u32 s25, s29, 0
	s_add_u32 s23, s24, s23
	s_addc_u32 s24, 0, s25
	s_add_u32 s20, s20, s23
	s_cselect_b32 s23, -1, 0
	s_mul_hi_u32 s25, s21, s20
	s_cmp_lg_u32 s23, 0
	s_mul_i32 s23, s21, s20
	s_addc_u32 s15, s15, s24
	s_mul_i32 s22, s22, s20
	s_mul_i32 s21, s21, s15
	s_mul_hi_u32 s24, s20, s23
	s_add_i32 s21, s25, s21
	s_mul_hi_u32 s25, s15, s23
	s_add_i32 s21, s21, s22
	s_mul_i32 s22, s15, s23
	s_mul_i32 s27, s20, s21
	s_mul_hi_u32 s26, s20, s21
	s_add_u32 s24, s24, s27
	s_addc_u32 s26, 0, s26
	s_mul_hi_u32 s23, s15, s21
	s_add_u32 s22, s24, s22
	s_mul_i32 s21, s15, s21
	s_addc_u32 s22, s26, s25
	s_addc_u32 s23, s23, 0
	s_add_u32 s21, s22, s21
	s_addc_u32 s22, 0, s23
	s_add_u32 s24, s20, s21
	s_cselect_b32 s20, -1, 0
	s_cmp_lg_u32 s20, 0
	s_addc_u32 s15, s15, s22
	s_ashr_i32 s20, s17, 31
	s_add_u32 s22, s11, s20
	s_mov_b32 s21, s20
	s_addc_u32 s23, s17, s20
	s_xor_b64 s[22:23], s[22:23], s[20:21]
	s_mul_i32 s25, s22, s15
	s_mul_hi_u32 s26, s22, s24
	s_mul_hi_u32 s17, s22, s15
	;; [unrolled: 1-line block ×3, first 2 shown]
	s_mul_i32 s24, s23, s24
	s_add_u32 s25, s26, s25
	s_addc_u32 s17, 0, s17
	s_mul_hi_u32 s27, s23, s15
	s_add_u32 s24, s25, s24
	s_mul_i32 s15, s23, s15
	s_addc_u32 s17, s17, s28
	s_addc_u32 s24, s27, 0
	s_add_u32 s15, s17, s15
	s_addc_u32 s17, 0, s24
	s_mul_hi_u32 s24, s18, s15
	s_mul_i32 s25, s18, s17
	s_mul_i32 s26, s19, s15
	s_add_i32 s24, s24, s25
	s_mul_i32 s25, s18, s15
	s_add_i32 s24, s24, s26
	s_sub_i32 s26, s23, s24
	s_sub_u32 s22, s22, s25
	s_cselect_b32 s25, -1, 0
	s_cmp_lg_u32 s25, 0
	s_subb_u32 s26, s26, s19
	s_sub_u32 s27, s22, s18
	s_cselect_b32 s28, -1, 0
	s_cmp_lg_u32 s28, 0
	s_subb_u32 s26, s26, 0
	s_cmp_ge_u32 s26, s19
	s_cselect_b32 s28, -1, 0
	s_cmp_ge_u32 s27, s18
	s_cselect_b32 s27, -1, 0
	s_cmp_eq_u32 s26, s19
	s_cselect_b32 s26, s27, s28
	s_add_u32 s27, s15, 1
	s_addc_u32 s28, s17, 0
	s_add_u32 s29, s15, 2
	s_addc_u32 s30, s17, 0
	s_cmp_lg_u32 s26, 0
	s_cselect_b32 s26, s29, s27
	s_cselect_b32 s27, s30, s28
	s_cmp_lg_u32 s25, 0
	s_subb_u32 s23, s23, s24
	s_cmp_ge_u32 s23, s19
	s_cselect_b32 s24, -1, 0
	s_cmp_ge_u32 s22, s18
	s_cselect_b32 s18, -1, 0
	s_cmp_eq_u32 s23, s19
	s_cselect_b32 s18, s18, s24
	s_cmp_lg_u32 s18, 0
	s_cselect_b32 s19, s27, s17
	s_cselect_b32 s18, s26, s15
	s_xor_b64 s[20:21], s[20:21], 0
	s_xor_b64 s[18:19], s[18:19], s[20:21]
	s_sub_u32 s18, s18, s20
	s_andn2_b32 vcc_lo, exec_lo, s16
	s_cbranch_vccnz .LBB64_6
.LBB64_5:
	v_cvt_f32_u32_e32 v1, s9
	s_sub_i32 s16, 0, s9
	v_rcp_iflag_f32_e32 v1, v1
	v_mul_f32_e32 v1, 0x4f7ffffe, v1
	v_cvt_u32_f32_e32 v1, v1
	s_waitcnt lgkmcnt(0)
	v_readfirstlane_b32 s15, v1
	s_mul_i32 s16, s16, s15
	s_mul_hi_u32 s16, s15, s16
	s_add_i32 s15, s15, s16
	s_mul_hi_u32 s15, s11, s15
	s_mul_i32 s16, s15, s9
	s_sub_i32 s11, s11, s16
	s_add_i32 s16, s15, 1
	s_sub_i32 s17, s11, s9
	s_cmp_ge_u32 s11, s9
	s_cselect_b32 s15, s16, s15
	s_cselect_b32 s11, s17, s11
	s_add_i32 s16, s15, 1
	s_cmp_ge_u32 s11, s9
	s_cselect_b32 s18, s16, s15
.LBB64_6:
	s_cmp_eq_u32 s10, s18
	s_waitcnt lgkmcnt(0)
	s_mul_hi_u32 s11, s10, s12
	s_cselect_b32 s15, -1, 0
	s_add_i32 s11, s11, s10
	s_lshr_b32 s11, s11, s13
	s_mul_i32 s16, s11, s14
	s_cmp_eq_u32 s16, s10
	s_mul_hi_u32 s16, s18, s12
	s_cselect_b32 s17, -1, 0
	s_add_i32 s16, s16, s18
	s_lshr_b32 s16, s16, s13
	s_cmp_eq_u32 s11, s16
	s_mul_i32 s16, s16, s14
	s_cselect_b32 s19, -1, 0
	s_cmp_lg_u32 s16, s18
	s_cselect_b32 s16, -1, 0
	s_or_b32 s15, s15, s17
	s_and_b32 s16, s19, s16
	s_or_b32 s15, s15, s16
	s_and_b32 vcc_lo, exec_lo, s15
	s_cbranch_vccnz .LBB64_24
; %bb.7:
	s_clause 0x1
	s_load_dwordx8 s[20:27], s[4:5], 0x20
	s_load_dword s16, s[4:5], 0x40
	s_waitcnt lgkmcnt(0)
	s_mul_hi_u32 s15, s10, s20
	s_add_i32 s15, s15, s10
	s_lshr_b32 s15, s15, s21
	s_mul_i32 s17, s15, s22
	s_sub_i32 s17, s10, s17
	s_mul_hi_u32 s18, s17, s23
	s_add_i32 s18, s17, s18
	s_lshr_b32 s21, s18, s24
	s_mul_i32 s18, s21, s25
	s_sub_i32 s17, s17, s18
	;; [unrolled: 5-line block ×3, first 2 shown]
	s_mul_hi_u32 s17, s16, s12
	s_add_i32 s16, s16, s17
	s_lshr_b32 s20, s16, s13
	s_lshl_b32 s16, s20, 3
	s_add_i32 s16, s16, s7
	s_cmp_lt_i32 s16, s0
	s_cselect_b32 s16, -1, 0
	s_add_i32 s22, s22, s8
	s_cmp_lt_i32 s22, s2
	s_cselect_b32 s17, -1, 0
	s_and_b32 s16, s16, s17
	s_andn2_b32 vcc_lo, exec_lo, s16
	s_cbranch_vccnz .LBB64_24
; %bb.8:
	s_load_dwordx4 s[16:19], s[4:5], 0x0
	s_mov_b32 s4, 0
	s_lshl_b32 s24, s9, 5
	s_mov_b32 s25, s4
	s_add_i32 s8, s7, s8
	s_lshl_b64 s[24:25], s[24:25], 2
	s_mul_i32 s0, s15, s0
	s_mul_i32 s21, s21, s2
	v_cvt_f32_u32_e32 v3, s9
	v_rcp_iflag_f32_e32 v3, v3
	s_waitcnt lgkmcnt(0)
	s_add_u32 s2, s18, s24
	s_addc_u32 s15, s19, s25
	s_add_i32 s0, s0, s7
	s_add_i32 s5, s22, s21
	s_mul_i32 s0, s0, s1
	s_mul_i32 s1, s1, s20
	s_add_i32 s0, s5, s0
	s_mulk_i32 s1, 0x240
	s_mulk_i32 s0, 0x48
	v_mul_f32_e32 v7, 0x4f7ffffe, v3
	v_add3_u32 v1, s1, s0, v0
	s_lshl_b32 s0, s6, 3
	s_add_i32 s0, s0, s8
	v_ashrrev_i32_e32 v2, 31, v1
	s_ashr_i32 s1, s0, 31
	s_lshl_b64 s[0:1], s[0:1], 3
	v_lshlrev_b64 v[1:2], 2, v[1:2]
	s_add_u32 s0, s18, s0
	s_addc_u32 s1, s19, s1
	s_load_dwordx2 s[0:1], s[0:1], 0x0
	v_add_co_u32 v1, vcc_lo, s16, v1
	v_add_co_ci_u32_e64 v2, null, s17, v2, vcc_lo
	s_add_i32 s17, s6, -1
	v_mad_u64_u32 v[3:4], null, 0x48, s8, v[0:1]
	global_load_dword v5, v[1:2], off
	v_cvt_u32_f32_e32 v0, v7
	s_sub_i32 s16, 0, s9
	s_waitcnt lgkmcnt(0)
	v_mov_b32_e32 v4, s1
	v_mov_b32_e32 v6, s0
.LBB64_9:                               ; =>This Inner Loop Header: Depth=1
	s_mul_hi_i32 s5, s17, s3
	s_mul_i32 s6, s17, s3
	s_cmp_lg_u64 s[4:5], 0
	s_mov_b32 s7, -1
                                        ; implicit-def: $sgpr0_sgpr1
	s_cbranch_scc0 .LBB64_11
; %bb.10:                               ;   in Loop: Header=BB64_9 Depth=1
	s_add_u32 s0, s9, 0
	s_addc_u32 s1, 0, 0
	s_xor_b64 s[0:1], s[0:1], 0
	v_cvt_f32_u32_e32 v7, s0
	v_cvt_f32_u32_e32 v8, s1
	s_sub_u32 s21, 0, s0
	s_subb_u32 s22, 0, s1
	v_fmac_f32_e32 v7, 0x4f800000, v8
	v_rcp_f32_e32 v7, v7
	v_mul_f32_e32 v7, 0x5f7ffffc, v7
	v_mul_f32_e32 v8, 0x2f800000, v7
	v_trunc_f32_e32 v8, v8
	v_fmac_f32_e32 v7, 0xcf800000, v8
	v_cvt_u32_f32_e32 v8, v8
	v_cvt_u32_f32_e32 v7, v7
	v_readfirstlane_b32 s7, v8
	v_readfirstlane_b32 s20, v7
	s_mul_i32 s23, s21, s7
	s_mul_hi_u32 s25, s21, s20
	s_mul_i32 s24, s22, s20
	s_add_i32 s23, s25, s23
	s_mul_i32 s26, s21, s20
	s_add_i32 s23, s23, s24
	s_mul_hi_u32 s25, s20, s26
	s_mul_i32 s28, s20, s23
	s_mul_hi_u32 s27, s7, s26
	s_mul_i32 s24, s7, s26
	s_mul_hi_u32 s26, s20, s23
	s_add_u32 s25, s25, s28
	s_addc_u32 s26, 0, s26
	s_mul_hi_u32 s29, s7, s23
	s_add_u32 s24, s25, s24
	s_mul_i32 s23, s7, s23
	s_addc_u32 s24, s26, s27
	s_addc_u32 s25, s29, 0
	s_add_u32 s23, s24, s23
	s_addc_u32 s24, 0, s25
	s_add_u32 s20, s20, s23
	s_cselect_b32 s23, -1, 0
	s_mul_hi_u32 s25, s21, s20
	s_cmp_lg_u32 s23, 0
	s_mul_i32 s23, s21, s20
	s_addc_u32 s7, s7, s24
	s_mul_i32 s22, s22, s20
	s_mul_i32 s21, s21, s7
	s_mul_hi_u32 s24, s20, s23
	s_add_i32 s21, s25, s21
	s_mul_hi_u32 s25, s7, s23
	s_add_i32 s21, s21, s22
	s_mul_i32 s22, s7, s23
	s_mul_i32 s27, s20, s21
	s_mul_hi_u32 s26, s20, s21
	s_add_u32 s24, s24, s27
	s_addc_u32 s26, 0, s26
	s_mul_hi_u32 s23, s7, s21
	s_add_u32 s22, s24, s22
	s_mul_i32 s21, s7, s21
	s_addc_u32 s22, s26, s25
	s_addc_u32 s23, s23, 0
	s_add_u32 s21, s22, s21
	s_addc_u32 s22, 0, s23
	s_add_u32 s24, s20, s21
	s_cselect_b32 s20, -1, 0
	s_cmp_lg_u32 s20, 0
	s_addc_u32 s7, s7, s22
	s_ashr_i32 s20, s5, 31
	s_add_u32 s22, s6, s20
	s_mov_b32 s21, s20
	s_addc_u32 s23, s5, s20
	s_xor_b64 s[22:23], s[22:23], s[20:21]
	s_mul_i32 s25, s22, s7
	s_mul_hi_u32 s26, s22, s24
	s_mul_hi_u32 s5, s22, s7
	;; [unrolled: 1-line block ×3, first 2 shown]
	s_mul_i32 s24, s23, s24
	s_add_u32 s25, s26, s25
	s_addc_u32 s5, 0, s5
	s_mul_hi_u32 s27, s23, s7
	s_add_u32 s24, s25, s24
	s_mul_i32 s7, s23, s7
	s_addc_u32 s5, s5, s28
	s_addc_u32 s24, s27, 0
	s_add_u32 s5, s5, s7
	s_addc_u32 s7, 0, s24
	s_mul_hi_u32 s24, s0, s5
	s_mul_i32 s25, s0, s7
	s_mul_i32 s26, s1, s5
	s_add_i32 s24, s24, s25
	s_mul_i32 s25, s0, s5
	s_add_i32 s24, s24, s26
	s_sub_i32 s26, s23, s24
	s_sub_u32 s22, s22, s25
	s_cselect_b32 s25, -1, 0
	s_cmp_lg_u32 s25, 0
	s_subb_u32 s26, s26, s1
	s_sub_u32 s27, s22, s0
	s_cselect_b32 s28, -1, 0
	s_cmp_lg_u32 s28, 0
	s_subb_u32 s26, s26, 0
	s_cmp_ge_u32 s26, s1
	s_cselect_b32 s28, -1, 0
	s_cmp_ge_u32 s27, s0
	s_cselect_b32 s27, -1, 0
	s_cmp_eq_u32 s26, s1
	s_cselect_b32 s26, s27, s28
	s_add_u32 s27, s5, 1
	s_addc_u32 s28, s7, 0
	s_add_u32 s29, s5, 2
	s_addc_u32 s30, s7, 0
	s_cmp_lg_u32 s26, 0
	s_cselect_b32 s26, s29, s27
	s_cselect_b32 s27, s30, s28
	s_cmp_lg_u32 s25, 0
	s_subb_u32 s23, s23, s24
	s_cmp_ge_u32 s23, s1
	s_cselect_b32 s24, -1, 0
	s_cmp_ge_u32 s22, s0
	s_cselect_b32 s0, -1, 0
	s_cmp_eq_u32 s23, s1
	s_cselect_b32 s0, s0, s24
	s_cmp_lg_u32 s0, 0
	s_cselect_b32 s1, s27, s7
	s_cselect_b32 s0, s26, s5
	s_xor_b64 s[20:21], s[20:21], 0
	s_mov_b32 s7, 0
	s_xor_b64 s[0:1], s[0:1], s[20:21]
	s_sub_u32 s0, s0, s20
.LBB64_11:                              ;   in Loop: Header=BB64_9 Depth=1
	s_andn2_b32 vcc_lo, exec_lo, s7
	s_cbranch_vccnz .LBB64_13
; %bb.12:                               ;   in Loop: Header=BB64_9 Depth=1
	v_readfirstlane_b32 s0, v0
	s_mul_i32 s1, s16, s0
	s_mul_hi_u32 s1, s0, s1
	s_add_i32 s0, s0, s1
	s_mul_hi_u32 s0, s6, s0
	s_mul_i32 s1, s0, s9
	s_add_i32 s5, s0, 1
	s_sub_i32 s1, s6, s1
	s_sub_i32 s6, s1, s9
	s_cmp_ge_u32 s1, s9
	s_cselect_b32 s0, s5, s0
	s_cselect_b32 s1, s6, s1
	s_add_i32 s5, s0, 1
	s_cmp_ge_u32 s1, s9
	s_cselect_b32 s0, s5, s0
.LBB64_13:                              ;   in Loop: Header=BB64_9 Depth=1
	s_cmp_lg_u32 s10, s0
	s_mov_b32 s6, -1
                                        ; implicit-def: $sgpr5
                                        ; implicit-def: $vgpr8
                                        ; implicit-def: $vgpr7
                                        ; implicit-def: $vgpr9
                                        ; implicit-def: $sgpr1
                                        ; implicit-def: $sgpr20
	s_cbranch_scc0 .LBB64_18
; %bb.14:                               ;   in Loop: Header=BB64_9 Depth=1
	s_add_i32 s1, s17, s9
	s_mov_b32 s7, s4
	s_lshl_b32 s1, s1, 3
	s_mov_b32 s20, s10
	s_add_i32 s6, s1, s8
	s_mul_hi_u32 s1, s0, s12
	s_lshl_b64 s[6:7], s[6:7], 3
	s_add_u32 s6, s18, s6
	s_addc_u32 s7, s19, s7
	s_add_i32 s1, s1, s0
	s_lshr_b32 s1, s1, s13
	s_mul_i32 s5, s1, s14
	s_cmp_eq_u32 s5, s0
	s_cselect_b32 s5, -1, 0
	s_cmp_lt_u32 s1, s11
	s_cselect_b32 s1, -1, 0
	s_or_b32 s1, s1, s5
	s_mov_b32 s5, -1
	s_and_b32 vcc_lo, exec_lo, s1
	s_mov_b32 s1, s17
	s_cbranch_vccnz .LBB64_16
; %bb.15:                               ;   in Loop: Header=BB64_9 Depth=1
	s_add_i32 s1, s17, -1
	s_mov_b32 s5, 0
	s_mov_b32 s20, s0
.LBB64_16:                              ;   in Loop: Header=BB64_9 Depth=1
	v_mad_u64_u32 v[7:8], null, 0x240, s17, v[3:4]
	s_load_dwordx2 s[6:7], s[6:7], 0x0
	v_ashrrev_i32_e32 v8, 31, v7
	v_lshlrev_b64 v[7:8], 2, v[7:8]
	v_add_co_u32 v7, vcc_lo, s2, v7
	v_add_co_ci_u32_e64 v8, null, s15, v8, vcc_lo
	s_waitcnt lgkmcnt(0)
	v_max_f32_e64 v9, s6, s6
	global_load_dword v8, v[7:8], off
	v_max_f32_e32 v7, v6, v6
	v_max_f32_e32 v7, v7, v9
	v_sub_f32_e32 v9, s6, v7
	v_sub_f32_e32 v10, v6, v7
	v_mul_f32_e32 v11, 0x3fb8aa3b, v9
	v_mul_f32_e32 v12, 0x3fb8aa3b, v10
	v_cmp_ngt_f32_e32 vcc_lo, 0xc2ce8ed0, v9
	v_fma_f32 v13, 0x3fb8aa3b, v9, -v11
	v_rndne_f32_e32 v14, v11
	v_fma_f32 v15, 0x3fb8aa3b, v10, -v12
	v_rndne_f32_e32 v16, v12
	v_fmac_f32_e32 v13, 0x32a5705f, v9
	v_sub_f32_e32 v11, v11, v14
	v_fmac_f32_e32 v15, 0x32a5705f, v10
	v_sub_f32_e32 v12, v12, v16
	v_add_f32_e32 v11, v11, v13
	v_cvt_i32_f32_e32 v13, v14
	v_add_f32_e32 v12, v12, v15
	v_cvt_i32_f32_e32 v14, v16
	v_exp_f32_e32 v11, v11
	v_exp_f32_e32 v12, v12
	v_ldexp_f32 v11, v11, v13
	v_ldexp_f32 v12, v12, v14
	v_cndmask_b32_e32 v11, 0, v11, vcc_lo
	v_cmp_ngt_f32_e32 vcc_lo, 0xc2ce8ed0, v10
	v_cndmask_b32_e32 v12, 0, v12, vcc_lo
	v_cmp_nlt_f32_e32 vcc_lo, 0x42b17218, v9
	v_cndmask_b32_e32 v11, 0x7f800000, v11, vcc_lo
	v_cmp_nlt_f32_e32 vcc_lo, 0x42b17218, v10
	v_cndmask_b32_e32 v12, 0x7f800000, v12, vcc_lo
	v_cmp_le_f32_e32 vcc_lo, 0xc1a00000, v9
	v_cndmask_b32_e32 v9, 0, v11, vcc_lo
	v_cmp_le_f32_e32 vcc_lo, 0xc1a00000, v10
	v_cndmask_b32_e32 v10, 0, v12, vcc_lo
	s_waitcnt vmcnt(0)
	v_mul_f32_e32 v8, v8, v9
	v_mul_f32_e32 v9, s7, v9
	v_fmac_f32_e32 v8, v5, v10
	v_fmac_f32_e32 v9, v4, v10
	s_cbranch_execz .LBB64_19
.LBB64_17:                              ;   in Loop: Header=BB64_9 Depth=1
	s_andn2_b32 vcc_lo, exec_lo, s5
	s_cbranch_vccnz .LBB64_20
	s_branch .LBB64_23
.LBB64_18:                              ;   in Loop: Header=BB64_9 Depth=1
	s_andn2_b32 vcc_lo, exec_lo, s6
	s_cbranch_vccnz .LBB64_17
.LBB64_19:                              ;   in Loop: Header=BB64_9 Depth=1
	v_mov_b32_e32 v9, v4
	v_mov_b32_e32 v7, v6
	s_waitcnt vmcnt(0)
	v_mov_b32_e32 v8, v5
	s_add_i32 s1, s17, -1
	s_mov_b32 s20, s10
	s_cbranch_execz .LBB64_23
.LBB64_20:                              ;   in Loop: Header=BB64_9 Depth=1
	v_mov_b32_e32 v4, v9
	v_mov_b32_e32 v6, v7
	s_waitcnt vmcnt(0)
	v_mov_b32_e32 v5, v8
	s_mov_b32 s10, s20
	s_mov_b32 s17, s1
	s_branch .LBB64_9
.LBB64_21:
                                        ; implicit-def: $sgpr10_sgpr11
	s_load_dwordx4 s[12:15], s[4:5], 0x44
	s_branch .LBB64_2
.LBB64_22:
                                        ; implicit-def: $sgpr18_sgpr19
	s_branch .LBB64_5
.LBB64_23:
	v_div_scale_f32 v0, null, v9, v9, v8
	v_rcp_f32_e32 v3, v0
	v_fma_f32 v4, -v0, v3, 1.0
	v_fmac_f32_e32 v3, v4, v3
	v_div_scale_f32 v4, vcc_lo, v8, v9, v8
	s_waitcnt vmcnt(0)
	v_mul_f32_e32 v5, v4, v3
	v_fma_f32 v6, -v0, v5, v4
	v_fmac_f32_e32 v5, v6, v3
	v_fma_f32 v0, -v0, v5, v4
	v_div_fmas_f32 v0, v0, v3, v5
	v_div_fixup_f32 v0, v0, v9, v8
	global_store_dword v[1:2], v0, off
.LBB64_24:
	s_endpgm
	.section	.rodata,"a",@progbits
	.p2align	6, 0x0
	.amdhsa_kernel _ZL33flash_attn_stream_k_fixup_generalILi72ELi8ELi1EEvPfPK15HIP_vector_typeIfLj2EEiiiiS1_IjLj3EES5_S5_S5_
		.amdhsa_group_segment_fixed_size 0
		.amdhsa_private_segment_fixed_size 0
		.amdhsa_kernarg_size 336
		.amdhsa_user_sgpr_count 6
		.amdhsa_user_sgpr_private_segment_buffer 1
		.amdhsa_user_sgpr_dispatch_ptr 0
		.amdhsa_user_sgpr_queue_ptr 0
		.amdhsa_user_sgpr_kernarg_segment_ptr 1
		.amdhsa_user_sgpr_dispatch_id 0
		.amdhsa_user_sgpr_flat_scratch_init 0
		.amdhsa_user_sgpr_private_segment_size 0
		.amdhsa_wavefront_size32 1
		.amdhsa_uses_dynamic_stack 0
		.amdhsa_system_sgpr_private_segment_wavefront_offset 0
		.amdhsa_system_sgpr_workgroup_id_x 1
		.amdhsa_system_sgpr_workgroup_id_y 1
		.amdhsa_system_sgpr_workgroup_id_z 1
		.amdhsa_system_sgpr_workgroup_info 0
		.amdhsa_system_vgpr_workitem_id 0
		.amdhsa_next_free_vgpr 17
		.amdhsa_next_free_sgpr 31
		.amdhsa_reserve_vcc 1
		.amdhsa_reserve_flat_scratch 0
		.amdhsa_float_round_mode_32 0
		.amdhsa_float_round_mode_16_64 0
		.amdhsa_float_denorm_mode_32 3
		.amdhsa_float_denorm_mode_16_64 3
		.amdhsa_dx10_clamp 1
		.amdhsa_ieee_mode 1
		.amdhsa_fp16_overflow 0
		.amdhsa_workgroup_processor_mode 1
		.amdhsa_memory_ordered 1
		.amdhsa_forward_progress 1
		.amdhsa_shared_vgpr_count 0
		.amdhsa_exception_fp_ieee_invalid_op 0
		.amdhsa_exception_fp_denorm_src 0
		.amdhsa_exception_fp_ieee_div_zero 0
		.amdhsa_exception_fp_ieee_overflow 0
		.amdhsa_exception_fp_ieee_underflow 0
		.amdhsa_exception_fp_ieee_inexact 0
		.amdhsa_exception_int_div_zero 0
	.end_amdhsa_kernel
	.section	.text._ZL33flash_attn_stream_k_fixup_generalILi72ELi8ELi1EEvPfPK15HIP_vector_typeIfLj2EEiiiiS1_IjLj3EES5_S5_S5_,"axG",@progbits,_ZL33flash_attn_stream_k_fixup_generalILi72ELi8ELi1EEvPfPK15HIP_vector_typeIfLj2EEiiiiS1_IjLj3EES5_S5_S5_,comdat
.Lfunc_end64:
	.size	_ZL33flash_attn_stream_k_fixup_generalILi72ELi8ELi1EEvPfPK15HIP_vector_typeIfLj2EEiiiiS1_IjLj3EES5_S5_S5_, .Lfunc_end64-_ZL33flash_attn_stream_k_fixup_generalILi72ELi8ELi1EEvPfPK15HIP_vector_typeIfLj2EEiiiiS1_IjLj3EES5_S5_S5_
                                        ; -- End function
	.set _ZL33flash_attn_stream_k_fixup_generalILi72ELi8ELi1EEvPfPK15HIP_vector_typeIfLj2EEiiiiS1_IjLj3EES5_S5_S5_.num_vgpr, 17
	.set _ZL33flash_attn_stream_k_fixup_generalILi72ELi8ELi1EEvPfPK15HIP_vector_typeIfLj2EEiiiiS1_IjLj3EES5_S5_S5_.num_agpr, 0
	.set _ZL33flash_attn_stream_k_fixup_generalILi72ELi8ELi1EEvPfPK15HIP_vector_typeIfLj2EEiiiiS1_IjLj3EES5_S5_S5_.numbered_sgpr, 31
	.set _ZL33flash_attn_stream_k_fixup_generalILi72ELi8ELi1EEvPfPK15HIP_vector_typeIfLj2EEiiiiS1_IjLj3EES5_S5_S5_.num_named_barrier, 0
	.set _ZL33flash_attn_stream_k_fixup_generalILi72ELi8ELi1EEvPfPK15HIP_vector_typeIfLj2EEiiiiS1_IjLj3EES5_S5_S5_.private_seg_size, 0
	.set _ZL33flash_attn_stream_k_fixup_generalILi72ELi8ELi1EEvPfPK15HIP_vector_typeIfLj2EEiiiiS1_IjLj3EES5_S5_S5_.uses_vcc, 1
	.set _ZL33flash_attn_stream_k_fixup_generalILi72ELi8ELi1EEvPfPK15HIP_vector_typeIfLj2EEiiiiS1_IjLj3EES5_S5_S5_.uses_flat_scratch, 0
	.set _ZL33flash_attn_stream_k_fixup_generalILi72ELi8ELi1EEvPfPK15HIP_vector_typeIfLj2EEiiiiS1_IjLj3EES5_S5_S5_.has_dyn_sized_stack, 0
	.set _ZL33flash_attn_stream_k_fixup_generalILi72ELi8ELi1EEvPfPK15HIP_vector_typeIfLj2EEiiiiS1_IjLj3EES5_S5_S5_.has_recursion, 0
	.set _ZL33flash_attn_stream_k_fixup_generalILi72ELi8ELi1EEvPfPK15HIP_vector_typeIfLj2EEiiiiS1_IjLj3EES5_S5_S5_.has_indirect_call, 0
	.section	.AMDGPU.csdata,"",@progbits
; Kernel info:
; codeLenInByte = 2940
; TotalNumSgprs: 33
; NumVgprs: 17
; ScratchSize: 0
; MemoryBound: 0
; FloatMode: 240
; IeeeMode: 1
; LDSByteSize: 0 bytes/workgroup (compile time only)
; SGPRBlocks: 0
; VGPRBlocks: 2
; NumSGPRsForWavesPerEU: 33
; NumVGPRsForWavesPerEU: 17
; Occupancy: 16
; WaveLimiterHint : 0
; COMPUTE_PGM_RSRC2:SCRATCH_EN: 0
; COMPUTE_PGM_RSRC2:USER_SGPR: 6
; COMPUTE_PGM_RSRC2:TRAP_HANDLER: 0
; COMPUTE_PGM_RSRC2:TGID_X_EN: 1
; COMPUTE_PGM_RSRC2:TGID_Y_EN: 1
; COMPUTE_PGM_RSRC2:TGID_Z_EN: 1
; COMPUTE_PGM_RSRC2:TIDIG_COMP_CNT: 0
	.section	.text._ZL15flash_attn_tileILi72ELi72ELi4ELi1ELb0EEvPKcS1_S1_S1_S1_PKiPfP15HIP_vector_typeIfLj2EEffffjfiS5_IjLj3EEiiiiiiiiiiiliiliiiiil,"axG",@progbits,_ZL15flash_attn_tileILi72ELi72ELi4ELi1ELb0EEvPKcS1_S1_S1_S1_PKiPfP15HIP_vector_typeIfLj2EEffffjfiS5_IjLj3EEiiiiiiiiiiiliiliiiiil,comdat
	.globl	_ZL15flash_attn_tileILi72ELi72ELi4ELi1ELb0EEvPKcS1_S1_S1_S1_PKiPfP15HIP_vector_typeIfLj2EEffffjfiS5_IjLj3EEiiiiiiiiiiiliiliiiiil ; -- Begin function _ZL15flash_attn_tileILi72ELi72ELi4ELi1ELb0EEvPKcS1_S1_S1_S1_PKiPfP15HIP_vector_typeIfLj2EEffffjfiS5_IjLj3EEiiiiiiiiiiiliiliiiiil
	.p2align	8
	.type	_ZL15flash_attn_tileILi72ELi72ELi4ELi1ELb0EEvPKcS1_S1_S1_S1_PKiPfP15HIP_vector_typeIfLj2EEffffjfiS5_IjLj3EEiiiiiiiiiiiliiliiiiil,@function
_ZL15flash_attn_tileILi72ELi72ELi4ELi1ELb0EEvPKcS1_S1_S1_S1_PKiPfP15HIP_vector_typeIfLj2EEffffjfiS5_IjLj3EEiiiiiiiiiiiliiliiiiil: ; @_ZL15flash_attn_tileILi72ELi72ELi4ELi1ELb0EEvPKcS1_S1_S1_S1_PKiPfP15HIP_vector_typeIfLj2EEffffjfiS5_IjLj3EEiiiiiiiiiiiliiliiiiil
; %bb.0:
	s_add_u32 s6, s6, s11
	s_addc_u32 s7, s7, 0
	s_setreg_b32 hwreg(HW_REG_FLAT_SCR_LO), s6
	s_setreg_b32 hwreg(HW_REG_FLAT_SCR_HI), s7
	s_clause 0x1
	s_load_dwordx4 s[28:31], s[4:5], 0x5c
	s_load_dwordx2 s[44:45], s[4:5], 0x80
	s_add_u32 s0, s0, s11
	s_addc_u32 s1, s1, 0
	s_mov_b32 s34, s9
	s_mov_b64 s[42:43], 0
	s_waitcnt lgkmcnt(0)
	v_cvt_f32_u32_e32 v2, s31
	s_sub_i32 s7, 0, s31
	v_rcp_iflag_f32_e32 v2, v2
	v_mul_f32_e32 v2, 0x4f7ffffe, v2
	v_cvt_u32_f32_e32 v2, v2
	v_readfirstlane_b32 s6, v2
	s_mul_i32 s7, s7, s6
	s_mul_hi_u32 s7, s6, s7
	s_add_i32 s6, s6, s7
	s_mul_hi_u32 s6, s10, s6
	s_mul_i32 s7, s6, s31
	s_add_i32 s9, s6, 1
	s_sub_i32 s7, s10, s7
	s_sub_i32 s11, s7, s31
	s_cmp_ge_u32 s7, s31
	s_cselect_b32 s6, s9, s6
	s_cselect_b32 s7, s11, s7
	s_add_i32 s9, s6, 1
	s_cmp_ge_u32 s7, s31
	s_cselect_b32 s33, s9, s6
	s_abs_i32 s6, s45
	s_abs_i32 s12, s31
	v_cvt_f32_u32_e32 v2, s6
	s_sub_i32 s9, 0, s6
	s_xor_b32 s11, s31, s45
	s_ashr_i32 s11, s11, 31
	v_rcp_iflag_f32_e32 v2, v2
	v_mul_f32_e32 v2, 0x4f7ffffe, v2
	v_cvt_u32_f32_e32 v2, v2
	v_readfirstlane_b32 s7, v2
	s_mul_i32 s9, s9, s7
	s_mul_hi_u32 s9, s7, s9
	s_add_i32 s7, s7, s9
	s_mul_i32 s9, s33, s31
	s_mul_hi_u32 s7, s12, s7
	s_sub_i32 s40, s10, s9
	s_mul_i32 s13, s7, s6
	s_add_i32 s10, s7, 1
	s_sub_i32 s9, s12, s13
	s_sub_i32 s12, s9, s6
	s_cmp_ge_u32 s9, s6
	s_cselect_b32 s7, s10, s7
	s_cselect_b32 s9, s12, s9
	s_add_i32 s10, s7, 1
	s_cmp_ge_u32 s9, s6
	s_clause 0x1
	s_load_dwordx16 s[12:27], s[4:5], 0x0
	s_load_dwordx2 s[46:47], s[4:5], 0xb8
	s_cselect_b32 s6, s10, s7
	s_xor_b32 s6, s6, s11
	s_sub_i32 s10, s6, s11
	s_abs_i32 s35, s10
	v_cvt_f32_u32_e32 v2, s35
	s_sub_i32 s6, 0, s35
	v_rcp_iflag_f32_e32 v2, v2
	s_waitcnt lgkmcnt(0)
	s_cmp_eq_u64 s[18:19], 0
	v_mul_f32_e32 v2, 0x4f7ffffe, v2
	v_cvt_u32_f32_e32 v2, v2
	v_readfirstlane_b32 s11, v2
	s_mul_i32 s6, s6, s11
	s_mul_hi_u32 s6, s11, s6
	s_cbranch_scc1 .LBB65_2
; %bb.1:
	s_abs_i32 s7, s46
	s_abs_i32 s38, s33
	v_cvt_f32_u32_e32 v2, s7
	s_sub_i32 s36, 0, s7
	v_rcp_iflag_f32_e32 v2, v2
	v_mul_f32_e32 v2, 0x4f7ffffe, v2
	v_cvt_u32_f32_e32 v2, v2
	v_readfirstlane_b32 s9, v2
	s_mul_i32 s36, s36, s9
	s_mul_hi_u32 s36, s9, s36
	s_add_i32 s9, s9, s36
	s_load_dwordx2 s[36:37], s[4:5], 0xc8
	s_mul_hi_u32 s9, s38, s9
	s_mul_i32 s9, s9, s7
	s_sub_i32 s9, s38, s9
	s_ashr_i32 s38, s33, 31
	s_sub_i32 s39, s9, s7
	s_cmp_ge_u32 s9, s7
	s_cselect_b32 s9, s39, s9
	s_sub_i32 s39, s9, s7
	s_cmp_ge_u32 s9, s7
	s_cselect_b32 s7, s39, s9
	s_xor_b32 s7, s7, s38
	s_sub_i32 s7, s7, s38
	s_ashr_i32 s9, s7, 31
	s_waitcnt lgkmcnt(0)
	s_mul_hi_u32 s38, s36, s7
	s_mul_i32 s9, s36, s9
	s_mul_i32 s37, s37, s7
	s_add_i32 s9, s38, s9
	s_mul_i32 s7, s36, s7
	s_add_i32 s9, s9, s37
	s_add_u32 s42, s18, s7
	s_addc_u32 s43, s19, s9
.LBB65_2:
	s_clause 0x1
	s_load_dwordx4 s[36:39], s[4:5], 0x40
	s_load_dword s7, s[4:5], 0x50
	v_mov_b32_e32 v20, 1.0
	s_add_i32 s11, s11, s6
	s_waitcnt lgkmcnt(0)
	v_cmp_le_f32_e64 s9, s37, 0
	s_abs_i32 s37, s40
	s_and_b32 vcc_lo, exec_lo, s9
	s_cbranch_vccnz .LBB65_4
; %bb.3:
	v_sub_co_u32 v3, vcc_lo, s40, s7
	v_mov_b32_e32 v2, s38
	s_add_i32 s6, s40, 1
	v_lshlrev_b32_e32 v3, 1, v3
	v_cndmask_b32_e32 v2, s39, v2, vcc_lo
	v_or_b32_e32 v3, 1, v3
	v_cndmask_b32_e64 v3, v3, s6, vcc_lo
	v_cmp_neq_f32_e32 vcc_lo, 1.0, v2
	s_mov_b32 s6, 0x3e76c4e1
	v_cvt_f32_i32_e32 v3, v3
	v_cndmask_b32_e32 v4, 1.0, v3, vcc_lo
	v_cmp_neq_f32_e32 vcc_lo, 0, v4
	v_cndmask_b32_e32 v5, 1.0, v2, vcc_lo
	v_frexp_mant_f32_e64 v2, |v5|
	v_cmp_eq_f32_e64 s9, 0, v5
	v_cmp_gt_f32_e32 vcc_lo, 0x3f2aaaab, v2
	v_cndmask_b32_e64 v3, 1.0, 2.0, vcc_lo
	v_mul_f32_e32 v2, v2, v3
	v_add_f32_e32 v3, 1.0, v2
	v_add_f32_e32 v7, -1.0, v2
	v_rcp_f32_e32 v6, v3
	v_add_f32_e32 v9, -1.0, v3
	v_sub_f32_e32 v2, v2, v9
	v_mul_f32_e32 v8, v7, v6
	v_mul_f32_e32 v10, v3, v8
	v_fma_f32 v3, v8, v3, -v10
	v_fmac_f32_e32 v3, v8, v2
	v_add_f32_e32 v2, v10, v3
	v_sub_f32_e32 v9, v7, v2
	v_sub_f32_e32 v10, v2, v10
	;; [unrolled: 1-line block ×5, first 2 shown]
	v_add_f32_e32 v2, v3, v2
	v_add_f32_e32 v2, v9, v2
	v_mul_f32_e32 v2, v6, v2
	v_add_f32_e32 v6, v8, v2
	v_sub_f32_e32 v3, v6, v8
	v_mul_f32_e32 v7, v6, v6
	v_sub_f32_e32 v8, v2, v3
	v_fma_f32 v2, v6, v6, -v7
	v_add_f32_e32 v3, v8, v8
	v_fmac_f32_e32 v2, v6, v3
	v_add_f32_e32 v9, v7, v2
	v_fmaak_f32 v3, s6, v9, 0x3e91f4c4
	v_sub_f32_e32 v7, v9, v7
	v_mul_f32_e32 v14, v6, v9
	v_fmaak_f32 v3, v9, v3, 0x3ecccdef
	v_sub_f32_e32 v7, v2, v7
	v_fma_f32 v15, v9, v6, -v14
	v_mul_f32_e32 v10, v9, v3
	v_fmac_f32_e32 v15, v9, v8
	v_ldexp_f32 v8, v8, 1
	v_fma_f32 v11, v9, v3, -v10
	v_fmac_f32_e32 v15, v7, v6
	v_fmac_f32_e32 v11, v7, v3
	v_cvt_f64_f32_e64 v[2:3], |v5|
	v_add_f32_e32 v12, v10, v11
	v_sub_f32_e32 v10, v12, v10
	v_add_f32_e32 v13, 0x3f2aaaaa, v12
	v_sub_f32_e32 v10, v11, v10
	v_add_f32_e32 v11, 0xbf2aaaaa, v13
	v_add_f32_e32 v10, 0x31739010, v10
	v_sub_f32_e32 v11, v12, v11
	v_frexp_exp_i32_f64_e32 v2, v[2:3]
	v_add_f32_e32 v9, v10, v11
	v_add_f32_e32 v10, v14, v15
	;; [unrolled: 1-line block ×3, first 2 shown]
	v_sub_f32_e32 v12, v10, v14
	v_sub_f32_e32 v3, v13, v7
	v_mul_f32_e32 v11, v10, v7
	v_sub_f32_e32 v12, v15, v12
	v_add_f32_e32 v3, v9, v3
	v_fma_f32 v9, v10, v7, -v11
	v_subrev_co_ci_u32_e64 v2, null, 0, v2, vcc_lo
	v_fmac_f32_e32 v9, v10, v3
	v_ldexp_f32 v3, v6, 1
	v_cvt_f32_i32_e32 v2, v2
	v_fmac_f32_e32 v9, v12, v7
	v_add_f32_e32 v6, v11, v9
	v_add_f32_e32 v7, v3, v6
	v_sub_f32_e32 v10, v6, v11
	v_mul_f32_e32 v11, 0x3f317218, v2
	v_sub_f32_e32 v3, v7, v3
	v_sub_f32_e32 v9, v9, v10
	v_fma_f32 v10, 0x3f317218, v2, -v11
	v_sub_f32_e32 v3, v6, v3
	v_add_f32_e32 v6, v8, v9
	v_fmamk_f32 v2, v2, 0xb102e308, v10
	v_add_f32_e32 v3, v6, v3
	v_add_f32_e32 v6, v11, v2
	;; [unrolled: 1-line block ×3, first 2 shown]
	v_sub_f32_e32 v11, v6, v11
	v_add_f32_e32 v9, v6, v8
	v_sub_f32_e32 v7, v8, v7
	v_sub_f32_e32 v2, v2, v11
	;; [unrolled: 1-line block ×6, first 2 shown]
	v_add_f32_e32 v8, v2, v3
	v_sub_f32_e32 v6, v6, v12
	v_add_f32_e32 v6, v7, v6
	v_sub_f32_e32 v7, v8, v2
	;; [unrolled: 2-line block ×3, first 2 shown]
	v_sub_f32_e32 v3, v3, v7
	v_add_f32_e32 v10, v9, v6
	v_sub_f32_e32 v2, v2, v8
	v_sub_f32_e32 v7, v10, v9
	v_add_f32_e32 v2, v3, v2
	v_sub_f32_e32 v3, v6, v7
	v_add_f32_e32 v2, v2, v3
	v_add_f32_e32 v3, v10, v2
	v_sub_f32_e32 v6, v3, v10
	v_mul_f32_e32 v7, v4, v3
	v_sub_f32_e32 v2, v2, v6
	v_fma_f32 v3, v4, v3, -v7
	v_cmp_class_f32_e64 vcc_lo, v7, 0x204
	v_fmac_f32_e32 v3, v4, v2
	v_add_f32_e32 v2, v7, v3
	v_cndmask_b32_e32 v6, v2, v7, vcc_lo
	v_sub_f32_e32 v2, v2, v7
	v_cmp_eq_f32_e32 vcc_lo, 0x42b17218, v6
	v_sub_f32_e32 v2, v3, v2
	v_cndmask_b32_e64 v8, 0, 0x37000000, vcc_lo
	v_cmp_neq_f32_e64 vcc_lo, 0x7f800000, |v6|
	v_sub_f32_e32 v9, v6, v8
	v_cndmask_b32_e32 v2, 0, v2, vcc_lo
	v_trunc_f32_e32 v6, v4
	v_mul_f32_e32 v10, 0x3fb8aa3b, v9
	v_cmp_ngt_f32_e32 vcc_lo, 0xc2ce8ed0, v9
	v_add_f32_e32 v2, v8, v2
	v_fma_f32 v11, 0x3fb8aa3b, v9, -v10
	v_rndne_f32_e32 v12, v10
	v_fmamk_f32 v11, v9, 0x32a5705f, v11
	v_sub_f32_e32 v10, v10, v12
	v_cvt_i32_f32_e32 v7, v12
	v_add_f32_e32 v10, v10, v11
	v_exp_f32_e32 v10, v10
	v_ldexp_f32 v3, v10, v7
	v_mul_f32_e32 v7, 0.5, v4
	v_cndmask_b32_e32 v3, 0, v3, vcc_lo
	v_cmp_nlt_f32_e32 vcc_lo, 0x42b17218, v9
	v_trunc_f32_e32 v10, v7
	v_cndmask_b32_e32 v3, 0x7f800000, v3, vcc_lo
	v_cmp_eq_f32_e32 vcc_lo, v6, v4
	v_cmp_neq_f32_e64 s6, v10, v7
	v_fma_f32 v2, v3, v2, v3
	v_cmp_class_f32_e64 s7, v3, 0x204
	s_and_b32 s6, vcc_lo, s6
	v_cndmask_b32_e64 v6, 1.0, v5, s6
	v_cndmask_b32_e64 v2, v2, v3, s7
	v_cmp_gt_f32_e64 s7, 0, v4
	v_bfi_b32 v2, 0x7fffffff, v2, v6
	s_xor_b32 s7, s7, s9
	v_cndmask_b32_e64 v6, 0, v5, s6
	v_cndmask_b32_e64 v3, 0x7f800000, 0, s7
	v_cmp_class_f32_e64 s6, v5, 0x204
	v_cndmask_b32_e32 v4, 0x7fc00000, v2, vcc_lo
	v_cmp_gt_f32_e32 vcc_lo, 0, v5
	v_bfi_b32 v3, 0x7fffffff, v3, v6
	v_cndmask_b32_e32 v2, v2, v4, vcc_lo
	s_or_b32 vcc_lo, s9, s6
	v_cndmask_b32_e32 v2, v2, v3, vcc_lo
	v_cmp_o_f32_e32 vcc_lo, v5, v5
	v_cndmask_b32_e32 v20, 0x7fc00000, v2, vcc_lo
.LBB65_4:
	s_lshl_b32 s7, s8, 2
	s_movk_i32 s9, 0x90
	v_cmp_gt_u32_e64 s6, 18, v0
	v_mad_u32_u24 v23, v1, s9, 0x14e0
	v_lshlrev_b32_e32 v16, 3, v0
	v_add_nc_u32_e32 v2, s7, v1
	s_mul_hi_u32 s7, s37, s11
	s_and_saveexec_b32 s9, s6
	s_cbranch_execz .LBB65_6
; %bb.5:
	v_mul_hi_u32 v3, s28, v2
	s_load_dwordx4 s[48:51], s[4:5], 0x70
	v_add_nc_u32_e32 v7, v23, v16
	v_add_nc_u32_e32 v3, v2, v3
	v_lshrrev_b32_e32 v3, s29, v3
	v_mul_lo_u32 v3, v3, s30
	s_waitcnt lgkmcnt(0)
	s_mul_i32 s11, s33, s50
	s_mul_i32 s18, s40, s49
	s_ashr_i32 s19, s11, 31
	s_add_u32 s11, s12, s11
	s_addc_u32 s12, s13, s19
	s_ashr_i32 s13, s18, 31
	s_add_u32 s11, s11, s18
	v_sub_nc_u32_e32 v5, v2, v3
	s_addc_u32 s18, s12, s13
	s_ashr_i32 s49, s48, 31
	s_lshr_b64 s[12:13], s[48:49], 2
	v_mad_u64_u32 v[3:4], null, s12, v5, 0
	s_lshr_b32 s12, s49, 2
	v_mad_u64_u32 v[4:5], null, s12, v5, v[4:5]
	v_lshlrev_b32_e32 v5, 4, v0
	v_lshlrev_b64 v[3:4], 2, v[3:4]
	v_add_co_u32 v3, vcc_lo, s11, v3
	v_add_co_ci_u32_e64 v4, null, s18, v4, vcc_lo
	v_add_co_u32 v3, vcc_lo, v3, v5
	v_add_co_ci_u32_e64 v4, null, 0, v4, vcc_lo
	global_load_dwordx4 v[3:6], v[3:4], off
	s_waitcnt vmcnt(0)
	v_fma_mixlo_f16 v4, s36, v4, 0
	v_fma_mixlo_f16 v3, s36, v3, 0
	;; [unrolled: 1-line block ×4, first 2 shown]
	v_lshlrev_b32_e32 v4, 16, v4
	v_and_b32_e32 v3, 0xffff, v3
	v_and_b32_e32 v5, 0xffff, v5
	v_lshlrev_b32_e32 v6, 16, v6
	v_or_b32_e32 v3, v4, v3
	v_or3_b32 v4, v6, v5, 0
	v_or3_b32 v3, 0, 0, v3
	ds_write_b64 v7, v[3:4]
.LBB65_6:
	s_or_b32 exec_lo, exec_lo, s9
	s_ashr_i32 s41, s40, 31
	s_ashr_i32 s13, s10, 31
	s_cmp_eq_u64 s[22:23], 0
	s_waitcnt lgkmcnt(0)
	s_barrier
	buffer_gl0_inv
	s_cbranch_scc1 .LBB65_8
; %bb.7:
	s_load_dword s9, s[4:5], 0xd0
	s_waitcnt lgkmcnt(0)
	s_mul_i32 s9, s9, s33
	s_add_i32 s8, s9, s8
	s_mov_b32 s9, 0
	s_lshl_b64 s[8:9], s[8:9], 2
	s_add_u32 s8, s22, s8
	s_addc_u32 s9, s23, s9
	s_load_dword s44, s[8:9], 0x0
.LBB65_8:
	s_clause 0x2
	s_load_dwordx2 s[22:23], s[4:5], 0x8c
	s_load_dwordx4 s[8:11], s[4:5], 0x98
	s_load_dwordx2 s[38:39], s[4:5], 0xa8
	s_ashr_i32 s36, s33, 31
	s_ashr_i32 s18, s47, 1
	s_mul_i32 s45, s7, s35
	v_lshl_add_u32 v21, v1, 5, v0
	v_lshrrev_b32_e32 v28, 3, v0
	v_lshlrev_b32_e32 v27, 2, v0
	v_mul_u32_u24_e32 v25, 0xa0, v0
	v_lshl_add_u32 v18, v1, 6, 0x1720
	v_mbcnt_lo_u32_b32 v17, -1, 0
	s_waitcnt lgkmcnt(0)
	s_ashr_i32 s19, s22, 2
	s_ashr_i32 s12, s10, 2
	s_mul_hi_u32 s10, s8, s33
	s_mul_i32 s22, s8, s36
	s_mul_i32 s9, s9, s33
	s_add_i32 s10, s10, s22
	s_mul_i32 s8, s8, s33
	s_add_i32 s10, s10, s9
	s_add_u32 s8, s14, s8
	s_addc_u32 s9, s15, s10
	s_xor_b32 s10, s41, s13
	s_sub_i32 s13, s37, s45
	s_add_i32 s14, s7, 1
	s_sub_i32 s15, s13, s35
	s_cmp_ge_u32 s13, s35
	s_mul_i32 s22, s39, s33
	s_cselect_b32 s7, s14, s7
	s_cselect_b32 s13, s15, s13
	s_add_i32 s14, s7, 1
	s_cmp_ge_u32 s13, s35
	s_mul_hi_u32 s13, s38, s33
	s_cselect_b32 s7, s14, s7
	s_mul_i32 s14, s38, s36
	s_xor_b32 s7, s7, s10
	s_sub_i32 s7, s7, s10
	s_mul_i32 s10, s7, s23
	s_mul_i32 s23, s38, s33
	s_ashr_i32 s15, s10, 31
	s_add_u32 s10, s8, s10
	s_addc_u32 s15, s9, s15
	s_add_i32 s8, s13, s14
	s_mul_i32 s7, s7, s11
	s_add_i32 s8, s8, s22
	s_add_u32 s9, s16, s23
	s_addc_u32 s8, s17, s8
	s_ashr_i32 s13, s7, 31
	s_add_u32 s11, s9, s7
	s_addc_u32 s13, s8, s13
	s_lshl_b32 s14, s34, 5
	s_sub_i32 s16, s44, 32
	s_cmp_ge_i32 s14, s16
	s_cbranch_scc1 .LBB65_19
; %bb.9:
	v_mul_hi_u32 v3, s28, v2
	v_lshl_add_u32 v9, v1, 2, v28
	v_and_b32_e32 v22, 28, v27
	v_mul_lo_u32 v5, s19, v21
	v_mul_lo_u32 v10, s12, v21
	s_movk_i32 s8, 0x80
	v_mul_lo_u32 v7, s19, v9
	v_add_nc_u32_e32 v4, 16, v9
	v_add_nc_u32_e32 v3, v2, v3
	v_mul_lo_u32 v14, s12, v9
	v_lshlrev_b32_e32 v24, 2, v22
	v_ashrrev_i32_e32 v6, 31, v5
	v_mul_lo_u32 v12, s12, v4
	v_lshrrev_b32_e32 v3, s29, v3
	v_lshl_add_u32 v36, s19, 4, v7
	v_ashrrev_i32_e32 v11, 31, v10
	v_ashrrev_i32_e32 v8, 31, v7
	;; [unrolled: 1-line block ×3, first 2 shown]
	v_mul_lo_u32 v3, v3, s30
	v_ashrrev_i32_e32 v37, 31, v36
	v_ashrrev_i32_e32 v13, 31, v12
	v_mad_u32_u24 v31, 0xa0, v9, v24
	v_mad_u32_u24 v32, 0x90, v4, v24
	s_movk_i32 s9, 0x90
	v_mad_u32_u24 v34, 0x90, v9, v24
	v_lshlrev_b64 v[10:11], 2, v[10:11]
	v_sub_nc_u32_e32 v3, v2, v3
	v_lshlrev_b64 v[12:13], 2, v[12:13]
	v_lshlrev_b64 v[14:15], 2, v[14:15]
	v_cmp_gt_u32_e64 s7, 32, v21
	v_mov_b32_e32 v19, 0
	v_mad_u64_u32 v[3:4], null, v3, s18, v[0:1]
	v_lshlrev_b64 v[4:5], 2, v[5:6]
	v_lshlrev_b64 v[6:7], 2, v[7:8]
	;; [unrolled: 1-line block ×3, first 2 shown]
	s_cmp_lg_u64 s[42:43], 0
	v_mad_u32_u24 v29, 0xa0, v21, s8
	v_mad_u32_u24 v30, v21, s9, 0x80
	v_add_nc_u32_e32 v33, 0xa00, v31
	v_mov_b32_e32 v39, 0xfeffffff
	v_lshlrev_b32_e32 v35, 2, v22
	v_mbcnt_lo_u32_b32 v36, -1, 0
	v_mov_b32_e32 v37, 0x10001
	v_mov_b32_e32 v22, 0
	;; [unrolled: 1-line block ×3, first 2 shown]
	s_cselect_b32 s17, -1, 0
	s_add_u32 s8, s4, 0xd0
	s_addc_u32 s9, s5, 0
.LBB65_10:                              ; =>This Inner Loop Header: Depth=1
	s_mul_hi_i32 s23, s14, s19
	s_mul_i32 s22, s14, s19
	s_lshl_b64 s[22:23], s[22:23], 2
	s_add_u32 s22, s10, s22
	s_addc_u32 s23, s15, s23
	s_and_saveexec_b32 s35, s7
	s_cbranch_execz .LBB65_12
; %bb.11:                               ;   in Loop: Header=BB65_10 Depth=1
	v_add_co_u32 v40, vcc_lo, s22, v4
	v_add_co_ci_u32_e64 v41, null, s23, v5, vcc_lo
	global_load_dwordx4 v[40:43], v[40:41], off offset:128
	s_waitcnt vmcnt(0)
	ds_write_b128 v29, v[40:43]
.LBB65_12:                              ;   in Loop: Header=BB65_10 Depth=1
	s_or_b32 exec_lo, exec_lo, s35
	v_add_co_u32 v24, vcc_lo, s22, v6
	v_add_co_ci_u32_e64 v26, null, s23, v7, vcc_lo
	v_add_co_u32 v42, vcc_lo, s22, v8
	v_add_co_ci_u32_e64 v43, null, s23, v9, vcc_lo
	;; [unrolled: 2-line block ×4, first 2 shown]
	s_clause 0x1
	global_load_dwordx4 v[40:43], v[40:41], off
	global_load_dwordx4 v[44:47], v[44:45], off
	v_mov_b32_e32 v24, 0
	s_andn2_b32 vcc_lo, exec_lo, s17
	s_waitcnt vmcnt(1)
	ds_write_b128 v31, v[40:43]
	s_waitcnt vmcnt(0)
	ds_write_b128 v33, v[44:47]
	s_waitcnt lgkmcnt(0)
	s_barrier
	buffer_gl0_inv
	ds_read_b128 v[40:43], v25
	ds_read_b128 v[44:47], v23
	s_waitcnt lgkmcnt(0)
	;;#ASMSTART
	v_dot2_f32_f16 v24, v40, v44, v24
	;;#ASMEND
	;;#ASMSTART
	v_dot2_f32_f16 v24, v41, v45, v24
	;;#ASMEND
	;;#ASMSTART
	v_dot2_f32_f16 v24, v42, v46, v24
	;;#ASMEND
	;;#ASMSTART
	v_dot2_f32_f16 v24, v43, v47, v24
	;;#ASMEND
	ds_read_b128 v[40:43], v25 offset:16
	ds_read_b128 v[44:47], v23 offset:16
	s_waitcnt lgkmcnt(0)
	;;#ASMSTART
	v_dot2_f32_f16 v24, v40, v44, v24
	;;#ASMEND
	;;#ASMSTART
	v_dot2_f32_f16 v24, v41, v45, v24
	;;#ASMEND
	;;#ASMSTART
	v_dot2_f32_f16 v24, v42, v46, v24
	;;#ASMEND
	;;#ASMSTART
	v_dot2_f32_f16 v24, v43, v47, v24
	;;#ASMEND
	ds_read_b128 v[40:43], v25 offset:32
	ds_read_b128 v[44:47], v23 offset:32
	;; [unrolled: 15-line block ×8, first 2 shown]
	s_waitcnt lgkmcnt(0)
	;;#ASMSTART
	v_dot2_f32_f16 v24, v40, v44, v24
	;;#ASMEND
	;;#ASMSTART
	v_dot2_f32_f16 v24, v41, v45, v24
	;;#ASMEND
	;; [unrolled: 3-line block ×4, first 2 shown]
	s_cbranch_vccnz .LBB65_14
; %bb.13:                               ;   in Loop: Header=BB65_10 Depth=1
	v_add_nc_u32_e32 v40, s14, v3
	v_ashrrev_i32_e32 v41, 31, v40
	v_lshlrev_b64 v[40:41], 1, v[40:41]
	v_add_co_u32 v40, vcc_lo, s42, v40
	v_add_co_ci_u32_e64 v41, null, s43, v41, vcc_lo
	global_load_ushort v26, v[40:41], off
	s_waitcnt vmcnt(0)
	v_cvt_f32_f16_e32 v26, v26
	v_mul_f32_e32 v26, v20, v26
	s_branch .LBB65_15
.LBB65_14:                              ;   in Loop: Header=BB65_10 Depth=1
	v_mov_b32_e32 v26, 0
.LBB65_15:                              ;   in Loop: Header=BB65_10 Depth=1
	v_xor_b32_e32 v40, 16, v36
	v_add_f32_e32 v24, v24, v26
	v_max_f32_e32 v26, v39, v39
	s_mul_hi_i32 s23, s14, s12
	s_mul_i32 s22, s14, s12
	v_cmp_gt_i32_e32 vcc_lo, 32, v40
	v_add_f32_e32 v41, 0x40051340, v24
	s_lshl_b64 s[22:23], s[22:23], 2
	s_add_u32 s22, s11, s22
	v_cndmask_b32_e32 v40, v36, v40, vcc_lo
	v_max_f32_e32 v26, v26, v41
	v_xor_b32_e32 v41, 8, v36
	s_addc_u32 s23, s13, s23
	s_barrier
	v_lshlrev_b32_e32 v40, 2, v40
	buffer_gl0_inv
	v_cmp_gt_i32_e32 vcc_lo, 32, v41
	ds_bpermute_b32 v40, v40, v26
	v_cndmask_b32_e32 v41, v36, v41, vcc_lo
	v_lshlrev_b32_e32 v41, 2, v41
	s_waitcnt lgkmcnt(0)
	v_max_f32_e32 v40, v40, v40
	v_max_f32_e32 v26, v26, v40
	ds_bpermute_b32 v40, v41, v26
	v_xor_b32_e32 v41, 4, v36
	v_cmp_gt_i32_e32 vcc_lo, 32, v41
	v_cndmask_b32_e32 v41, v36, v41, vcc_lo
	v_lshlrev_b32_e32 v41, 2, v41
	s_waitcnt lgkmcnt(0)
	v_max_f32_e32 v40, v40, v40
	v_max_f32_e32 v26, v26, v40
	ds_bpermute_b32 v40, v41, v26
	v_xor_b32_e32 v41, 2, v36
	v_cmp_gt_i32_e32 vcc_lo, 32, v41
	;; [unrolled: 8-line block ×3, first 2 shown]
	v_cndmask_b32_e32 v41, v36, v41, vcc_lo
	v_lshlrev_b32_e32 v41, 2, v41
	s_waitcnt lgkmcnt(0)
	v_max_f32_e32 v40, v40, v40
	v_max_f32_e32 v26, v26, v40
	ds_bpermute_b32 v40, v41, v26
	s_waitcnt lgkmcnt(0)
	v_max_f32_e32 v40, v40, v40
	v_max_f32_e32 v26, v26, v40
	v_sub_f32_e32 v24, v24, v26
	v_mul_f32_e32 v40, 0x3fb8aa3b, v24
	v_cmp_ngt_f32_e32 vcc_lo, 0xc2ce8ed0, v24
	v_fma_f32 v41, 0x3fb8aa3b, v24, -v40
	v_rndne_f32_e32 v42, v40
	v_fmac_f32_e32 v41, 0x32a5705f, v24
	v_sub_f32_e32 v40, v40, v42
	v_add_f32_e32 v40, v40, v41
	v_cvt_i32_f32_e32 v41, v42
	v_exp_f32_e32 v40, v40
	v_ldexp_f32 v40, v40, v41
	v_lshl_add_u32 v41, v0, 1, v18
	v_cndmask_b32_e32 v40, 0, v40, vcc_lo
	v_cmp_nlt_f32_e32 vcc_lo, 0x42b17218, v24
	v_cndmask_b32_e32 v24, 0x7f800000, v40, vcc_lo
	v_cvt_f16_f32_e32 v40, v24
	ds_write_b16 v41, v40
	s_and_saveexec_b32 s35, s7
	s_cbranch_execz .LBB65_17
; %bb.16:                               ;   in Loop: Header=BB65_10 Depth=1
	v_add_co_u32 v40, vcc_lo, s22, v10
	v_add_co_ci_u32_e64 v41, null, s23, v11, vcc_lo
	global_load_dwordx4 v[40:43], v[40:41], off offset:128
	s_waitcnt vmcnt(0)
	ds_write_b128 v30, v[40:43]
.LBB65_17:                              ;   in Loop: Header=BB65_10 Depth=1
	s_or_b32 exec_lo, exec_lo, s35
	v_add_co_u32 v40, vcc_lo, s22, v14
	v_add_co_ci_u32_e64 v41, null, s23, v15, vcc_lo
	v_add_co_u32 v42, vcc_lo, s22, v12
	v_add_co_ci_u32_e64 v43, null, s23, v13, vcc_lo
	;; [unrolled: 2-line block ×4, first 2 shown]
	s_clause 0x1
	global_load_dwordx4 v[40:43], v[40:41], off
	global_load_dwordx4 v[44:47], v[44:45], off
	v_sub_f32_e32 v48, v39, v26
	s_waitcnt vmcnt(1)
	ds_write_b128 v34, v[40:43]
	s_waitcnt vmcnt(0)
	ds_write_b128 v32, v[44:47]
	v_mul_f32_e32 v39, 0x3fb8aa3b, v48
	s_waitcnt lgkmcnt(0)
	s_barrier
	buffer_gl0_inv
	ds_read2_b64 v[43:46], v16 offset1:18
	v_fma_f32 v49, 0x3fb8aa3b, v48, -v39
	v_rndne_f32_e32 v50, v39
	v_cmp_ngt_f32_e32 vcc_lo, 0xc2ce8ed0, v48
	v_fmac_f32_e32 v49, 0x32a5705f, v48
	v_sub_f32_e32 v39, v39, v50
	v_cvt_i32_f32_e32 v50, v50
	v_add_f32_e32 v39, v39, v49
	v_exp_f32_e32 v49, v39
	ds_read_b128 v[39:42], v18
	v_ldexp_f32 v47, v49, v50
	v_cndmask_b32_e32 v47, 0, v47, vcc_lo
	v_cmp_nlt_f32_e32 vcc_lo, 0x42b17218, v48
	v_cndmask_b32_e32 v59, 0x7f800000, v47, vcc_lo
	ds_read_b128 v[47:50], v18 offset:16
	ds_read2_b64 v[51:54], v16 offset0:36 offset1:54
	s_waitcnt lgkmcnt(2)
	v_mul_u32_u24_sdwa v56, v39, v37 dst_sel:DWORD dst_unused:UNUSED_PAD src0_sel:WORD_0 src1_sel:DWORD
	v_mul_u32_u24_sdwa v39, v39, v37 dst_sel:DWORD dst_unused:UNUSED_PAD src0_sel:WORD_1 src1_sel:DWORD
	v_cvt_f16_f32_e32 v55, v59
	v_fmac_f32_e32 v24, v38, v59
	v_pk_mul_f16 v43, v43, v56
	v_pk_mul_f16 v44, v44, v56
	v_mul_u32_u24_sdwa v60, v55, v37 dst_sel:DWORD dst_unused:UNUSED_PAD src0_sel:WORD_0 src1_sel:DWORD
	ds_read2_b64 v[55:58], v16 offset0:72 offset1:90
	v_pk_fma_f16 v19, v19, v60, v43
	v_pk_fma_f16 v22, v22, v60, v44
	v_mul_u32_u24_sdwa v60, v40, v37 dst_sel:DWORD dst_unused:UNUSED_PAD src0_sel:WORD_0 src1_sel:DWORD
	v_pk_fma_f16 v19, v45, v39, v19
	v_pk_fma_f16 v22, v46, v39, v22
	ds_read2_b64 v[43:46], v16 offset0:108 offset1:126
	v_mul_u32_u24_sdwa v39, v40, v37 dst_sel:DWORD dst_unused:UNUSED_PAD src0_sel:WORD_1 src1_sel:DWORD
	v_mul_u32_u24_sdwa v40, v41, v37 dst_sel:DWORD dst_unused:UNUSED_PAD src0_sel:WORD_0 src1_sel:DWORD
	s_waitcnt lgkmcnt(2)
	v_pk_fma_f16 v19, v51, v60, v19
	v_pk_fma_f16 v22, v52, v60, v22
	v_add_nc_u32_e32 v60, 0x800, v16
	v_mul_u32_u24_sdwa v61, v50, v37 dst_sel:DWORD dst_unused:UNUSED_PAD src0_sel:WORD_1 src1_sel:DWORD
	v_pk_fma_f16 v19, v53, v39, v19
	v_pk_fma_f16 v22, v54, v39, v22
	ds_read2_b64 v[51:54], v16 offset0:144 offset1:162
	v_mul_u32_u24_sdwa v39, v41, v37 dst_sel:DWORD dst_unused:UNUSED_PAD src0_sel:WORD_1 src1_sel:DWORD
	s_waitcnt lgkmcnt(2)
	v_pk_fma_f16 v19, v55, v40, v19
	v_pk_fma_f16 v22, v56, v40, v22
	v_mul_u32_u24_sdwa v40, v42, v37 dst_sel:DWORD dst_unused:UNUSED_PAD src0_sel:WORD_0 src1_sel:DWORD
	v_pk_fma_f16 v19, v57, v39, v19
	v_pk_fma_f16 v22, v58, v39, v22
	ds_read2_b64 v[55:58], v16 offset0:180 offset1:198
	v_mul_u32_u24_sdwa v39, v42, v37 dst_sel:DWORD dst_unused:UNUSED_PAD src0_sel:WORD_1 src1_sel:DWORD
	s_waitcnt lgkmcnt(2)
	v_pk_fma_f16 v19, v43, v40, v19
	v_pk_fma_f16 v22, v44, v40, v22
	v_mul_u32_u24_sdwa v43, v47, v37 dst_sel:DWORD dst_unused:UNUSED_PAD src0_sel:WORD_0 src1_sel:DWORD
	v_mul_u32_u24_sdwa v44, v47, v37 dst_sel:DWORD dst_unused:UNUSED_PAD src0_sel:WORD_1 src1_sel:DWORD
	v_mul_u32_u24_sdwa v47, v48, v37 dst_sel:DWORD dst_unused:UNUSED_PAD src0_sel:WORD_0 src1_sel:DWORD
	v_pk_fma_f16 v19, v45, v39, v19
	v_pk_fma_f16 v22, v46, v39, v22
	ds_read2_b64 v[39:42], v16 offset0:216 offset1:234
	v_mul_u32_u24_sdwa v48, v48, v37 dst_sel:DWORD dst_unused:UNUSED_PAD src0_sel:WORD_1 src1_sel:DWORD
	s_waitcnt lgkmcnt(2)
	v_pk_fma_f16 v19, v51, v43, v19
	v_pk_fma_f16 v22, v52, v43, v22
	v_add_nc_u32_e32 v43, 0x400, v16
	v_pk_fma_f16 v19, v53, v44, v19
	v_pk_fma_f16 v22, v54, v44, v22
	ds_read2_b64 v[43:46], v43 offset0:124 offset1:142
	ds_read_b128 v[51:54], v18 offset:32
	s_waitcnt lgkmcnt(3)
	v_pk_fma_f16 v19, v55, v47, v19
	v_pk_fma_f16 v22, v56, v47, v22
	v_mul_u32_u24_sdwa v47, v49, v37 dst_sel:DWORD dst_unused:UNUSED_PAD src0_sel:WORD_0 src1_sel:DWORD
	v_pk_fma_f16 v19, v57, v48, v19
	v_pk_fma_f16 v22, v58, v48, v22
	ds_read2_b64 v[55:58], v60 offset0:32 offset1:50
	v_mul_u32_u24_sdwa v48, v49, v37 dst_sel:DWORD dst_unused:UNUSED_PAD src0_sel:WORD_1 src1_sel:DWORD
	s_waitcnt lgkmcnt(3)
	v_pk_fma_f16 v19, v39, v47, v19
	v_pk_fma_f16 v22, v40, v47, v22
	v_mul_u32_u24_sdwa v47, v50, v37 dst_sel:DWORD dst_unused:UNUSED_PAD src0_sel:WORD_0 src1_sel:DWORD
	v_pk_fma_f16 v19, v41, v48, v19
	v_pk_fma_f16 v22, v42, v48, v22
	ds_read2_b64 v[39:42], v60 offset0:68 offset1:86
	s_waitcnt lgkmcnt(3)
	v_pk_fma_f16 v19, v43, v47, v19
	v_pk_fma_f16 v22, v44, v47, v22
	ds_read_b128 v[47:50], v18 offset:48
	s_waitcnt lgkmcnt(3)
	v_mul_u32_u24_sdwa v62, v51, v37 dst_sel:DWORD dst_unused:UNUSED_PAD src0_sel:WORD_0 src1_sel:DWORD
	v_mul_u32_u24_sdwa v51, v51, v37 dst_sel:DWORD dst_unused:UNUSED_PAD src0_sel:WORD_1 src1_sel:DWORD
	v_pk_fma_f16 v19, v45, v61, v19
	v_pk_fma_f16 v22, v46, v61, v22
	ds_read2_b64 v[43:46], v60 offset0:104 offset1:122
	v_mul_u32_u24_sdwa v61, v52, v37 dst_sel:DWORD dst_unused:UNUSED_PAD src0_sel:WORD_0 src1_sel:DWORD
	s_waitcnt lgkmcnt(3)
	v_pk_fma_f16 v19, v55, v62, v19
	v_pk_fma_f16 v22, v56, v62, v22
	;; [unrolled: 1-line block ×4, first 2 shown]
	ds_read2_b64 v[55:58], v60 offset0:140 offset1:158
	v_mul_u32_u24_sdwa v51, v52, v37 dst_sel:DWORD dst_unused:UNUSED_PAD src0_sel:WORD_1 src1_sel:DWORD
	v_mul_u32_u24_sdwa v52, v53, v37 dst_sel:DWORD dst_unused:UNUSED_PAD src0_sel:WORD_0 src1_sel:DWORD
	s_waitcnt lgkmcnt(3)
	v_pk_fma_f16 v19, v39, v61, v19
	v_pk_fma_f16 v22, v40, v61, v22
	;; [unrolled: 1-line block ×4, first 2 shown]
	ds_read2_b64 v[39:42], v60 offset0:176 offset1:194
	v_mul_u32_u24_sdwa v51, v53, v37 dst_sel:DWORD dst_unused:UNUSED_PAD src0_sel:WORD_1 src1_sel:DWORD
	s_waitcnt lgkmcnt(2)
	v_pk_fma_f16 v19, v43, v52, v19
	v_pk_fma_f16 v22, v44, v52, v22
	v_mul_u32_u24_sdwa v52, v54, v37 dst_sel:DWORD dst_unused:UNUSED_PAD src0_sel:WORD_0 src1_sel:DWORD
	v_pk_fma_f16 v19, v45, v51, v19
	v_pk_fma_f16 v22, v46, v51, v22
	ds_read2_b64 v[43:46], v60 offset0:212 offset1:230
	v_mul_u32_u24_sdwa v51, v54, v37 dst_sel:DWORD dst_unused:UNUSED_PAD src0_sel:WORD_1 src1_sel:DWORD
	s_waitcnt lgkmcnt(2)
	v_pk_fma_f16 v19, v55, v52, v19
	v_pk_fma_f16 v22, v56, v52, v22
	v_add_nc_u32_e32 v52, 0xc00, v16
	v_mul_u32_u24_sdwa v55, v47, v37 dst_sel:DWORD dst_unused:UNUSED_PAD src0_sel:WORD_0 src1_sel:DWORD
	v_mul_u32_u24_sdwa v47, v47, v37 dst_sel:DWORD dst_unused:UNUSED_PAD src0_sel:WORD_1 src1_sel:DWORD
	v_pk_fma_f16 v19, v57, v51, v19
	v_pk_fma_f16 v22, v58, v51, v22
	ds_read2_b64 v[51:54], v52 offset0:120 offset1:138
	v_add_nc_u32_e32 v56, 0x1000, v16
	s_waitcnt lgkmcnt(2)
	v_pk_fma_f16 v19, v39, v55, v19
	v_pk_fma_f16 v22, v40, v55, v22
	v_mul_u32_u24_sdwa v39, v48, v37 dst_sel:DWORD dst_unused:UNUSED_PAD src0_sel:WORD_0 src1_sel:DWORD
	ds_read2_b64 v[55:58], v56 offset0:28 offset1:46
	v_mul_u32_u24_sdwa v40, v48, v37 dst_sel:DWORD dst_unused:UNUSED_PAD src0_sel:WORD_1 src1_sel:DWORD
	v_pk_fma_f16 v19, v41, v47, v19
	v_pk_fma_f16 v22, v42, v47, v22
	s_waitcnt lgkmcnt(0)
	s_barrier
	buffer_gl0_inv
	v_pk_fma_f16 v19, v43, v39, v19
	v_pk_fma_f16 v22, v44, v39, v22
	s_load_dword s22, s[8:9], 0x4
	v_mul_u32_u24_sdwa v39, v49, v37 dst_sel:DWORD dst_unused:UNUSED_PAD src0_sel:WORD_0 src1_sel:DWORD
	v_pk_fma_f16 v19, v45, v40, v19
	v_pk_fma_f16 v22, v46, v40, v22
	v_mul_u32_u24_sdwa v40, v49, v37 dst_sel:DWORD dst_unused:UNUSED_PAD src0_sel:WORD_1 src1_sel:DWORD
	v_pk_fma_f16 v19, v51, v39, v19
	v_pk_fma_f16 v22, v52, v39, v22
	v_mul_u32_u24_sdwa v39, v50, v37 dst_sel:DWORD dst_unused:UNUSED_PAD src0_sel:WORD_0 src1_sel:DWORD
	v_pk_fma_f16 v19, v53, v40, v19
	v_pk_fma_f16 v22, v54, v40, v22
	v_mul_u32_u24_sdwa v40, v50, v37 dst_sel:DWORD dst_unused:UNUSED_PAD src0_sel:WORD_1 src1_sel:DWORD
	v_pk_fma_f16 v19, v55, v39, v19
	v_pk_fma_f16 v22, v56, v39, v22
	s_waitcnt lgkmcnt(0)
	s_lshl_b32 s22, s22, 5
	s_add_i32 s14, s22, s14
	v_pk_fma_f16 v19, v57, v40, v19
	v_pk_fma_f16 v22, v58, v40, v22
	s_cmp_lt_i32 s14, s16
	s_cbranch_scc0 .LBB65_20
; %bb.18:                               ;   in Loop: Header=BB65_10 Depth=1
	v_mov_b32_e32 v39, v26
	v_mov_b32_e32 v38, v24
	s_branch .LBB65_10
.LBB65_19:
	v_mov_b32_e32 v22, 0
	v_mov_b32_e32 v24, 0
	;; [unrolled: 1-line block ×4, first 2 shown]
.LBB65_20:
	s_cmp_gt_i32 s44, s14
	s_cbranch_scc1 .LBB65_23
; %bb.21:
	v_mbcnt_lo_u32_b32 v10, -1, 0
	v_mov_b32_e32 v9, 32
	v_xor_b32_e32 v4, 16, v10
	v_xor_b32_e32 v5, 8, v10
	;; [unrolled: 1-line block ×5, first 2 shown]
	s_cbranch_execz .LBB65_24
; %bb.22:
	v_mov_b32_e32 v3, v26
	v_mov_b32_e32 v17, v10
	s_branch .LBB65_33
.LBB65_23:
                                        ; implicit-def: $vgpr10
                                        ; implicit-def: $vgpr9
                                        ; implicit-def: $vgpr4
                                        ; implicit-def: $vgpr5
                                        ; implicit-def: $vgpr6
                                        ; implicit-def: $vgpr7
                                        ; implicit-def: $vgpr8
.LBB65_24:
	s_mul_hi_i32 s9, s14, s19
	s_mul_i32 s8, s14, s19
	s_sub_i32 s16, s44, s14
	s_lshl_b64 s[22:23], s[8:9], 2
	v_cmp_gt_u32_e64 s9, 32, v21
	s_add_u32 s8, s10, s22
	s_addc_u32 s10, s15, s23
	v_cmp_gt_i32_e32 vcc_lo, s16, v21
	s_and_saveexec_b32 s15, s9
	s_cbranch_execz .LBB65_26
; %bb.25:
	v_mul_lo_u32 v3, s19, v21
	s_mov_b64 s[22:23], src_private_base
	v_mov_b32_e32 v5, 0
	v_mul_u32_u24_e32 v7, 0xa0, v21
	buffer_store_dword v5, off, s[0:3], 0
	buffer_store_dword v5, off, s[0:3], 0 offset:4
	buffer_store_dword v5, off, s[0:3], 0 offset:8
	;; [unrolled: 1-line block ×3, first 2 shown]
	v_ashrrev_i32_e32 v4, 31, v3
	v_lshlrev_b64 v[3:4], 2, v[3:4]
	v_add_co_u32 v3, s7, s8, v3
	v_add_co_ci_u32_e64 v4, null, s10, v4, s7
	v_add_co_u32 v3, s7, 0x80, v3
	v_add_co_ci_u32_e64 v4, null, 0, v4, s7
	v_cndmask_b32_e32 v3, 0, v3, vcc_lo
	v_cndmask_b32_e32 v4, s23, v4, vcc_lo
	flat_load_dwordx4 v[3:6], v[3:4]
	s_waitcnt vmcnt(0) lgkmcnt(0)
	ds_write_b128 v7, v[3:6] offset:128
.LBB65_26:
	s_or_b32 exec_lo, exec_lo, s15
	v_lshl_add_u32 v10, v1, 2, v28
	v_and_b32_e32 v1, 28, v27
	s_mov_b64 s[22:23], src_private_base
	s_mov_b32 s15, exec_lo
	v_mul_lo_u32 v8, s19, v10
	v_lshlrev_b32_e32 v1, 2, v1
	v_add_nc_u32_e32 v11, 16, v10
	v_mad_u32_u24 v12, 0xa0, v10, v1
	v_ashrrev_i32_e32 v9, 31, v8
	v_lshlrev_b64 v[3:4], 2, v[8:9]
	v_lshl_add_u32 v8, s19, 4, v8
	v_ashrrev_i32_e32 v9, 31, v8
	v_add_co_u32 v3, s7, s8, v3
	v_add_co_ci_u32_e64 v4, null, s10, v4, s7
	v_lshlrev_b64 v[8:9], 2, v[8:9]
	v_add_co_u32 v6, s7, v3, v1
	v_add_co_ci_u32_e64 v4, null, 0, v4, s7
	v_cmp_gt_i32_e64 s7, s16, v10
	v_mov_b32_e32 v3, 0
	buffer_store_dword v3, off, s[0:3], 0
	buffer_store_dword v3, off, s[0:3], 0 offset:4
	buffer_store_dword v3, off, s[0:3], 0 offset:8
	buffer_store_dword v3, off, s[0:3], 0 offset:12
	v_cndmask_b32_e64 v5, s23, v4, s7
	v_cndmask_b32_e64 v4, 0, v6, s7
	v_add_co_u32 v8, s8, s8, v8
	v_add_co_ci_u32_e64 v9, null, s10, v9, s8
	flat_load_dwordx4 v[4:7], v[4:5]
	v_add_co_u32 v8, s8, v8, v1
	v_add_co_ci_u32_e64 v9, null, 0, v9, s8
	v_cmp_gt_i32_e64 s8, s16, v11
	buffer_store_dword v3, off, s[0:3], 0
	buffer_store_dword v3, off, s[0:3], 0 offset:4
	buffer_store_dword v3, off, s[0:3], 0 offset:8
	;; [unrolled: 1-line block ×3, first 2 shown]
	v_cndmask_b32_e64 v9, s23, v9, s8
	v_cndmask_b32_e64 v8, 0, v8, s8
	s_waitcnt vmcnt(0) lgkmcnt(0)
	ds_write_b128 v12, v[4:7]
	flat_load_dwordx4 v[4:7], v[8:9]
	v_mov_b32_e32 v9, 0
	s_waitcnt vmcnt(0) lgkmcnt(0)
	ds_write_b128 v12, v[4:7] offset:2560
	s_waitcnt lgkmcnt(0)
	s_waitcnt_vscnt null, 0x0
	s_barrier
	buffer_gl0_inv
	ds_read_b128 v[4:7], v25
	ds_read_b128 v[12:15], v23
	s_waitcnt lgkmcnt(0)
	;;#ASMSTART
	v_dot2_f32_f16 v9, v4, v12, v9
	;;#ASMEND
	;;#ASMSTART
	v_dot2_f32_f16 v9, v5, v13, v9
	;;#ASMEND
	;;#ASMSTART
	v_dot2_f32_f16 v9, v6, v14, v9
	;;#ASMEND
	;;#ASMSTART
	v_dot2_f32_f16 v9, v7, v15, v9
	;;#ASMEND
	ds_read_b128 v[4:7], v25 offset:16
	ds_read_b128 v[12:15], v23 offset:16
	s_waitcnt lgkmcnt(0)
	;;#ASMSTART
	v_dot2_f32_f16 v9, v4, v12, v9
	;;#ASMEND
	;;#ASMSTART
	v_dot2_f32_f16 v9, v5, v13, v9
	;;#ASMEND
	;;#ASMSTART
	v_dot2_f32_f16 v9, v6, v14, v9
	;;#ASMEND
	;;#ASMSTART
	v_dot2_f32_f16 v9, v7, v15, v9
	;;#ASMEND
	ds_read_b128 v[4:7], v25 offset:32
	ds_read_b128 v[12:15], v23 offset:32
	;; [unrolled: 15-line block ×8, first 2 shown]
	v_mov_b32_e32 v6, v26
	s_waitcnt lgkmcnt(0)
	;;#ASMSTART
	v_dot2_f32_f16 v9, v12, v27, v9
	;;#ASMEND
	;;#ASMSTART
	v_dot2_f32_f16 v9, v13, v28, v9
	;;#ASMEND
	;; [unrolled: 3-line block ×4, first 2 shown]
	v_cmpx_gt_i32_e64 s16, v0
	s_cbranch_execz .LBB65_30
; %bb.27:
	s_cmp_eq_u64 s[42:43], 0
	s_cbranch_scc1 .LBB65_29
; %bb.28:
	v_mul_hi_u32 v3, s28, v2
	v_add_nc_u32_e32 v3, v2, v3
	v_lshrrev_b32_e32 v3, s29, v3
	v_mul_lo_u32 v3, v3, s30
	v_sub_nc_u32_e32 v3, v2, v3
	v_mul_lo_u32 v3, v3, s18
	v_add3_u32 v3, v3, v0, s14
	v_ashrrev_i32_e32 v4, 31, v3
	v_lshlrev_b64 v[3:4], 1, v[3:4]
	v_add_co_u32 v3, s10, s42, v3
	v_add_co_ci_u32_e64 v4, null, s43, v4, s10
	global_load_ushort v3, v[3:4], off
	s_waitcnt vmcnt(0)
	v_cvt_f32_f16_e32 v3, v3
	v_mul_f32_e32 v3, v20, v3
.LBB65_29:
	v_add_f32_e32 v9, v9, v3
	v_max_f32_e32 v4, v26, v26
	v_add_f32_e32 v3, 0x40051340, v9
	v_max_f32_e32 v6, v4, v3
.LBB65_30:
	s_or_b32 exec_lo, exec_lo, s15
	v_xor_b32_e32 v4, 16, v17
	v_xor_b32_e32 v5, 8, v17
	s_mul_hi_i32 s15, s14, s12
	s_mul_i32 s14, s14, s12
	v_cmp_gt_i32_e64 s10, 32, v4
	s_lshl_b64 s[14:15], s[14:15], 2
	s_barrier
	buffer_gl0_inv
	v_cndmask_b32_e64 v3, v17, v4, s10
	v_cmp_gt_i32_e64 s10, 32, v5
	v_lshlrev_b32_e32 v3, 2, v3
	v_cndmask_b32_e64 v7, v17, v5, s10
	ds_bpermute_b32 v3, v3, v6
	v_max_f32_e32 v6, v6, v6
	v_lshlrev_b32_e32 v7, 2, v7
	s_waitcnt lgkmcnt(0)
	v_max_f32_e32 v3, v3, v3
	v_max_f32_e32 v3, v6, v3
	v_xor_b32_e32 v6, 4, v17
	ds_bpermute_b32 v7, v7, v3
	v_cmp_gt_i32_e64 s10, 32, v6
	v_cndmask_b32_e64 v8, v17, v6, s10
	v_lshlrev_b32_e32 v8, 2, v8
	s_waitcnt lgkmcnt(0)
	v_max_f32_e32 v7, v7, v7
	v_max_f32_e32 v3, v3, v7
	v_xor_b32_e32 v7, 2, v17
	ds_bpermute_b32 v8, v8, v3
	v_cmp_gt_i32_e64 s10, 32, v7
	v_cndmask_b32_e64 v12, v17, v7, s10
	;; [unrolled: 8-line block ×3, first 2 shown]
	v_lshlrev_b32_e32 v13, 2, v13
	s_waitcnt lgkmcnt(0)
	v_max_f32_e32 v12, v12, v12
	v_max_f32_e32 v3, v3, v12
	ds_bpermute_b32 v12, v13, v3
	s_waitcnt lgkmcnt(0)
	v_max_f32_e32 v12, v12, v12
	v_max_f32_e32 v3, v3, v12
	v_sub_f32_e32 v9, v9, v3
	v_mul_f32_e32 v12, 0x3fb8aa3b, v9
	v_cmp_ngt_f32_e64 s10, 0xc2ce8ed0, v9
	v_fma_f32 v13, 0x3fb8aa3b, v9, -v12
	v_rndne_f32_e32 v14, v12
	v_fmac_f32_e32 v13, 0x32a5705f, v9
	v_sub_f32_e32 v12, v12, v14
	v_add_f32_e32 v12, v12, v13
	v_cvt_i32_f32_e32 v13, v14
	v_lshl_add_u32 v14, v0, 1, v18
	v_exp_f32_e32 v12, v12
	v_ldexp_f32 v12, v12, v13
	v_cndmask_b32_e64 v12, 0, v12, s10
	v_cmp_nlt_f32_e64 s10, 0x42b17218, v9
	v_mov_b32_e32 v9, 32
	v_cndmask_b32_e64 v12, 0x7f800000, v12, s10
	v_cmp_gt_u32_e64 s10, s16, v0
	v_cndmask_b32_e64 v12, 0, v12, s10
	s_add_u32 s10, s11, s14
	s_addc_u32 s11, s13, s15
	v_cvt_f16_f32_e32 v13, v12
	ds_write_b16 v14, v13
	s_and_saveexec_b32 s13, s9
	s_cbranch_execz .LBB65_32
; %bb.31:
	v_mul_lo_u32 v13, s12, v21
	s_mov_b64 s[14:15], src_private_base
	v_mov_b32_e32 v15, 0
	buffer_store_dword v15, off, s[0:3], 0
	buffer_store_dword v15, off, s[0:3], 0 offset:4
	buffer_store_dword v15, off, s[0:3], 0 offset:8
	;; [unrolled: 1-line block ×3, first 2 shown]
	v_ashrrev_i32_e32 v14, 31, v13
	v_lshlrev_b64 v[13:14], 2, v[13:14]
	v_add_co_u32 v13, s9, s10, v13
	v_add_co_ci_u32_e64 v14, null, s11, v14, s9
	v_add_co_u32 v13, s9, 0x80, v13
	v_add_co_ci_u32_e64 v14, null, 0, v14, s9
	v_cndmask_b32_e32 v13, 0, v13, vcc_lo
	v_cndmask_b32_e32 v14, s15, v14, vcc_lo
	flat_load_dwordx4 v[27:30], v[13:14]
	v_mul_u32_u24_e32 v13, 0x90, v21
	s_waitcnt vmcnt(0) lgkmcnt(0)
	ds_write_b128 v13, v[27:30] offset:128
.LBB65_32:
	s_or_b32 exec_lo, exec_lo, s13
	v_mul_lo_u32 v13, s12, v10
	s_mov_b64 s[14:15], src_private_base
	v_mov_b32_e32 v15, 0
	v_mad_u32_u24 v10, 0x90, v10, v1
	buffer_store_dword v15, off, s[0:3], 0
	buffer_store_dword v15, off, s[0:3], 0 offset:4
	buffer_store_dword v15, off, s[0:3], 0 offset:8
	;; [unrolled: 1-line block ×3, first 2 shown]
	v_ashrrev_i32_e32 v14, 31, v13
	v_lshlrev_b64 v[13:14], 2, v[13:14]
	v_add_co_u32 v13, vcc_lo, s10, v13
	v_add_co_ci_u32_e64 v14, null, s11, v14, vcc_lo
	v_add_co_u32 v13, vcc_lo, v13, v1
	v_add_co_ci_u32_e64 v14, null, 0, v14, vcc_lo
	v_cndmask_b32_e64 v13, 0, v13, s7
	v_cndmask_b32_e64 v14, s15, v14, s7
	flat_load_dwordx4 v[27:30], v[13:14]
	v_mul_lo_u32 v13, s12, v11
	buffer_store_dword v15, off, s[0:3], 0
	buffer_store_dword v15, off, s[0:3], 0 offset:4
	buffer_store_dword v15, off, s[0:3], 0 offset:8
	;; [unrolled: 1-line block ×3, first 2 shown]
	v_ashrrev_i32_e32 v14, 31, v13
	v_lshlrev_b64 v[13:14], 2, v[13:14]
	v_add_co_u32 v13, vcc_lo, s10, v13
	v_add_co_ci_u32_e64 v14, null, s11, v14, vcc_lo
	v_add_co_u32 v13, vcc_lo, v13, v1
	v_add_co_ci_u32_e64 v14, null, 0, v14, vcc_lo
	v_mad_u32_u24 v1, 0x90, v11, v1
	v_cndmask_b32_e64 v13, 0, v13, s8
	v_cndmask_b32_e64 v14, s15, v14, s8
	s_waitcnt vmcnt(0) lgkmcnt(0)
	ds_write_b128 v10, v[27:30]
	flat_load_dwordx4 v[27:30], v[13:14]
	v_sub_f32_e32 v10, v26, v3
	v_mul_f32_e32 v13, 0x3fb8aa3b, v10
	v_cmp_ngt_f32_e32 vcc_lo, 0xc2ce8ed0, v10
	v_fma_f32 v14, 0x3fb8aa3b, v10, -v13
	v_rndne_f32_e32 v15, v13
	v_fmac_f32_e32 v14, 0x32a5705f, v10
	v_sub_f32_e32 v13, v13, v15
	v_add_f32_e32 v13, v13, v14
	v_exp_f32_e32 v11, v13
	v_cvt_i32_f32_e32 v13, v15
	s_waitcnt vmcnt(0) lgkmcnt(0)
	ds_write_b128 v1, v[27:30]
	s_waitcnt lgkmcnt(0)
	s_waitcnt_vscnt null, 0x0
	s_barrier
	buffer_gl0_inv
	ds_read_b128 v[25:28], v18
	v_ldexp_f32 v1, v11, v13
	ds_read2_b64 v[29:32], v16 offset1:18
	ds_read_b128 v[33:36], v18 offset:16
	ds_read2_b64 v[37:40], v16 offset0:36 offset1:54
	ds_read2_b64 v[41:44], v16 offset0:72 offset1:90
	v_cndmask_b32_e32 v1, 0, v1, vcc_lo
	v_cmp_nlt_f32_e32 vcc_lo, 0x42b17218, v10
	v_mov_b32_e32 v10, 0x10001
	v_cndmask_b32_e32 v1, 0x7f800000, v1, vcc_lo
	v_cvt_f16_f32_e32 v11, v1
	v_fmac_f32_e32 v12, v24, v1
	s_waitcnt lgkmcnt(4)
	v_mul_u32_u24_sdwa v13, v25, v10 dst_sel:DWORD dst_unused:UNUSED_PAD src0_sel:WORD_0 src1_sel:DWORD
	v_mul_u32_u24_sdwa v15, v25, v10 dst_sel:DWORD dst_unused:UNUSED_PAD src0_sel:WORD_1 src1_sel:DWORD
	v_mul_u32_u24_sdwa v11, v11, v10 dst_sel:DWORD dst_unused:UNUSED_PAD src0_sel:WORD_0 src1_sel:DWORD
	s_waitcnt lgkmcnt(2)
	v_mul_u32_u24_sdwa v23, v34, v10 dst_sel:DWORD dst_unused:UNUSED_PAD src0_sel:WORD_0 src1_sel:DWORD
	v_mov_b32_e32 v24, v12
	v_pk_mul_f16 v14, v29, v13
	v_pk_mul_f16 v13, v30, v13
	v_pk_fma_f16 v14, v19, v11, v14
	v_pk_fma_f16 v11, v22, v11, v13
	v_mul_u32_u24_sdwa v13, v26, v10 dst_sel:DWORD dst_unused:UNUSED_PAD src0_sel:WORD_0 src1_sel:DWORD
	ds_read2_b64 v[19:22], v16 offset0:108 offset1:126
	v_pk_fma_f16 v14, v31, v15, v14
	v_pk_fma_f16 v11, v32, v15, v11
	v_mul_u32_u24_sdwa v15, v26, v10 dst_sel:DWORD dst_unused:UNUSED_PAD src0_sel:WORD_1 src1_sel:DWORD
	ds_read2_b64 v[29:32], v16 offset0:144 offset1:162
	s_waitcnt lgkmcnt(3)
	v_pk_fma_f16 v14, v37, v13, v14
	v_pk_fma_f16 v11, v38, v13, v11
	v_mul_u32_u24_sdwa v13, v27, v10 dst_sel:DWORD dst_unused:UNUSED_PAD src0_sel:WORD_0 src1_sel:DWORD
	v_pk_fma_f16 v14, v39, v15, v14
	v_pk_fma_f16 v11, v40, v15, v11
	v_mul_u32_u24_sdwa v15, v27, v10 dst_sel:DWORD dst_unused:UNUSED_PAD src0_sel:WORD_1 src1_sel:DWORD
	ds_read2_b64 v[37:40], v16 offset0:180 offset1:198
	s_waitcnt lgkmcnt(3)
	v_pk_fma_f16 v14, v41, v13, v14
	v_pk_fma_f16 v11, v42, v13, v11
	v_mul_u32_u24_sdwa v13, v28, v10 dst_sel:DWORD dst_unused:UNUSED_PAD src0_sel:WORD_0 src1_sel:DWORD
	v_pk_fma_f16 v14, v43, v15, v14
	v_pk_fma_f16 v11, v44, v15, v11
	v_mul_u32_u24_sdwa v15, v28, v10 dst_sel:DWORD dst_unused:UNUSED_PAD src0_sel:WORD_1 src1_sel:DWORD
	s_waitcnt lgkmcnt(2)
	v_pk_fma_f16 v14, v19, v13, v14
	v_pk_fma_f16 v11, v20, v13, v11
	v_mul_u32_u24_sdwa v13, v33, v10 dst_sel:DWORD dst_unused:UNUSED_PAD src0_sel:WORD_0 src1_sel:DWORD
	v_pk_fma_f16 v14, v21, v15, v14
	v_pk_fma_f16 v11, v22, v15, v11
	ds_read2_b64 v[19:22], v16 offset0:216 offset1:234
	v_mul_u32_u24_sdwa v15, v33, v10 dst_sel:DWORD dst_unused:UNUSED_PAD src0_sel:WORD_1 src1_sel:DWORD
	s_waitcnt lgkmcnt(2)
	v_pk_fma_f16 v14, v29, v13, v14
	v_pk_fma_f16 v11, v30, v13, v11
	v_add_nc_u32_e32 v13, 0x400, v16
	v_pk_fma_f16 v14, v31, v15, v14
	v_pk_fma_f16 v11, v32, v15, v11
	ds_read2_b64 v[25:28], v13 offset0:124 offset1:142
	v_mul_u32_u24_sdwa v13, v34, v10 dst_sel:DWORD dst_unused:UNUSED_PAD src0_sel:WORD_1 src1_sel:DWORD
	v_add_nc_u32_e32 v15, 0x800, v16
	s_waitcnt lgkmcnt(2)
	v_pk_fma_f16 v14, v37, v23, v14
	v_pk_fma_f16 v11, v38, v23, v11
	ds_read_b128 v[29:32], v18 offset:32
	v_mul_u32_u24_sdwa v23, v35, v10 dst_sel:DWORD dst_unused:UNUSED_PAD src0_sel:WORD_0 src1_sel:DWORD
	v_pk_fma_f16 v14, v39, v13, v14
	v_pk_fma_f16 v11, v40, v13, v11
	ds_read2_b64 v[37:40], v15 offset0:32 offset1:50
	v_mul_u32_u24_sdwa v13, v35, v10 dst_sel:DWORD dst_unused:UNUSED_PAD src0_sel:WORD_1 src1_sel:DWORD
	s_waitcnt lgkmcnt(3)
	v_pk_fma_f16 v14, v19, v23, v14
	v_pk_fma_f16 v11, v20, v23, v11
	v_mul_u32_u24_sdwa v23, v36, v10 dst_sel:DWORD dst_unused:UNUSED_PAD src0_sel:WORD_0 src1_sel:DWORD
	v_pk_fma_f16 v14, v21, v13, v14
	v_pk_fma_f16 v11, v22, v13, v11
	ds_read2_b64 v[19:22], v15 offset0:68 offset1:86
	v_mul_u32_u24_sdwa v13, v36, v10 dst_sel:DWORD dst_unused:UNUSED_PAD src0_sel:WORD_1 src1_sel:DWORD
	ds_read_b128 v[33:36], v18 offset:48
	s_waitcnt lgkmcnt(4)
	v_pk_fma_f16 v14, v25, v23, v14
	v_pk_fma_f16 v11, v26, v23, v11
	s_waitcnt lgkmcnt(3)
	v_mul_u32_u24_sdwa v18, v29, v10 dst_sel:DWORD dst_unused:UNUSED_PAD src0_sel:WORD_0 src1_sel:DWORD
	v_mul_u32_u24_sdwa v23, v31, v10 dst_sel:DWORD dst_unused:UNUSED_PAD src0_sel:WORD_0 src1_sel:DWORD
	v_pk_fma_f16 v14, v27, v13, v14
	v_pk_fma_f16 v11, v28, v13, v11
	ds_read2_b64 v[25:28], v15 offset0:104 offset1:122
	v_mul_u32_u24_sdwa v13, v29, v10 dst_sel:DWORD dst_unused:UNUSED_PAD src0_sel:WORD_1 src1_sel:DWORD
	s_waitcnt lgkmcnt(3)
	v_pk_fma_f16 v14, v37, v18, v14
	v_pk_fma_f16 v11, v38, v18, v11
	v_mul_u32_u24_sdwa v18, v30, v10 dst_sel:DWORD dst_unused:UNUSED_PAD src0_sel:WORD_0 src1_sel:DWORD
	v_pk_fma_f16 v14, v39, v13, v14
	v_pk_fma_f16 v11, v40, v13, v11
	ds_read2_b64 v[37:40], v15 offset0:140 offset1:158
	v_mul_u32_u24_sdwa v13, v30, v10 dst_sel:DWORD dst_unused:UNUSED_PAD src0_sel:WORD_1 src1_sel:DWORD
	s_waitcnt lgkmcnt(3)
	v_pk_fma_f16 v14, v19, v18, v14
	v_pk_fma_f16 v11, v20, v18, v11
	;; [unrolled: 1-line block ×4, first 2 shown]
	ds_read2_b64 v[18:21], v15 offset0:176 offset1:194
	v_mul_u32_u24_sdwa v13, v31, v10 dst_sel:DWORD dst_unused:UNUSED_PAD src0_sel:WORD_1 src1_sel:DWORD
	v_mul_u32_u24_sdwa v22, v32, v10 dst_sel:DWORD dst_unused:UNUSED_PAD src0_sel:WORD_0 src1_sel:DWORD
	s_waitcnt lgkmcnt(2)
	v_pk_fma_f16 v14, v25, v23, v14
	v_pk_fma_f16 v11, v26, v23, v11
	;; [unrolled: 1-line block ×4, first 2 shown]
	ds_read2_b64 v[25:28], v15 offset0:212 offset1:230
	v_mul_u32_u24_sdwa v13, v32, v10 dst_sel:DWORD dst_unused:UNUSED_PAD src0_sel:WORD_1 src1_sel:DWORD
	v_add_nc_u32_e32 v15, 0xc00, v16
	s_waitcnt lgkmcnt(2)
	v_pk_fma_f16 v14, v37, v22, v14
	v_pk_fma_f16 v11, v38, v22, v11
	v_mul_u32_u24_sdwa v22, v33, v10 dst_sel:DWORD dst_unused:UNUSED_PAD src0_sel:WORD_0 src1_sel:DWORD
	ds_read2_b64 v[29:32], v15 offset0:120 offset1:138
	v_pk_fma_f16 v14, v39, v13, v14
	v_pk_fma_f16 v11, v40, v13, v11
	v_mul_u32_u24_sdwa v13, v33, v10 dst_sel:DWORD dst_unused:UNUSED_PAD src0_sel:WORD_1 src1_sel:DWORD
	v_add_nc_u32_e32 v15, 0x1000, v16
	s_waitcnt lgkmcnt(2)
	v_pk_fma_f16 v14, v18, v22, v14
	v_pk_fma_f16 v11, v19, v22, v11
	v_mul_u32_u24_sdwa v18, v34, v10 dst_sel:DWORD dst_unused:UNUSED_PAD src0_sel:WORD_0 src1_sel:DWORD
	v_pk_fma_f16 v19, v20, v13, v14
	v_pk_fma_f16 v11, v21, v13, v11
	ds_read2_b64 v[13:16], v15 offset0:28 offset1:46
	v_mul_u32_u24_sdwa v20, v34, v10 dst_sel:DWORD dst_unused:UNUSED_PAD src0_sel:WORD_1 src1_sel:DWORD
	s_waitcnt lgkmcnt(0)
	v_pk_fma_f16 v19, v25, v18, v19
	v_pk_fma_f16 v11, v26, v18, v11
	v_mul_u32_u24_sdwa v18, v35, v10 dst_sel:DWORD dst_unused:UNUSED_PAD src0_sel:WORD_0 src1_sel:DWORD
	s_barrier
	buffer_gl0_inv
	v_pk_fma_f16 v19, v27, v20, v19
	v_pk_fma_f16 v11, v28, v20, v11
	v_mul_u32_u24_sdwa v20, v35, v10 dst_sel:DWORD dst_unused:UNUSED_PAD src0_sel:WORD_1 src1_sel:DWORD
	v_pk_fma_f16 v19, v29, v18, v19
	v_pk_fma_f16 v11, v30, v18, v11
	v_mul_u32_u24_sdwa v18, v36, v10 dst_sel:DWORD dst_unused:UNUSED_PAD src0_sel:WORD_0 src1_sel:DWORD
	v_mul_u32_u24_sdwa v10, v36, v10 dst_sel:DWORD dst_unused:UNUSED_PAD src0_sel:WORD_1 src1_sel:DWORD
	v_pk_fma_f16 v19, v31, v20, v19
	v_pk_fma_f16 v11, v32, v20, v11
	;; [unrolled: 1-line block ×6, first 2 shown]
.LBB65_33:
	v_cmp_lt_i32_e32 vcc_lo, v4, v9
	s_cmp_eq_u64 s[20:21], 0
	s_cselect_b32 s7, -1, 0
	s_cmp_lg_u32 s34, 0
	v_cndmask_b32_e32 v1, v17, v4, vcc_lo
	v_cmp_lt_i32_e32 vcc_lo, v5, v9
	s_cselect_b32 s8, -1, 0
	s_or_b32 s7, s8, s7
	v_lshlrev_b32_e32 v1, 2, v1
	v_cndmask_b32_e32 v4, v17, v5, vcc_lo
	v_cmp_lt_i32_e32 vcc_lo, v6, v9
	ds_bpermute_b32 v1, v1, v24
	v_lshlrev_b32_e32 v4, 2, v4
	v_cndmask_b32_e32 v5, v17, v6, vcc_lo
	v_cmp_lt_i32_e32 vcc_lo, v7, v9
	v_lshlrev_b32_e32 v5, 2, v5
	s_waitcnt lgkmcnt(0)
	v_add_f32_e32 v1, v24, v1
	ds_bpermute_b32 v4, v4, v1
	s_waitcnt lgkmcnt(0)
	v_add_f32_e32 v1, v1, v4
	ds_bpermute_b32 v4, v5, v1
	v_cndmask_b32_e32 v5, v17, v7, vcc_lo
	v_cmp_lt_i32_e32 vcc_lo, v8, v9
	v_lshlrev_b32_e32 v5, 2, v5
	s_waitcnt lgkmcnt(0)
	v_add_f32_e32 v1, v1, v4
	ds_bpermute_b32 v4, v5, v1
	v_cndmask_b32_e32 v5, v17, v8, vcc_lo
	s_and_b32 vcc_lo, exec_lo, s7
	v_lshlrev_b32_e32 v5, 2, v5
	s_waitcnt lgkmcnt(0)
	v_add_f32_e32 v1, v1, v4
	ds_bpermute_b32 v4, v5, v1
	s_waitcnt lgkmcnt(0)
	v_add_f32_e32 v4, v1, v4
	s_cbranch_vccnz .LBB65_35
; %bb.34:
	s_lshl_b64 s[8:9], s[40:41], 2
	v_mov_b32_e32 v1, 0
	s_add_u32 s8, s20, s8
	s_addc_u32 s9, s21, s9
	v_max_f32_e32 v5, v3, v3
	global_load_dword v1, v1, s[8:9]
	s_waitcnt vmcnt(0)
	v_max_f32_e32 v6, v1, v1
	v_max_f32_e32 v5, v5, v6
	v_sub_f32_e32 v3, v3, v5
	v_sub_f32_e32 v1, v1, v5
	v_mul_f32_e32 v6, 0x3fb8aa3b, v3
	v_mul_f32_e32 v7, 0x3fb8aa3b, v1
	v_cmp_ngt_f32_e32 vcc_lo, 0xc2ce8ed0, v3
	v_fma_f32 v8, 0x3fb8aa3b, v3, -v6
	v_rndne_f32_e32 v9, v6
	v_fma_f32 v10, 0x3fb8aa3b, v1, -v7
	v_rndne_f32_e32 v11, v7
	v_fmac_f32_e32 v8, 0x32a5705f, v3
	v_sub_f32_e32 v6, v6, v9
	v_fmac_f32_e32 v10, 0x32a5705f, v1
	v_sub_f32_e32 v7, v7, v11
	v_add_f32_e32 v6, v6, v8
	v_cvt_i32_f32_e32 v8, v9
	v_add_f32_e32 v7, v7, v10
	v_cvt_i32_f32_e32 v9, v11
	v_exp_f32_e32 v6, v6
	v_exp_f32_e32 v7, v7
	v_ldexp_f32 v6, v6, v8
	v_ldexp_f32 v7, v7, v9
	v_cndmask_b32_e32 v6, 0, v6, vcc_lo
	v_cmp_ngt_f32_e32 vcc_lo, 0xc2ce8ed0, v1
	v_cndmask_b32_e32 v7, 0, v7, vcc_lo
	v_cmp_nlt_f32_e32 vcc_lo, 0x42b17218, v3
	v_cndmask_b32_e32 v3, 0x7f800000, v6, vcc_lo
	v_cmp_nlt_f32_e32 vcc_lo, 0x42b17218, v1
	v_mov_b32_e32 v6, 0x10001
	v_cndmask_b32_e32 v1, 0x7f800000, v7, vcc_lo
	v_cvt_f16_f32_e32 v7, v3
	v_fmac_f32_e32 v1, v4, v3
	v_mul_u32_u24_sdwa v3, v7, v6 dst_sel:DWORD dst_unused:UNUSED_PAD src0_sel:WORD_0 src1_sel:DWORD
	v_mov_b32_e32 v4, v1
	v_pk_mul_f16 v19, v19, v3
	v_pk_mul_f16 v22, v22, v3
	v_mov_b32_e32 v3, v5
.LBB65_35:
	s_mov_b32 s7, exec_lo
	v_cmpx_gt_i32_e64 s30, v2
	s_cbranch_execz .LBB65_40
; %bb.36:
	s_load_dword s4, s[4:5], 0xd4
	v_mad_u64_u32 v[1:2], null, s33, s30, v[2:3]
	v_mad_u64_u32 v[1:2], null, v1, s31, s[40:41]
	s_waitcnt lgkmcnt(0)
	v_mad_u64_u32 v[1:2], null, s4, v1, s[34:35]
	s_cmp_lg_u32 s4, 1
	s_cselect_b32 s4, -1, 0
	s_and_saveexec_b32 s5, s6
	s_cbranch_execz .LBB65_38
; %bb.37:
	v_div_scale_f32 v2, null, v4, v4, 1.0
	v_div_scale_f32 v7, vcc_lo, 1.0, v4, 1.0
	v_cvt_f32_f16_e32 v11, v22
	v_rcp_f32_e32 v5, v2
	v_cvt_f32_f16_sdwa v12, v19 dst_sel:DWORD dst_unused:UNUSED_PAD src0_sel:WORD_1
	v_cvt_f32_f16_e32 v13, v19
	v_fma_f32 v6, -v2, v5, 1.0
	v_fmac_f32_e32 v5, v6, v5
	v_mul_f32_e32 v6, v7, v5
	v_fma_f32 v8, -v2, v6, v7
	v_fmac_f32_e32 v6, v8, v5
	v_fma_f32 v2, -v2, v6, v7
	v_cvt_f32_f16_sdwa v7, v22 dst_sel:DWORD dst_unused:UNUSED_PAD src0_sel:WORD_1
	v_div_fmas_f32 v2, v2, v5, v6
	v_mul_lo_u32 v5, 0x48, v1
	v_mov_b32_e32 v6, 0
	v_div_fixup_f32 v2, v2, v4, 1.0
	v_lshl_add_u32 v5, v0, 2, v5
	v_cndmask_b32_e64 v2, v2, 1.0, s4
	v_lshlrev_b64 v[9:10], 2, v[5:6]
	v_mul_f32_e32 v8, v2, v7
	v_mul_f32_e32 v7, v2, v11
	;; [unrolled: 1-line block ×4, first 2 shown]
	v_add_co_u32 v9, vcc_lo, s24, v9
	v_add_co_ci_u32_e64 v10, null, s25, v10, vcc_lo
	global_store_dwordx4 v[9:10], v[5:8], off
.LBB65_38:
	s_or_b32 exec_lo, exec_lo, s5
	v_cmp_eq_u32_e32 vcc_lo, 0, v0
	s_and_b32 s4, vcc_lo, s4
	s_and_b32 exec_lo, exec_lo, s4
	s_cbranch_execz .LBB65_40
; %bb.39:
	v_ashrrev_i32_e32 v2, 31, v1
	v_lshlrev_b64 v[0:1], 3, v[1:2]
	v_add_co_u32 v0, vcc_lo, s26, v0
	v_add_co_ci_u32_e64 v1, null, s27, v1, vcc_lo
	global_store_dwordx2 v[0:1], v[3:4], off
.LBB65_40:
	s_endpgm
	.section	.rodata,"a",@progbits
	.p2align	6, 0x0
	.amdhsa_kernel _ZL15flash_attn_tileILi72ELi72ELi4ELi1ELb0EEvPKcS1_S1_S1_S1_PKiPfP15HIP_vector_typeIfLj2EEffffjfiS5_IjLj3EEiiiiiiiiiiiliiliiiiil
		.amdhsa_group_segment_fixed_size 6176
		.amdhsa_private_segment_fixed_size 32
		.amdhsa_kernarg_size 464
		.amdhsa_user_sgpr_count 8
		.amdhsa_user_sgpr_private_segment_buffer 1
		.amdhsa_user_sgpr_dispatch_ptr 0
		.amdhsa_user_sgpr_queue_ptr 0
		.amdhsa_user_sgpr_kernarg_segment_ptr 1
		.amdhsa_user_sgpr_dispatch_id 0
		.amdhsa_user_sgpr_flat_scratch_init 1
		.amdhsa_user_sgpr_private_segment_size 0
		.amdhsa_wavefront_size32 1
		.amdhsa_uses_dynamic_stack 0
		.amdhsa_system_sgpr_private_segment_wavefront_offset 1
		.amdhsa_system_sgpr_workgroup_id_x 1
		.amdhsa_system_sgpr_workgroup_id_y 1
		.amdhsa_system_sgpr_workgroup_id_z 1
		.amdhsa_system_sgpr_workgroup_info 0
		.amdhsa_system_vgpr_workitem_id 1
		.amdhsa_next_free_vgpr 63
		.amdhsa_next_free_sgpr 52
		.amdhsa_reserve_vcc 1
		.amdhsa_reserve_flat_scratch 1
		.amdhsa_float_round_mode_32 0
		.amdhsa_float_round_mode_16_64 0
		.amdhsa_float_denorm_mode_32 3
		.amdhsa_float_denorm_mode_16_64 3
		.amdhsa_dx10_clamp 1
		.amdhsa_ieee_mode 1
		.amdhsa_fp16_overflow 0
		.amdhsa_workgroup_processor_mode 1
		.amdhsa_memory_ordered 1
		.amdhsa_forward_progress 1
		.amdhsa_shared_vgpr_count 0
		.amdhsa_exception_fp_ieee_invalid_op 0
		.amdhsa_exception_fp_denorm_src 0
		.amdhsa_exception_fp_ieee_div_zero 0
		.amdhsa_exception_fp_ieee_overflow 0
		.amdhsa_exception_fp_ieee_underflow 0
		.amdhsa_exception_fp_ieee_inexact 0
		.amdhsa_exception_int_div_zero 0
	.end_amdhsa_kernel
	.section	.text._ZL15flash_attn_tileILi72ELi72ELi4ELi1ELb0EEvPKcS1_S1_S1_S1_PKiPfP15HIP_vector_typeIfLj2EEffffjfiS5_IjLj3EEiiiiiiiiiiiliiliiiiil,"axG",@progbits,_ZL15flash_attn_tileILi72ELi72ELi4ELi1ELb0EEvPKcS1_S1_S1_S1_PKiPfP15HIP_vector_typeIfLj2EEffffjfiS5_IjLj3EEiiiiiiiiiiiliiliiiiil,comdat
.Lfunc_end65:
	.size	_ZL15flash_attn_tileILi72ELi72ELi4ELi1ELb0EEvPKcS1_S1_S1_S1_PKiPfP15HIP_vector_typeIfLj2EEffffjfiS5_IjLj3EEiiiiiiiiiiiliiliiiiil, .Lfunc_end65-_ZL15flash_attn_tileILi72ELi72ELi4ELi1ELb0EEvPKcS1_S1_S1_S1_PKiPfP15HIP_vector_typeIfLj2EEffffjfiS5_IjLj3EEiiiiiiiiiiiliiliiiiil
                                        ; -- End function
	.set _ZL15flash_attn_tileILi72ELi72ELi4ELi1ELb0EEvPKcS1_S1_S1_S1_PKiPfP15HIP_vector_typeIfLj2EEffffjfiS5_IjLj3EEiiiiiiiiiiiliiliiiiil.num_vgpr, 63
	.set _ZL15flash_attn_tileILi72ELi72ELi4ELi1ELb0EEvPKcS1_S1_S1_S1_PKiPfP15HIP_vector_typeIfLj2EEffffjfiS5_IjLj3EEiiiiiiiiiiiliiliiiiil.num_agpr, 0
	.set _ZL15flash_attn_tileILi72ELi72ELi4ELi1ELb0EEvPKcS1_S1_S1_S1_PKiPfP15HIP_vector_typeIfLj2EEffffjfiS5_IjLj3EEiiiiiiiiiiiliiliiiiil.numbered_sgpr, 52
	.set _ZL15flash_attn_tileILi72ELi72ELi4ELi1ELb0EEvPKcS1_S1_S1_S1_PKiPfP15HIP_vector_typeIfLj2EEffffjfiS5_IjLj3EEiiiiiiiiiiiliiliiiiil.num_named_barrier, 0
	.set _ZL15flash_attn_tileILi72ELi72ELi4ELi1ELb0EEvPKcS1_S1_S1_S1_PKiPfP15HIP_vector_typeIfLj2EEffffjfiS5_IjLj3EEiiiiiiiiiiiliiliiiiil.private_seg_size, 32
	.set _ZL15flash_attn_tileILi72ELi72ELi4ELi1ELb0EEvPKcS1_S1_S1_S1_PKiPfP15HIP_vector_typeIfLj2EEffffjfiS5_IjLj3EEiiiiiiiiiiiliiliiiiil.uses_vcc, 1
	.set _ZL15flash_attn_tileILi72ELi72ELi4ELi1ELb0EEvPKcS1_S1_S1_S1_PKiPfP15HIP_vector_typeIfLj2EEffffjfiS5_IjLj3EEiiiiiiiiiiiliiliiiiil.uses_flat_scratch, 1
	.set _ZL15flash_attn_tileILi72ELi72ELi4ELi1ELb0EEvPKcS1_S1_S1_S1_PKiPfP15HIP_vector_typeIfLj2EEffffjfiS5_IjLj3EEiiiiiiiiiiiliiliiiiil.has_dyn_sized_stack, 0
	.set _ZL15flash_attn_tileILi72ELi72ELi4ELi1ELb0EEvPKcS1_S1_S1_S1_PKiPfP15HIP_vector_typeIfLj2EEffffjfiS5_IjLj3EEiiiiiiiiiiiliiliiiiil.has_recursion, 0
	.set _ZL15flash_attn_tileILi72ELi72ELi4ELi1ELb0EEvPKcS1_S1_S1_S1_PKiPfP15HIP_vector_typeIfLj2EEffffjfiS5_IjLj3EEiiiiiiiiiiiliiliiiiil.has_indirect_call, 0
	.section	.AMDGPU.csdata,"",@progbits
; Kernel info:
; codeLenInByte = 9604
; TotalNumSgprs: 54
; NumVgprs: 63
; ScratchSize: 32
; MemoryBound: 0
; FloatMode: 240
; IeeeMode: 1
; LDSByteSize: 6176 bytes/workgroup (compile time only)
; SGPRBlocks: 0
; VGPRBlocks: 7
; NumSGPRsForWavesPerEU: 54
; NumVGPRsForWavesPerEU: 63
; Occupancy: 16
; WaveLimiterHint : 1
; COMPUTE_PGM_RSRC2:SCRATCH_EN: 1
; COMPUTE_PGM_RSRC2:USER_SGPR: 8
; COMPUTE_PGM_RSRC2:TRAP_HANDLER: 0
; COMPUTE_PGM_RSRC2:TGID_X_EN: 1
; COMPUTE_PGM_RSRC2:TGID_Y_EN: 1
; COMPUTE_PGM_RSRC2:TGID_Z_EN: 1
; COMPUTE_PGM_RSRC2:TIDIG_COMP_CNT: 1
	.section	.text._ZL33flash_attn_stream_k_fixup_uniformILi72ELi4ELi1EEvPfPK15HIP_vector_typeIfLj2EEiiiiiiS1_IjLj3EES5_S5_,"axG",@progbits,_ZL33flash_attn_stream_k_fixup_uniformILi72ELi4ELi1EEvPfPK15HIP_vector_typeIfLj2EEiiiiiiS1_IjLj3EES5_S5_,comdat
	.globl	_ZL33flash_attn_stream_k_fixup_uniformILi72ELi4ELi1EEvPfPK15HIP_vector_typeIfLj2EEiiiiiiS1_IjLj3EES5_S5_ ; -- Begin function _ZL33flash_attn_stream_k_fixup_uniformILi72ELi4ELi1EEvPfPK15HIP_vector_typeIfLj2EEiiiiiiS1_IjLj3EES5_S5_
	.p2align	8
	.type	_ZL33flash_attn_stream_k_fixup_uniformILi72ELi4ELi1EEvPfPK15HIP_vector_typeIfLj2EEiiiiiiS1_IjLj3EES5_S5_,@function
_ZL33flash_attn_stream_k_fixup_uniformILi72ELi4ELi1EEvPfPK15HIP_vector_typeIfLj2EEiiiiiiS1_IjLj3EES5_S5_: ; @_ZL33flash_attn_stream_k_fixup_uniformILi72ELi4ELi1EEvPfPK15HIP_vector_typeIfLj2EEiiiiiiS1_IjLj3EES5_S5_
; %bb.0:
	s_clause 0x2
	s_load_dwordx8 s[12:19], s[4:5], 0x1c
	s_load_dwordx4 s[20:23], s[4:5], 0x3c
	s_load_dwordx2 s[10:11], s[4:5], 0x10
	s_waitcnt lgkmcnt(0)
	s_mul_hi_u32 s0, s15, s6
	s_add_i32 s0, s6, s0
	s_lshr_b32 s0, s0, s16
	s_mul_i32 s1, s0, s17
	s_sub_i32 s1, s6, s1
	s_mul_hi_u32 s2, s1, s18
	s_add_i32 s2, s1, s2
	s_lshr_b32 s9, s2, s19
	s_mul_i32 s2, s9, s20
	s_sub_i32 s1, s1, s2
	;; [unrolled: 5-line block ×3, first 2 shown]
	s_lshl_b32 s1, s15, 2
	s_add_i32 s1, s1, s7
	s_cmp_lt_i32 s1, s10
	s_cselect_b32 s1, -1, 0
	s_add_i32 s16, s16, s8
	s_cmp_lt_i32 s16, s13
	s_cselect_b32 s2, -1, 0
	s_and_b32 s1, s1, s2
	s_andn2_b32 vcc_lo, exec_lo, s1
	s_cbranch_vccnz .LBB66_6
; %bb.1:
	s_mul_i32 s10, s0, s10
	s_load_dwordx4 s[0:3], s[4:5], 0x0
	s_add_i32 s4, s10, s7
	s_mul_i32 s9, s9, s13
	s_mul_i32 s4, s4, s11
	s_add_i32 s5, s16, s9
	s_mul_i32 s9, s11, s15
	s_add_i32 s4, s5, s4
	s_mulk_i32 s9, 0x120
	s_mulk_i32 s4, 0x48
	s_add_i32 s8, s7, s8
	v_add3_u32 v1, s4, s9, v0
	s_mul_i32 s4, s14, s6
	s_add_i32 s9, s4, s14
	v_ashrrev_i32_e32 v2, 31, v1
	v_lshlrev_b64 v[1:2], 2, v[1:2]
	s_waitcnt lgkmcnt(0)
	v_add_co_u32 v1, vcc_lo, s0, v1
	v_add_co_ci_u32_e64 v2, null, s1, v2, vcc_lo
	s_lshl_b32 s0, s9, 2
	s_add_i32 s0, s8, s0
	global_load_dword v5, v[1:2], off
	s_add_i32 s0, s0, -4
	s_ashr_i32 s1, s0, 31
	s_lshl_b64 s[0:1], s[0:1], 3
	s_add_u32 s0, s2, s0
	s_addc_u32 s1, s3, s1
	s_add_i32 s5, s9, -2
	s_load_dword s10, s[0:1], 0x4
	s_cmp_lt_i32 s5, s4
	s_cbranch_scc1 .LBB66_4
; %bb.2:
	s_load_dword s11, s[0:1], 0x0
	s_lshl_b32 s0, s12, 4
	s_waitcnt lgkmcnt(0)
	v_mov_b32_e32 v6, s10
	s_ashr_i32 s1, s0, 31
	s_lshl_b64 s[0:1], s[0:1], 2
	s_add_u32 s5, s2, s0
	s_addc_u32 s7, s3, s1
	s_add_i32 s6, s6, 1
	s_mul_i32 s1, s8, 0x48
	s_mul_i32 s0, s14, s6
	s_lshl_b32 s6, s0, 2
	s_mulk_i32 s0, 0x120
	s_add_i32 s6, s8, s6
	s_add_i32 s1, s1, s0
	s_lshl_b32 s0, s12, 2
	v_add3_u32 v3, s1, v0, 0xfffffdc0
	s_add_i32 s0, s6, s0
	v_mov_b32_e32 v0, s11
	s_add_i32 s6, s9, -1
	s_add_i32 s0, s0, -8
.LBB66_3:                               ; =>This Inner Loop Header: Depth=1
	v_ashrrev_i32_e32 v4, 31, v3
	s_ashr_i32 s1, s0, 31
	s_lshl_b64 s[8:9], s[0:1], 3
	s_add_u32 s8, s2, s8
	v_lshlrev_b64 v[7:8], 2, v[3:4]
	s_addc_u32 s9, s3, s9
	v_add_nc_u32_e32 v3, 0xfffffee0, v3
	s_add_i32 s6, s6, -1
	s_add_i32 s0, s0, -4
	s_cmp_le_i32 s6, s4
	v_add_co_u32 v7, vcc_lo, s5, v7
	v_add_co_ci_u32_e64 v8, null, s7, v8, vcc_lo
	s_load_dwordx2 s[8:9], s[8:9], 0x0
	global_load_dword v4, v[7:8], off
	v_max_f32_e32 v7, v0, v0
	s_waitcnt lgkmcnt(0)
	v_max_f32_e64 v8, s8, s8
	v_max_f32_e32 v7, v7, v8
	v_sub_f32_e32 v8, s8, v7
	v_sub_f32_e32 v0, v0, v7
	v_mul_f32_e32 v9, 0x3fb8aa3b, v8
	v_mul_f32_e32 v12, 0x3fb8aa3b, v0
	v_cmp_ngt_f32_e32 vcc_lo, 0xc2ce8ed0, v8
	v_fma_f32 v10, 0x3fb8aa3b, v8, -v9
	v_rndne_f32_e32 v11, v9
	v_fma_f32 v13, 0x3fb8aa3b, v0, -v12
	v_rndne_f32_e32 v14, v12
	v_fmac_f32_e32 v10, 0x32a5705f, v8
	v_sub_f32_e32 v9, v9, v11
	v_fmac_f32_e32 v13, 0x32a5705f, v0
	v_cvt_i32_f32_e32 v11, v11
	v_add_f32_e32 v9, v9, v10
	v_sub_f32_e32 v10, v12, v14
	v_exp_f32_e32 v9, v9
	v_add_f32_e32 v10, v10, v13
	v_exp_f32_e32 v10, v10
	v_ldexp_f32 v9, v9, v11
	v_cvt_i32_f32_e32 v11, v14
	v_cndmask_b32_e32 v9, 0, v9, vcc_lo
	v_cmp_nlt_f32_e32 vcc_lo, 0x42b17218, v8
	v_ldexp_f32 v10, v10, v11
	v_mov_b32_e32 v11, v6
	v_cndmask_b32_e32 v9, 0x7f800000, v9, vcc_lo
	v_cmp_ngt_f32_e32 vcc_lo, 0xc2ce8ed0, v0
	v_cndmask_b32_e32 v10, 0, v10, vcc_lo
	v_cmp_le_f32_e32 vcc_lo, 0xc1a00000, v8
	v_cndmask_b32_e32 v8, 0, v9, vcc_lo
	v_cmp_nlt_f32_e32 vcc_lo, 0x42b17218, v0
	s_waitcnt vmcnt(1)
	v_mov_b32_e32 v9, v5
	v_cndmask_b32_e32 v5, 0x7f800000, v10, vcc_lo
	v_mul_f32_e32 v10, s9, v8
	v_cmp_le_f32_e32 vcc_lo, 0xc1a00000, v0
	v_mov_b32_e32 v0, v7
	v_mov_b32_e32 v6, v10
	v_cndmask_b32_e32 v12, 0, v5, vcc_lo
	v_fmac_f32_e32 v6, v11, v12
	s_waitcnt vmcnt(0)
	v_mul_f32_e32 v5, v4, v8
	v_fmac_f32_e32 v5, v9, v12
	s_cbranch_scc0 .LBB66_3
	s_branch .LBB66_5
.LBB66_4:
	s_waitcnt lgkmcnt(0)
	v_mov_b32_e32 v6, s10
.LBB66_5:
	s_waitcnt vmcnt(0)
	v_div_scale_f32 v0, null, v6, v6, v5
	v_rcp_f32_e32 v3, v0
	v_fma_f32 v4, -v0, v3, 1.0
	v_fmac_f32_e32 v3, v4, v3
	v_div_scale_f32 v4, vcc_lo, v5, v6, v5
	v_mul_f32_e32 v7, v4, v3
	v_fma_f32 v8, -v0, v7, v4
	v_fmac_f32_e32 v7, v8, v3
	v_fma_f32 v0, -v0, v7, v4
	v_div_fmas_f32 v0, v0, v3, v7
	v_div_fixup_f32 v0, v0, v6, v5
	global_store_dword v[1:2], v0, off
.LBB66_6:
	s_endpgm
	.section	.rodata,"a",@progbits
	.p2align	6, 0x0
	.amdhsa_kernel _ZL33flash_attn_stream_k_fixup_uniformILi72ELi4ELi1EEvPfPK15HIP_vector_typeIfLj2EEiiiiiiS1_IjLj3EES5_S5_
		.amdhsa_group_segment_fixed_size 0
		.amdhsa_private_segment_fixed_size 0
		.amdhsa_kernarg_size 76
		.amdhsa_user_sgpr_count 6
		.amdhsa_user_sgpr_private_segment_buffer 1
		.amdhsa_user_sgpr_dispatch_ptr 0
		.amdhsa_user_sgpr_queue_ptr 0
		.amdhsa_user_sgpr_kernarg_segment_ptr 1
		.amdhsa_user_sgpr_dispatch_id 0
		.amdhsa_user_sgpr_flat_scratch_init 0
		.amdhsa_user_sgpr_private_segment_size 0
		.amdhsa_wavefront_size32 1
		.amdhsa_uses_dynamic_stack 0
		.amdhsa_system_sgpr_private_segment_wavefront_offset 0
		.amdhsa_system_sgpr_workgroup_id_x 1
		.amdhsa_system_sgpr_workgroup_id_y 1
		.amdhsa_system_sgpr_workgroup_id_z 1
		.amdhsa_system_sgpr_workgroup_info 0
		.amdhsa_system_vgpr_workitem_id 0
		.amdhsa_next_free_vgpr 15
		.amdhsa_next_free_sgpr 24
		.amdhsa_reserve_vcc 1
		.amdhsa_reserve_flat_scratch 0
		.amdhsa_float_round_mode_32 0
		.amdhsa_float_round_mode_16_64 0
		.amdhsa_float_denorm_mode_32 3
		.amdhsa_float_denorm_mode_16_64 3
		.amdhsa_dx10_clamp 1
		.amdhsa_ieee_mode 1
		.amdhsa_fp16_overflow 0
		.amdhsa_workgroup_processor_mode 1
		.amdhsa_memory_ordered 1
		.amdhsa_forward_progress 1
		.amdhsa_shared_vgpr_count 0
		.amdhsa_exception_fp_ieee_invalid_op 0
		.amdhsa_exception_fp_denorm_src 0
		.amdhsa_exception_fp_ieee_div_zero 0
		.amdhsa_exception_fp_ieee_overflow 0
		.amdhsa_exception_fp_ieee_underflow 0
		.amdhsa_exception_fp_ieee_inexact 0
		.amdhsa_exception_int_div_zero 0
	.end_amdhsa_kernel
	.section	.text._ZL33flash_attn_stream_k_fixup_uniformILi72ELi4ELi1EEvPfPK15HIP_vector_typeIfLj2EEiiiiiiS1_IjLj3EES5_S5_,"axG",@progbits,_ZL33flash_attn_stream_k_fixup_uniformILi72ELi4ELi1EEvPfPK15HIP_vector_typeIfLj2EEiiiiiiS1_IjLj3EES5_S5_,comdat
.Lfunc_end66:
	.size	_ZL33flash_attn_stream_k_fixup_uniformILi72ELi4ELi1EEvPfPK15HIP_vector_typeIfLj2EEiiiiiiS1_IjLj3EES5_S5_, .Lfunc_end66-_ZL33flash_attn_stream_k_fixup_uniformILi72ELi4ELi1EEvPfPK15HIP_vector_typeIfLj2EEiiiiiiS1_IjLj3EES5_S5_
                                        ; -- End function
	.set _ZL33flash_attn_stream_k_fixup_uniformILi72ELi4ELi1EEvPfPK15HIP_vector_typeIfLj2EEiiiiiiS1_IjLj3EES5_S5_.num_vgpr, 15
	.set _ZL33flash_attn_stream_k_fixup_uniformILi72ELi4ELi1EEvPfPK15HIP_vector_typeIfLj2EEiiiiiiS1_IjLj3EES5_S5_.num_agpr, 0
	.set _ZL33flash_attn_stream_k_fixup_uniformILi72ELi4ELi1EEvPfPK15HIP_vector_typeIfLj2EEiiiiiiS1_IjLj3EES5_S5_.numbered_sgpr, 24
	.set _ZL33flash_attn_stream_k_fixup_uniformILi72ELi4ELi1EEvPfPK15HIP_vector_typeIfLj2EEiiiiiiS1_IjLj3EES5_S5_.num_named_barrier, 0
	.set _ZL33flash_attn_stream_k_fixup_uniformILi72ELi4ELi1EEvPfPK15HIP_vector_typeIfLj2EEiiiiiiS1_IjLj3EES5_S5_.private_seg_size, 0
	.set _ZL33flash_attn_stream_k_fixup_uniformILi72ELi4ELi1EEvPfPK15HIP_vector_typeIfLj2EEiiiiiiS1_IjLj3EES5_S5_.uses_vcc, 1
	.set _ZL33flash_attn_stream_k_fixup_uniformILi72ELi4ELi1EEvPfPK15HIP_vector_typeIfLj2EEiiiiiiS1_IjLj3EES5_S5_.uses_flat_scratch, 0
	.set _ZL33flash_attn_stream_k_fixup_uniformILi72ELi4ELi1EEvPfPK15HIP_vector_typeIfLj2EEiiiiiiS1_IjLj3EES5_S5_.has_dyn_sized_stack, 0
	.set _ZL33flash_attn_stream_k_fixup_uniformILi72ELi4ELi1EEvPfPK15HIP_vector_typeIfLj2EEiiiiiiS1_IjLj3EES5_S5_.has_recursion, 0
	.set _ZL33flash_attn_stream_k_fixup_uniformILi72ELi4ELi1EEvPfPK15HIP_vector_typeIfLj2EEiiiiiiS1_IjLj3EES5_S5_.has_indirect_call, 0
	.section	.AMDGPU.csdata,"",@progbits
; Kernel info:
; codeLenInByte = 828
; TotalNumSgprs: 26
; NumVgprs: 15
; ScratchSize: 0
; MemoryBound: 0
; FloatMode: 240
; IeeeMode: 1
; LDSByteSize: 0 bytes/workgroup (compile time only)
; SGPRBlocks: 0
; VGPRBlocks: 1
; NumSGPRsForWavesPerEU: 26
; NumVGPRsForWavesPerEU: 15
; Occupancy: 16
; WaveLimiterHint : 0
; COMPUTE_PGM_RSRC2:SCRATCH_EN: 0
; COMPUTE_PGM_RSRC2:USER_SGPR: 6
; COMPUTE_PGM_RSRC2:TRAP_HANDLER: 0
; COMPUTE_PGM_RSRC2:TGID_X_EN: 1
; COMPUTE_PGM_RSRC2:TGID_Y_EN: 1
; COMPUTE_PGM_RSRC2:TGID_Z_EN: 1
; COMPUTE_PGM_RSRC2:TIDIG_COMP_CNT: 0
	.section	.text._ZL33flash_attn_stream_k_fixup_generalILi72ELi4ELi1EEvPfPK15HIP_vector_typeIfLj2EEiiiiS1_IjLj3EES5_S5_S5_,"axG",@progbits,_ZL33flash_attn_stream_k_fixup_generalILi72ELi4ELi1EEvPfPK15HIP_vector_typeIfLj2EEiiiiS1_IjLj3EES5_S5_S5_,comdat
	.globl	_ZL33flash_attn_stream_k_fixup_generalILi72ELi4ELi1EEvPfPK15HIP_vector_typeIfLj2EEiiiiS1_IjLj3EES5_S5_S5_ ; -- Begin function _ZL33flash_attn_stream_k_fixup_generalILi72ELi4ELi1EEvPfPK15HIP_vector_typeIfLj2EEiiiiS1_IjLj3EES5_S5_S5_
	.p2align	8
	.type	_ZL33flash_attn_stream_k_fixup_generalILi72ELi4ELi1EEvPfPK15HIP_vector_typeIfLj2EEiiiiS1_IjLj3EES5_S5_S5_,@function
_ZL33flash_attn_stream_k_fixup_generalILi72ELi4ELi1EEvPfPK15HIP_vector_typeIfLj2EEiiiiS1_IjLj3EES5_S5_S5_: ; @_ZL33flash_attn_stream_k_fixup_generalILi72ELi4ELi1EEvPfPK15HIP_vector_typeIfLj2EEiiiiS1_IjLj3EES5_S5_S5_
; %bb.0:
	s_clause 0x1
	s_load_dwordx4 s[0:3], s[4:5], 0x10
	s_load_dword s9, s[4:5], 0x50
	s_mov_b32 s16, 0
	s_waitcnt lgkmcnt(0)
	s_mul_hi_i32 s17, s3, s6
	s_mul_i32 s18, s3, s6
	s_cmp_lg_u64 s[16:17], 0
	s_cbranch_scc0 .LBB67_21
; %bb.1:
	s_add_u32 s10, s9, 0
	s_addc_u32 s11, 0, 0
	s_xor_b64 s[10:11], s[10:11], 0
	v_cvt_f32_u32_e32 v1, s10
	v_cvt_f32_u32_e32 v2, s11
	s_sub_u32 s14, 0, s10
	s_subb_u32 s15, 0, s11
	v_fmamk_f32 v1, v2, 0x4f800000, v1
	v_rcp_f32_e32 v1, v1
	v_mul_f32_e32 v1, 0x5f7ffffc, v1
	v_mul_f32_e32 v2, 0x2f800000, v1
	v_trunc_f32_e32 v2, v2
	v_fmamk_f32 v1, v2, 0xcf800000, v1
	v_cvt_u32_f32_e32 v2, v2
	v_cvt_u32_f32_e32 v1, v1
	v_readfirstlane_b32 s12, v2
	v_readfirstlane_b32 s13, v1
	s_mul_i32 s19, s14, s12
	s_mul_hi_u32 s21, s14, s13
	s_mul_i32 s20, s15, s13
	s_add_i32 s19, s21, s19
	s_mul_i32 s22, s14, s13
	s_add_i32 s19, s19, s20
	s_mul_hi_u32 s21, s13, s22
	s_mul_i32 s24, s13, s19
	s_mul_hi_u32 s23, s12, s22
	s_mul_i32 s20, s12, s22
	s_mul_hi_u32 s22, s13, s19
	s_add_u32 s21, s21, s24
	s_addc_u32 s22, 0, s22
	s_mul_hi_u32 s25, s12, s19
	s_add_u32 s20, s21, s20
	s_mul_i32 s19, s12, s19
	s_addc_u32 s20, s22, s23
	s_addc_u32 s21, s25, 0
	s_add_u32 s19, s20, s19
	s_addc_u32 s20, 0, s21
	s_add_u32 s13, s13, s19
	s_cselect_b32 s19, -1, 0
	s_mul_hi_u32 s21, s14, s13
	s_cmp_lg_u32 s19, 0
	s_mul_i32 s19, s14, s13
	s_addc_u32 s12, s12, s20
	s_mul_i32 s15, s15, s13
	s_mul_i32 s14, s14, s12
	s_mul_hi_u32 s20, s13, s19
	s_add_i32 s14, s21, s14
	s_mul_hi_u32 s21, s12, s19
	s_add_i32 s14, s14, s15
	s_mul_i32 s15, s12, s19
	s_mul_i32 s23, s13, s14
	s_mul_hi_u32 s22, s13, s14
	s_add_u32 s20, s20, s23
	s_addc_u32 s22, 0, s22
	s_mul_hi_u32 s19, s12, s14
	s_add_u32 s15, s20, s15
	s_mul_i32 s14, s12, s14
	s_addc_u32 s15, s22, s21
	s_addc_u32 s19, s19, 0
	s_add_u32 s14, s15, s14
	s_addc_u32 s15, 0, s19
	s_add_u32 s19, s13, s14
	s_cselect_b32 s13, -1, 0
	s_cmp_lg_u32 s13, 0
	s_addc_u32 s20, s12, s15
	s_ashr_i32 s12, s17, 31
	s_add_u32 s14, s18, s12
	s_mov_b32 s13, s12
	s_addc_u32 s15, s17, s12
	s_xor_b64 s[14:15], s[14:15], s[12:13]
	s_mul_i32 s21, s14, s20
	s_mul_hi_u32 s22, s14, s19
	s_mul_hi_u32 s17, s14, s20
	;; [unrolled: 1-line block ×3, first 2 shown]
	s_mul_i32 s19, s15, s19
	s_add_u32 s21, s22, s21
	s_addc_u32 s17, 0, s17
	s_mul_hi_u32 s23, s15, s20
	s_add_u32 s19, s21, s19
	s_mul_i32 s20, s15, s20
	s_addc_u32 s17, s17, s24
	s_addc_u32 s19, s23, 0
	s_add_u32 s17, s17, s20
	s_addc_u32 s19, 0, s19
	s_mul_hi_u32 s20, s10, s17
	s_mul_i32 s21, s10, s19
	s_mul_i32 s22, s11, s17
	s_add_i32 s20, s20, s21
	s_mul_i32 s21, s10, s17
	s_add_i32 s20, s20, s22
	s_sub_i32 s22, s15, s20
	s_sub_u32 s14, s14, s21
	s_cselect_b32 s21, -1, 0
	s_cmp_lg_u32 s21, 0
	s_subb_u32 s22, s22, s11
	s_sub_u32 s23, s14, s10
	s_cselect_b32 s24, -1, 0
	s_cmp_lg_u32 s24, 0
	s_subb_u32 s22, s22, 0
	s_cmp_ge_u32 s22, s11
	s_cselect_b32 s24, -1, 0
	s_cmp_ge_u32 s23, s10
	s_cselect_b32 s23, -1, 0
	s_cmp_eq_u32 s22, s11
	s_cselect_b32 s22, s23, s24
	s_add_u32 s23, s17, 1
	s_addc_u32 s24, s19, 0
	s_add_u32 s25, s17, 2
	s_addc_u32 s26, s19, 0
	s_cmp_lg_u32 s22, 0
	s_cselect_b32 s22, s25, s23
	s_cselect_b32 s23, s26, s24
	s_cmp_lg_u32 s21, 0
	s_subb_u32 s15, s15, s20
	s_cmp_ge_u32 s15, s11
	s_cselect_b32 s20, -1, 0
	s_cmp_ge_u32 s14, s10
	s_cselect_b32 s10, -1, 0
	s_cmp_eq_u32 s15, s11
	s_cselect_b32 s10, s10, s20
	s_cmp_lg_u32 s10, 0
	s_cselect_b32 s11, s23, s19
	s_cselect_b32 s10, s22, s17
	s_xor_b64 s[12:13], s[12:13], 0
	s_xor_b64 s[10:11], s[10:11], s[12:13]
	s_sub_u32 s10, s10, s12
	s_load_dwordx4 s[12:15], s[4:5], 0x44
	s_andn2_b32 vcc_lo, exec_lo, s16
	s_cbranch_vccnz .LBB67_3
.LBB67_2:
	v_cvt_f32_u32_e32 v1, s9
	s_sub_i32 s11, 0, s9
	v_rcp_iflag_f32_e32 v1, v1
	v_mul_f32_e32 v1, 0x4f7ffffe, v1
	v_cvt_u32_f32_e32 v1, v1
	v_readfirstlane_b32 s10, v1
	s_mul_i32 s11, s11, s10
	s_mul_hi_u32 s11, s10, s11
	s_add_i32 s10, s10, s11
	s_mul_hi_u32 s10, s18, s10
	s_mul_i32 s11, s10, s9
	s_waitcnt lgkmcnt(0)
	s_add_i32 s15, s10, 1
	s_sub_i32 s11, s18, s11
	s_sub_i32 s16, s11, s9
	s_cmp_ge_u32 s11, s9
	s_cselect_b32 s10, s15, s10
	s_cselect_b32 s11, s16, s11
	s_add_i32 s15, s10, 1
	s_cmp_ge_u32 s11, s9
	s_cselect_b32 s10, s15, s10
.LBB67_3:
	s_add_i32 s11, s6, 1
	s_mov_b32 s16, 0
	s_mul_hi_i32 s17, s3, s11
	s_mul_i32 s11, s3, s11
	s_cmp_lg_u64 s[16:17], 0
	s_cbranch_scc0 .LBB67_22
; %bb.4:
	s_add_u32 s18, s9, 0
	s_addc_u32 s19, 0, 0
	s_xor_b64 s[18:19], s[18:19], 0
	v_cvt_f32_u32_e32 v1, s18
	v_cvt_f32_u32_e32 v2, s19
	s_sub_u32 s21, 0, s18
	s_subb_u32 s22, 0, s19
	v_fmamk_f32 v1, v2, 0x4f800000, v1
	v_rcp_f32_e32 v1, v1
	v_mul_f32_e32 v1, 0x5f7ffffc, v1
	v_mul_f32_e32 v2, 0x2f800000, v1
	v_trunc_f32_e32 v2, v2
	v_fmamk_f32 v1, v2, 0xcf800000, v1
	v_cvt_u32_f32_e32 v2, v2
	v_cvt_u32_f32_e32 v1, v1
	s_waitcnt lgkmcnt(0)
	v_readfirstlane_b32 s15, v2
	v_readfirstlane_b32 s20, v1
	s_mul_i32 s23, s21, s15
	s_mul_hi_u32 s25, s21, s20
	s_mul_i32 s24, s22, s20
	s_add_i32 s23, s25, s23
	s_mul_i32 s26, s21, s20
	s_add_i32 s23, s23, s24
	s_mul_hi_u32 s25, s20, s26
	s_mul_i32 s28, s20, s23
	s_mul_hi_u32 s27, s15, s26
	s_mul_i32 s24, s15, s26
	s_mul_hi_u32 s26, s20, s23
	s_add_u32 s25, s25, s28
	s_addc_u32 s26, 0, s26
	s_mul_hi_u32 s29, s15, s23
	s_add_u32 s24, s25, s24
	s_mul_i32 s23, s15, s23
	s_addc_u32 s24, s26, s27
	s_addc_u32 s25, s29, 0
	s_add_u32 s23, s24, s23
	s_addc_u32 s24, 0, s25
	s_add_u32 s20, s20, s23
	s_cselect_b32 s23, -1, 0
	s_mul_hi_u32 s25, s21, s20
	s_cmp_lg_u32 s23, 0
	s_mul_i32 s23, s21, s20
	s_addc_u32 s15, s15, s24
	s_mul_i32 s22, s22, s20
	s_mul_i32 s21, s21, s15
	s_mul_hi_u32 s24, s20, s23
	s_add_i32 s21, s25, s21
	s_mul_hi_u32 s25, s15, s23
	s_add_i32 s21, s21, s22
	s_mul_i32 s22, s15, s23
	s_mul_i32 s27, s20, s21
	s_mul_hi_u32 s26, s20, s21
	s_add_u32 s24, s24, s27
	s_addc_u32 s26, 0, s26
	s_mul_hi_u32 s23, s15, s21
	s_add_u32 s22, s24, s22
	s_mul_i32 s21, s15, s21
	s_addc_u32 s22, s26, s25
	s_addc_u32 s23, s23, 0
	s_add_u32 s21, s22, s21
	s_addc_u32 s22, 0, s23
	s_add_u32 s24, s20, s21
	s_cselect_b32 s20, -1, 0
	s_cmp_lg_u32 s20, 0
	s_addc_u32 s15, s15, s22
	s_ashr_i32 s20, s17, 31
	s_add_u32 s22, s11, s20
	s_mov_b32 s21, s20
	s_addc_u32 s23, s17, s20
	s_xor_b64 s[22:23], s[22:23], s[20:21]
	s_mul_i32 s25, s22, s15
	s_mul_hi_u32 s26, s22, s24
	s_mul_hi_u32 s17, s22, s15
	;; [unrolled: 1-line block ×3, first 2 shown]
	s_mul_i32 s24, s23, s24
	s_add_u32 s25, s26, s25
	s_addc_u32 s17, 0, s17
	s_mul_hi_u32 s27, s23, s15
	s_add_u32 s24, s25, s24
	s_mul_i32 s15, s23, s15
	s_addc_u32 s17, s17, s28
	s_addc_u32 s24, s27, 0
	s_add_u32 s15, s17, s15
	s_addc_u32 s17, 0, s24
	s_mul_hi_u32 s24, s18, s15
	s_mul_i32 s25, s18, s17
	s_mul_i32 s26, s19, s15
	s_add_i32 s24, s24, s25
	s_mul_i32 s25, s18, s15
	s_add_i32 s24, s24, s26
	s_sub_i32 s26, s23, s24
	s_sub_u32 s22, s22, s25
	s_cselect_b32 s25, -1, 0
	s_cmp_lg_u32 s25, 0
	s_subb_u32 s26, s26, s19
	s_sub_u32 s27, s22, s18
	s_cselect_b32 s28, -1, 0
	s_cmp_lg_u32 s28, 0
	s_subb_u32 s26, s26, 0
	s_cmp_ge_u32 s26, s19
	s_cselect_b32 s28, -1, 0
	s_cmp_ge_u32 s27, s18
	s_cselect_b32 s27, -1, 0
	s_cmp_eq_u32 s26, s19
	s_cselect_b32 s26, s27, s28
	s_add_u32 s27, s15, 1
	s_addc_u32 s28, s17, 0
	s_add_u32 s29, s15, 2
	s_addc_u32 s30, s17, 0
	s_cmp_lg_u32 s26, 0
	s_cselect_b32 s26, s29, s27
	s_cselect_b32 s27, s30, s28
	s_cmp_lg_u32 s25, 0
	s_subb_u32 s23, s23, s24
	s_cmp_ge_u32 s23, s19
	s_cselect_b32 s24, -1, 0
	s_cmp_ge_u32 s22, s18
	s_cselect_b32 s18, -1, 0
	s_cmp_eq_u32 s23, s19
	s_cselect_b32 s18, s18, s24
	s_cmp_lg_u32 s18, 0
	s_cselect_b32 s19, s27, s17
	s_cselect_b32 s18, s26, s15
	s_xor_b64 s[20:21], s[20:21], 0
	s_xor_b64 s[18:19], s[18:19], s[20:21]
	s_sub_u32 s18, s18, s20
	s_andn2_b32 vcc_lo, exec_lo, s16
	s_cbranch_vccnz .LBB67_6
.LBB67_5:
	v_cvt_f32_u32_e32 v1, s9
	s_sub_i32 s16, 0, s9
	v_rcp_iflag_f32_e32 v1, v1
	v_mul_f32_e32 v1, 0x4f7ffffe, v1
	v_cvt_u32_f32_e32 v1, v1
	s_waitcnt lgkmcnt(0)
	v_readfirstlane_b32 s15, v1
	s_mul_i32 s16, s16, s15
	s_mul_hi_u32 s16, s15, s16
	s_add_i32 s15, s15, s16
	s_mul_hi_u32 s15, s11, s15
	s_mul_i32 s16, s15, s9
	s_sub_i32 s11, s11, s16
	s_add_i32 s16, s15, 1
	s_sub_i32 s17, s11, s9
	s_cmp_ge_u32 s11, s9
	s_cselect_b32 s15, s16, s15
	s_cselect_b32 s11, s17, s11
	s_add_i32 s16, s15, 1
	s_cmp_ge_u32 s11, s9
	s_cselect_b32 s18, s16, s15
.LBB67_6:
	s_cmp_eq_u32 s10, s18
	s_waitcnt lgkmcnt(0)
	s_mul_hi_u32 s11, s10, s12
	s_cselect_b32 s15, -1, 0
	s_add_i32 s11, s11, s10
	s_lshr_b32 s11, s11, s13
	s_mul_i32 s16, s11, s14
	s_cmp_eq_u32 s16, s10
	s_mul_hi_u32 s16, s18, s12
	s_cselect_b32 s17, -1, 0
	s_add_i32 s16, s16, s18
	s_lshr_b32 s16, s16, s13
	s_cmp_eq_u32 s11, s16
	s_mul_i32 s16, s16, s14
	s_cselect_b32 s19, -1, 0
	s_cmp_lg_u32 s16, s18
	s_cselect_b32 s16, -1, 0
	s_or_b32 s15, s15, s17
	s_and_b32 s16, s19, s16
	s_or_b32 s15, s15, s16
	s_and_b32 vcc_lo, exec_lo, s15
	s_cbranch_vccnz .LBB67_24
; %bb.7:
	s_clause 0x1
	s_load_dwordx8 s[20:27], s[4:5], 0x20
	s_load_dword s16, s[4:5], 0x40
	s_waitcnt lgkmcnt(0)
	s_mul_hi_u32 s15, s10, s20
	s_add_i32 s15, s15, s10
	s_lshr_b32 s15, s15, s21
	s_mul_i32 s17, s15, s22
	s_sub_i32 s17, s10, s17
	s_mul_hi_u32 s18, s17, s23
	s_add_i32 s18, s17, s18
	s_lshr_b32 s21, s18, s24
	s_mul_i32 s18, s21, s25
	s_sub_i32 s17, s17, s18
	;; [unrolled: 5-line block ×3, first 2 shown]
	s_mul_hi_u32 s17, s16, s12
	s_add_i32 s16, s16, s17
	s_lshr_b32 s20, s16, s13
	s_lshl_b32 s16, s20, 2
	s_add_i32 s16, s16, s7
	s_cmp_lt_i32 s16, s0
	s_cselect_b32 s16, -1, 0
	s_add_i32 s22, s22, s8
	s_cmp_lt_i32 s22, s2
	s_cselect_b32 s17, -1, 0
	s_and_b32 s16, s16, s17
	s_andn2_b32 vcc_lo, exec_lo, s16
	s_cbranch_vccnz .LBB67_24
; %bb.8:
	s_load_dwordx4 s[16:19], s[4:5], 0x0
	s_mov_b32 s4, 0
	s_lshl_b32 s24, s9, 4
	s_mov_b32 s25, s4
	s_add_i32 s8, s7, s8
	s_lshl_b64 s[24:25], s[24:25], 2
	s_mul_i32 s0, s15, s0
	s_mul_i32 s21, s21, s2
	v_cvt_f32_u32_e32 v3, s9
	v_rcp_iflag_f32_e32 v3, v3
	s_waitcnt lgkmcnt(0)
	s_add_u32 s2, s18, s24
	s_addc_u32 s15, s19, s25
	s_add_i32 s0, s0, s7
	s_add_i32 s5, s22, s21
	s_mul_i32 s0, s0, s1
	s_mul_i32 s1, s1, s20
	s_add_i32 s0, s5, s0
	s_mulk_i32 s1, 0x120
	s_mulk_i32 s0, 0x48
	v_mul_f32_e32 v7, 0x4f7ffffe, v3
	v_add3_u32 v1, s1, s0, v0
	s_lshl_b32 s0, s6, 2
	s_add_i32 s0, s0, s8
	v_ashrrev_i32_e32 v2, 31, v1
	s_ashr_i32 s1, s0, 31
	s_lshl_b64 s[0:1], s[0:1], 3
	v_lshlrev_b64 v[1:2], 2, v[1:2]
	s_add_u32 s0, s18, s0
	s_addc_u32 s1, s19, s1
	s_load_dwordx2 s[0:1], s[0:1], 0x0
	v_add_co_u32 v1, vcc_lo, s16, v1
	v_add_co_ci_u32_e64 v2, null, s17, v2, vcc_lo
	s_add_i32 s17, s6, -1
	v_mad_u64_u32 v[3:4], null, 0x48, s8, v[0:1]
	global_load_dword v5, v[1:2], off
	v_cvt_u32_f32_e32 v0, v7
	s_sub_i32 s16, 0, s9
	s_waitcnt lgkmcnt(0)
	v_mov_b32_e32 v4, s1
	v_mov_b32_e32 v6, s0
.LBB67_9:                               ; =>This Inner Loop Header: Depth=1
	s_mul_hi_i32 s5, s17, s3
	s_mul_i32 s6, s17, s3
	s_cmp_lg_u64 s[4:5], 0
	s_mov_b32 s7, -1
                                        ; implicit-def: $sgpr0_sgpr1
	s_cbranch_scc0 .LBB67_11
; %bb.10:                               ;   in Loop: Header=BB67_9 Depth=1
	s_add_u32 s0, s9, 0
	s_addc_u32 s1, 0, 0
	s_xor_b64 s[0:1], s[0:1], 0
	v_cvt_f32_u32_e32 v7, s0
	v_cvt_f32_u32_e32 v8, s1
	s_sub_u32 s21, 0, s0
	s_subb_u32 s22, 0, s1
	v_fmac_f32_e32 v7, 0x4f800000, v8
	v_rcp_f32_e32 v7, v7
	v_mul_f32_e32 v7, 0x5f7ffffc, v7
	v_mul_f32_e32 v8, 0x2f800000, v7
	v_trunc_f32_e32 v8, v8
	v_fmac_f32_e32 v7, 0xcf800000, v8
	v_cvt_u32_f32_e32 v8, v8
	v_cvt_u32_f32_e32 v7, v7
	v_readfirstlane_b32 s7, v8
	v_readfirstlane_b32 s20, v7
	s_mul_i32 s23, s21, s7
	s_mul_hi_u32 s25, s21, s20
	s_mul_i32 s24, s22, s20
	s_add_i32 s23, s25, s23
	s_mul_i32 s26, s21, s20
	s_add_i32 s23, s23, s24
	s_mul_hi_u32 s25, s20, s26
	s_mul_i32 s28, s20, s23
	s_mul_hi_u32 s27, s7, s26
	s_mul_i32 s24, s7, s26
	s_mul_hi_u32 s26, s20, s23
	s_add_u32 s25, s25, s28
	s_addc_u32 s26, 0, s26
	s_mul_hi_u32 s29, s7, s23
	s_add_u32 s24, s25, s24
	s_mul_i32 s23, s7, s23
	s_addc_u32 s24, s26, s27
	s_addc_u32 s25, s29, 0
	s_add_u32 s23, s24, s23
	s_addc_u32 s24, 0, s25
	s_add_u32 s20, s20, s23
	s_cselect_b32 s23, -1, 0
	s_mul_hi_u32 s25, s21, s20
	s_cmp_lg_u32 s23, 0
	s_mul_i32 s23, s21, s20
	s_addc_u32 s7, s7, s24
	s_mul_i32 s22, s22, s20
	s_mul_i32 s21, s21, s7
	s_mul_hi_u32 s24, s20, s23
	s_add_i32 s21, s25, s21
	s_mul_hi_u32 s25, s7, s23
	s_add_i32 s21, s21, s22
	s_mul_i32 s22, s7, s23
	s_mul_i32 s27, s20, s21
	s_mul_hi_u32 s26, s20, s21
	s_add_u32 s24, s24, s27
	s_addc_u32 s26, 0, s26
	s_mul_hi_u32 s23, s7, s21
	s_add_u32 s22, s24, s22
	s_mul_i32 s21, s7, s21
	s_addc_u32 s22, s26, s25
	s_addc_u32 s23, s23, 0
	s_add_u32 s21, s22, s21
	s_addc_u32 s22, 0, s23
	s_add_u32 s24, s20, s21
	s_cselect_b32 s20, -1, 0
	s_cmp_lg_u32 s20, 0
	s_addc_u32 s7, s7, s22
	s_ashr_i32 s20, s5, 31
	s_add_u32 s22, s6, s20
	s_mov_b32 s21, s20
	s_addc_u32 s23, s5, s20
	s_xor_b64 s[22:23], s[22:23], s[20:21]
	s_mul_i32 s25, s22, s7
	s_mul_hi_u32 s26, s22, s24
	s_mul_hi_u32 s5, s22, s7
	;; [unrolled: 1-line block ×3, first 2 shown]
	s_mul_i32 s24, s23, s24
	s_add_u32 s25, s26, s25
	s_addc_u32 s5, 0, s5
	s_mul_hi_u32 s27, s23, s7
	s_add_u32 s24, s25, s24
	s_mul_i32 s7, s23, s7
	s_addc_u32 s5, s5, s28
	s_addc_u32 s24, s27, 0
	s_add_u32 s5, s5, s7
	s_addc_u32 s7, 0, s24
	s_mul_hi_u32 s24, s0, s5
	s_mul_i32 s25, s0, s7
	s_mul_i32 s26, s1, s5
	s_add_i32 s24, s24, s25
	s_mul_i32 s25, s0, s5
	s_add_i32 s24, s24, s26
	s_sub_i32 s26, s23, s24
	s_sub_u32 s22, s22, s25
	s_cselect_b32 s25, -1, 0
	s_cmp_lg_u32 s25, 0
	s_subb_u32 s26, s26, s1
	s_sub_u32 s27, s22, s0
	s_cselect_b32 s28, -1, 0
	s_cmp_lg_u32 s28, 0
	s_subb_u32 s26, s26, 0
	s_cmp_ge_u32 s26, s1
	s_cselect_b32 s28, -1, 0
	s_cmp_ge_u32 s27, s0
	s_cselect_b32 s27, -1, 0
	s_cmp_eq_u32 s26, s1
	s_cselect_b32 s26, s27, s28
	s_add_u32 s27, s5, 1
	s_addc_u32 s28, s7, 0
	s_add_u32 s29, s5, 2
	s_addc_u32 s30, s7, 0
	s_cmp_lg_u32 s26, 0
	s_cselect_b32 s26, s29, s27
	s_cselect_b32 s27, s30, s28
	s_cmp_lg_u32 s25, 0
	s_subb_u32 s23, s23, s24
	s_cmp_ge_u32 s23, s1
	s_cselect_b32 s24, -1, 0
	s_cmp_ge_u32 s22, s0
	s_cselect_b32 s0, -1, 0
	s_cmp_eq_u32 s23, s1
	s_cselect_b32 s0, s0, s24
	s_cmp_lg_u32 s0, 0
	s_cselect_b32 s1, s27, s7
	s_cselect_b32 s0, s26, s5
	s_xor_b64 s[20:21], s[20:21], 0
	s_mov_b32 s7, 0
	s_xor_b64 s[0:1], s[0:1], s[20:21]
	s_sub_u32 s0, s0, s20
.LBB67_11:                              ;   in Loop: Header=BB67_9 Depth=1
	s_andn2_b32 vcc_lo, exec_lo, s7
	s_cbranch_vccnz .LBB67_13
; %bb.12:                               ;   in Loop: Header=BB67_9 Depth=1
	v_readfirstlane_b32 s0, v0
	s_mul_i32 s1, s16, s0
	s_mul_hi_u32 s1, s0, s1
	s_add_i32 s0, s0, s1
	s_mul_hi_u32 s0, s6, s0
	s_mul_i32 s1, s0, s9
	s_add_i32 s5, s0, 1
	s_sub_i32 s1, s6, s1
	s_sub_i32 s6, s1, s9
	s_cmp_ge_u32 s1, s9
	s_cselect_b32 s0, s5, s0
	s_cselect_b32 s1, s6, s1
	s_add_i32 s5, s0, 1
	s_cmp_ge_u32 s1, s9
	s_cselect_b32 s0, s5, s0
.LBB67_13:                              ;   in Loop: Header=BB67_9 Depth=1
	s_cmp_lg_u32 s10, s0
	s_mov_b32 s6, -1
                                        ; implicit-def: $sgpr5
                                        ; implicit-def: $vgpr8
                                        ; implicit-def: $vgpr7
                                        ; implicit-def: $vgpr9
                                        ; implicit-def: $sgpr1
                                        ; implicit-def: $sgpr20
	s_cbranch_scc0 .LBB67_18
; %bb.14:                               ;   in Loop: Header=BB67_9 Depth=1
	s_add_i32 s1, s17, s9
	s_mov_b32 s7, s4
	s_lshl_b32 s1, s1, 2
	s_mov_b32 s20, s10
	s_add_i32 s6, s1, s8
	s_mul_hi_u32 s1, s0, s12
	s_lshl_b64 s[6:7], s[6:7], 3
	s_add_u32 s6, s18, s6
	s_addc_u32 s7, s19, s7
	s_add_i32 s1, s1, s0
	s_lshr_b32 s1, s1, s13
	s_mul_i32 s5, s1, s14
	s_cmp_eq_u32 s5, s0
	s_cselect_b32 s5, -1, 0
	s_cmp_lt_u32 s1, s11
	s_cselect_b32 s1, -1, 0
	s_or_b32 s1, s1, s5
	s_mov_b32 s5, -1
	s_and_b32 vcc_lo, exec_lo, s1
	s_mov_b32 s1, s17
	s_cbranch_vccnz .LBB67_16
; %bb.15:                               ;   in Loop: Header=BB67_9 Depth=1
	s_add_i32 s1, s17, -1
	s_mov_b32 s5, 0
	s_mov_b32 s20, s0
.LBB67_16:                              ;   in Loop: Header=BB67_9 Depth=1
	v_mad_u64_u32 v[7:8], null, 0x120, s17, v[3:4]
	s_load_dwordx2 s[6:7], s[6:7], 0x0
	v_ashrrev_i32_e32 v8, 31, v7
	v_lshlrev_b64 v[7:8], 2, v[7:8]
	v_add_co_u32 v7, vcc_lo, s2, v7
	v_add_co_ci_u32_e64 v8, null, s15, v8, vcc_lo
	s_waitcnt lgkmcnt(0)
	v_max_f32_e64 v9, s6, s6
	global_load_dword v8, v[7:8], off
	v_max_f32_e32 v7, v6, v6
	v_max_f32_e32 v7, v7, v9
	v_sub_f32_e32 v9, s6, v7
	v_sub_f32_e32 v10, v6, v7
	v_mul_f32_e32 v11, 0x3fb8aa3b, v9
	v_mul_f32_e32 v12, 0x3fb8aa3b, v10
	v_cmp_ngt_f32_e32 vcc_lo, 0xc2ce8ed0, v9
	v_fma_f32 v13, 0x3fb8aa3b, v9, -v11
	v_rndne_f32_e32 v14, v11
	v_fma_f32 v15, 0x3fb8aa3b, v10, -v12
	v_rndne_f32_e32 v16, v12
	v_fmac_f32_e32 v13, 0x32a5705f, v9
	v_sub_f32_e32 v11, v11, v14
	v_fmac_f32_e32 v15, 0x32a5705f, v10
	v_sub_f32_e32 v12, v12, v16
	v_add_f32_e32 v11, v11, v13
	v_cvt_i32_f32_e32 v13, v14
	v_add_f32_e32 v12, v12, v15
	v_cvt_i32_f32_e32 v14, v16
	v_exp_f32_e32 v11, v11
	v_exp_f32_e32 v12, v12
	v_ldexp_f32 v11, v11, v13
	v_ldexp_f32 v12, v12, v14
	v_cndmask_b32_e32 v11, 0, v11, vcc_lo
	v_cmp_ngt_f32_e32 vcc_lo, 0xc2ce8ed0, v10
	v_cndmask_b32_e32 v12, 0, v12, vcc_lo
	v_cmp_nlt_f32_e32 vcc_lo, 0x42b17218, v9
	v_cndmask_b32_e32 v11, 0x7f800000, v11, vcc_lo
	v_cmp_nlt_f32_e32 vcc_lo, 0x42b17218, v10
	v_cndmask_b32_e32 v12, 0x7f800000, v12, vcc_lo
	v_cmp_le_f32_e32 vcc_lo, 0xc1a00000, v9
	v_cndmask_b32_e32 v9, 0, v11, vcc_lo
	v_cmp_le_f32_e32 vcc_lo, 0xc1a00000, v10
	v_cndmask_b32_e32 v10, 0, v12, vcc_lo
	s_waitcnt vmcnt(0)
	v_mul_f32_e32 v8, v8, v9
	v_mul_f32_e32 v9, s7, v9
	v_fmac_f32_e32 v8, v5, v10
	v_fmac_f32_e32 v9, v4, v10
	s_cbranch_execz .LBB67_19
.LBB67_17:                              ;   in Loop: Header=BB67_9 Depth=1
	s_andn2_b32 vcc_lo, exec_lo, s5
	s_cbranch_vccnz .LBB67_20
	s_branch .LBB67_23
.LBB67_18:                              ;   in Loop: Header=BB67_9 Depth=1
	s_andn2_b32 vcc_lo, exec_lo, s6
	s_cbranch_vccnz .LBB67_17
.LBB67_19:                              ;   in Loop: Header=BB67_9 Depth=1
	v_mov_b32_e32 v9, v4
	v_mov_b32_e32 v7, v6
	s_waitcnt vmcnt(0)
	v_mov_b32_e32 v8, v5
	s_add_i32 s1, s17, -1
	s_mov_b32 s20, s10
	s_cbranch_execz .LBB67_23
.LBB67_20:                              ;   in Loop: Header=BB67_9 Depth=1
	v_mov_b32_e32 v4, v9
	v_mov_b32_e32 v6, v7
	s_waitcnt vmcnt(0)
	v_mov_b32_e32 v5, v8
	s_mov_b32 s10, s20
	s_mov_b32 s17, s1
	s_branch .LBB67_9
.LBB67_21:
                                        ; implicit-def: $sgpr10_sgpr11
	s_load_dwordx4 s[12:15], s[4:5], 0x44
	s_branch .LBB67_2
.LBB67_22:
                                        ; implicit-def: $sgpr18_sgpr19
	s_branch .LBB67_5
.LBB67_23:
	v_div_scale_f32 v0, null, v9, v9, v8
	v_rcp_f32_e32 v3, v0
	v_fma_f32 v4, -v0, v3, 1.0
	v_fmac_f32_e32 v3, v4, v3
	v_div_scale_f32 v4, vcc_lo, v8, v9, v8
	s_waitcnt vmcnt(0)
	v_mul_f32_e32 v5, v4, v3
	v_fma_f32 v6, -v0, v5, v4
	v_fmac_f32_e32 v5, v6, v3
	v_fma_f32 v0, -v0, v5, v4
	v_div_fmas_f32 v0, v0, v3, v5
	v_div_fixup_f32 v0, v0, v9, v8
	global_store_dword v[1:2], v0, off
.LBB67_24:
	s_endpgm
	.section	.rodata,"a",@progbits
	.p2align	6, 0x0
	.amdhsa_kernel _ZL33flash_attn_stream_k_fixup_generalILi72ELi4ELi1EEvPfPK15HIP_vector_typeIfLj2EEiiiiS1_IjLj3EES5_S5_S5_
		.amdhsa_group_segment_fixed_size 0
		.amdhsa_private_segment_fixed_size 0
		.amdhsa_kernarg_size 336
		.amdhsa_user_sgpr_count 6
		.amdhsa_user_sgpr_private_segment_buffer 1
		.amdhsa_user_sgpr_dispatch_ptr 0
		.amdhsa_user_sgpr_queue_ptr 0
		.amdhsa_user_sgpr_kernarg_segment_ptr 1
		.amdhsa_user_sgpr_dispatch_id 0
		.amdhsa_user_sgpr_flat_scratch_init 0
		.amdhsa_user_sgpr_private_segment_size 0
		.amdhsa_wavefront_size32 1
		.amdhsa_uses_dynamic_stack 0
		.amdhsa_system_sgpr_private_segment_wavefront_offset 0
		.amdhsa_system_sgpr_workgroup_id_x 1
		.amdhsa_system_sgpr_workgroup_id_y 1
		.amdhsa_system_sgpr_workgroup_id_z 1
		.amdhsa_system_sgpr_workgroup_info 0
		.amdhsa_system_vgpr_workitem_id 0
		.amdhsa_next_free_vgpr 17
		.amdhsa_next_free_sgpr 31
		.amdhsa_reserve_vcc 1
		.amdhsa_reserve_flat_scratch 0
		.amdhsa_float_round_mode_32 0
		.amdhsa_float_round_mode_16_64 0
		.amdhsa_float_denorm_mode_32 3
		.amdhsa_float_denorm_mode_16_64 3
		.amdhsa_dx10_clamp 1
		.amdhsa_ieee_mode 1
		.amdhsa_fp16_overflow 0
		.amdhsa_workgroup_processor_mode 1
		.amdhsa_memory_ordered 1
		.amdhsa_forward_progress 1
		.amdhsa_shared_vgpr_count 0
		.amdhsa_exception_fp_ieee_invalid_op 0
		.amdhsa_exception_fp_denorm_src 0
		.amdhsa_exception_fp_ieee_div_zero 0
		.amdhsa_exception_fp_ieee_overflow 0
		.amdhsa_exception_fp_ieee_underflow 0
		.amdhsa_exception_fp_ieee_inexact 0
		.amdhsa_exception_int_div_zero 0
	.end_amdhsa_kernel
	.section	.text._ZL33flash_attn_stream_k_fixup_generalILi72ELi4ELi1EEvPfPK15HIP_vector_typeIfLj2EEiiiiS1_IjLj3EES5_S5_S5_,"axG",@progbits,_ZL33flash_attn_stream_k_fixup_generalILi72ELi4ELi1EEvPfPK15HIP_vector_typeIfLj2EEiiiiS1_IjLj3EES5_S5_S5_,comdat
.Lfunc_end67:
	.size	_ZL33flash_attn_stream_k_fixup_generalILi72ELi4ELi1EEvPfPK15HIP_vector_typeIfLj2EEiiiiS1_IjLj3EES5_S5_S5_, .Lfunc_end67-_ZL33flash_attn_stream_k_fixup_generalILi72ELi4ELi1EEvPfPK15HIP_vector_typeIfLj2EEiiiiS1_IjLj3EES5_S5_S5_
                                        ; -- End function
	.set _ZL33flash_attn_stream_k_fixup_generalILi72ELi4ELi1EEvPfPK15HIP_vector_typeIfLj2EEiiiiS1_IjLj3EES5_S5_S5_.num_vgpr, 17
	.set _ZL33flash_attn_stream_k_fixup_generalILi72ELi4ELi1EEvPfPK15HIP_vector_typeIfLj2EEiiiiS1_IjLj3EES5_S5_S5_.num_agpr, 0
	.set _ZL33flash_attn_stream_k_fixup_generalILi72ELi4ELi1EEvPfPK15HIP_vector_typeIfLj2EEiiiiS1_IjLj3EES5_S5_S5_.numbered_sgpr, 31
	.set _ZL33flash_attn_stream_k_fixup_generalILi72ELi4ELi1EEvPfPK15HIP_vector_typeIfLj2EEiiiiS1_IjLj3EES5_S5_S5_.num_named_barrier, 0
	.set _ZL33flash_attn_stream_k_fixup_generalILi72ELi4ELi1EEvPfPK15HIP_vector_typeIfLj2EEiiiiS1_IjLj3EES5_S5_S5_.private_seg_size, 0
	.set _ZL33flash_attn_stream_k_fixup_generalILi72ELi4ELi1EEvPfPK15HIP_vector_typeIfLj2EEiiiiS1_IjLj3EES5_S5_S5_.uses_vcc, 1
	.set _ZL33flash_attn_stream_k_fixup_generalILi72ELi4ELi1EEvPfPK15HIP_vector_typeIfLj2EEiiiiS1_IjLj3EES5_S5_S5_.uses_flat_scratch, 0
	.set _ZL33flash_attn_stream_k_fixup_generalILi72ELi4ELi1EEvPfPK15HIP_vector_typeIfLj2EEiiiiS1_IjLj3EES5_S5_S5_.has_dyn_sized_stack, 0
	.set _ZL33flash_attn_stream_k_fixup_generalILi72ELi4ELi1EEvPfPK15HIP_vector_typeIfLj2EEiiiiS1_IjLj3EES5_S5_S5_.has_recursion, 0
	.set _ZL33flash_attn_stream_k_fixup_generalILi72ELi4ELi1EEvPfPK15HIP_vector_typeIfLj2EEiiiiS1_IjLj3EES5_S5_S5_.has_indirect_call, 0
	.section	.AMDGPU.csdata,"",@progbits
; Kernel info:
; codeLenInByte = 2940
; TotalNumSgprs: 33
; NumVgprs: 17
; ScratchSize: 0
; MemoryBound: 0
; FloatMode: 240
; IeeeMode: 1
; LDSByteSize: 0 bytes/workgroup (compile time only)
; SGPRBlocks: 0
; VGPRBlocks: 2
; NumSGPRsForWavesPerEU: 33
; NumVGPRsForWavesPerEU: 17
; Occupancy: 16
; WaveLimiterHint : 0
; COMPUTE_PGM_RSRC2:SCRATCH_EN: 0
; COMPUTE_PGM_RSRC2:USER_SGPR: 6
; COMPUTE_PGM_RSRC2:TRAP_HANDLER: 0
; COMPUTE_PGM_RSRC2:TGID_X_EN: 1
; COMPUTE_PGM_RSRC2:TGID_Y_EN: 1
; COMPUTE_PGM_RSRC2:TGID_Z_EN: 1
; COMPUTE_PGM_RSRC2:TIDIG_COMP_CNT: 0
	.section	.text._ZL15flash_attn_tileILi72ELi72ELi2ELi1ELb0EEvPKcS1_S1_S1_S1_PKiPfP15HIP_vector_typeIfLj2EEffffjfiS5_IjLj3EEiiiiiiiiiiiliiliiiiil,"axG",@progbits,_ZL15flash_attn_tileILi72ELi72ELi2ELi1ELb0EEvPKcS1_S1_S1_S1_PKiPfP15HIP_vector_typeIfLj2EEffffjfiS5_IjLj3EEiiiiiiiiiiiliiliiiiil,comdat
	.globl	_ZL15flash_attn_tileILi72ELi72ELi2ELi1ELb0EEvPKcS1_S1_S1_S1_PKiPfP15HIP_vector_typeIfLj2EEffffjfiS5_IjLj3EEiiiiiiiiiiiliiliiiiil ; -- Begin function _ZL15flash_attn_tileILi72ELi72ELi2ELi1ELb0EEvPKcS1_S1_S1_S1_PKiPfP15HIP_vector_typeIfLj2EEffffjfiS5_IjLj3EEiiiiiiiiiiiliiliiiiil
	.p2align	8
	.type	_ZL15flash_attn_tileILi72ELi72ELi2ELi1ELb0EEvPKcS1_S1_S1_S1_PKiPfP15HIP_vector_typeIfLj2EEffffjfiS5_IjLj3EEiiiiiiiiiiiliiliiiiil,@function
_ZL15flash_attn_tileILi72ELi72ELi2ELi1ELb0EEvPKcS1_S1_S1_S1_PKiPfP15HIP_vector_typeIfLj2EEffffjfiS5_IjLj3EEiiiiiiiiiiiliiliiiiil: ; @_ZL15flash_attn_tileILi72ELi72ELi2ELi1ELb0EEvPKcS1_S1_S1_S1_PKiPfP15HIP_vector_typeIfLj2EEffffjfiS5_IjLj3EEiiiiiiiiiiiliiliiiiil
; %bb.0:
	s_add_u32 s6, s6, s11
	s_addc_u32 s7, s7, 0
	s_setreg_b32 hwreg(HW_REG_FLAT_SCR_LO), s6
	s_setreg_b32 hwreg(HW_REG_FLAT_SCR_HI), s7
	s_clause 0x1
	s_load_dwordx4 s[28:31], s[4:5], 0x5c
	s_load_dwordx2 s[44:45], s[4:5], 0x80
	s_add_u32 s0, s0, s11
	s_addc_u32 s1, s1, 0
	s_mov_b32 s34, s9
	s_mov_b64 s[42:43], 0
	s_waitcnt lgkmcnt(0)
	v_cvt_f32_u32_e32 v2, s31
	s_sub_i32 s7, 0, s31
	v_rcp_iflag_f32_e32 v2, v2
	v_mul_f32_e32 v2, 0x4f7ffffe, v2
	v_cvt_u32_f32_e32 v2, v2
	v_readfirstlane_b32 s6, v2
	s_mul_i32 s7, s7, s6
	s_mul_hi_u32 s7, s6, s7
	s_add_i32 s6, s6, s7
	s_mul_hi_u32 s6, s10, s6
	s_mul_i32 s7, s6, s31
	s_add_i32 s9, s6, 1
	s_sub_i32 s7, s10, s7
	s_sub_i32 s11, s7, s31
	s_cmp_ge_u32 s7, s31
	s_cselect_b32 s6, s9, s6
	s_cselect_b32 s7, s11, s7
	s_add_i32 s9, s6, 1
	s_cmp_ge_u32 s7, s31
	s_cselect_b32 s33, s9, s6
	s_abs_i32 s6, s45
	s_abs_i32 s12, s31
	v_cvt_f32_u32_e32 v2, s6
	s_sub_i32 s9, 0, s6
	s_xor_b32 s11, s31, s45
	s_ashr_i32 s11, s11, 31
	v_rcp_iflag_f32_e32 v2, v2
	v_mul_f32_e32 v2, 0x4f7ffffe, v2
	v_cvt_u32_f32_e32 v2, v2
	v_readfirstlane_b32 s7, v2
	s_mul_i32 s9, s9, s7
	s_mul_hi_u32 s9, s7, s9
	s_add_i32 s7, s7, s9
	s_mul_i32 s9, s33, s31
	s_mul_hi_u32 s7, s12, s7
	s_sub_i32 s40, s10, s9
	s_mul_i32 s13, s7, s6
	s_add_i32 s10, s7, 1
	s_sub_i32 s9, s12, s13
	s_sub_i32 s12, s9, s6
	s_cmp_ge_u32 s9, s6
	s_cselect_b32 s7, s10, s7
	s_cselect_b32 s9, s12, s9
	s_add_i32 s10, s7, 1
	s_cmp_ge_u32 s9, s6
	s_clause 0x1
	s_load_dwordx16 s[12:27], s[4:5], 0x0
	s_load_dwordx2 s[46:47], s[4:5], 0xb8
	s_cselect_b32 s6, s10, s7
	s_xor_b32 s6, s6, s11
	s_sub_i32 s10, s6, s11
	s_abs_i32 s35, s10
	v_cvt_f32_u32_e32 v2, s35
	s_sub_i32 s6, 0, s35
	v_rcp_iflag_f32_e32 v2, v2
	s_waitcnt lgkmcnt(0)
	s_cmp_eq_u64 s[18:19], 0
	v_mul_f32_e32 v2, 0x4f7ffffe, v2
	v_cvt_u32_f32_e32 v2, v2
	v_readfirstlane_b32 s11, v2
	s_mul_i32 s6, s6, s11
	s_mul_hi_u32 s6, s11, s6
	s_cbranch_scc1 .LBB68_2
; %bb.1:
	s_abs_i32 s7, s46
	s_abs_i32 s38, s33
	v_cvt_f32_u32_e32 v2, s7
	s_sub_i32 s36, 0, s7
	v_rcp_iflag_f32_e32 v2, v2
	v_mul_f32_e32 v2, 0x4f7ffffe, v2
	v_cvt_u32_f32_e32 v2, v2
	v_readfirstlane_b32 s9, v2
	s_mul_i32 s36, s36, s9
	s_mul_hi_u32 s36, s9, s36
	s_add_i32 s9, s9, s36
	s_load_dwordx2 s[36:37], s[4:5], 0xc8
	s_mul_hi_u32 s9, s38, s9
	s_mul_i32 s9, s9, s7
	s_sub_i32 s9, s38, s9
	s_ashr_i32 s38, s33, 31
	s_sub_i32 s39, s9, s7
	s_cmp_ge_u32 s9, s7
	s_cselect_b32 s9, s39, s9
	s_sub_i32 s39, s9, s7
	s_cmp_ge_u32 s9, s7
	s_cselect_b32 s7, s39, s9
	s_xor_b32 s7, s7, s38
	s_sub_i32 s7, s7, s38
	s_ashr_i32 s9, s7, 31
	s_waitcnt lgkmcnt(0)
	s_mul_hi_u32 s38, s36, s7
	s_mul_i32 s9, s36, s9
	s_mul_i32 s37, s37, s7
	s_add_i32 s9, s38, s9
	s_mul_i32 s7, s36, s7
	s_add_i32 s9, s9, s37
	s_add_u32 s42, s18, s7
	s_addc_u32 s43, s19, s9
.LBB68_2:
	s_clause 0x1
	s_load_dwordx4 s[36:39], s[4:5], 0x40
	s_load_dword s7, s[4:5], 0x50
	v_mov_b32_e32 v28, 1.0
	s_add_i32 s11, s11, s6
	s_waitcnt lgkmcnt(0)
	v_cmp_le_f32_e64 s9, s37, 0
	s_abs_i32 s37, s40
	s_and_b32 vcc_lo, exec_lo, s9
	s_cbranch_vccnz .LBB68_4
; %bb.3:
	v_sub_co_u32 v3, vcc_lo, s40, s7
	v_mov_b32_e32 v2, s38
	s_add_i32 s6, s40, 1
	v_lshlrev_b32_e32 v3, 1, v3
	v_cndmask_b32_e32 v2, s39, v2, vcc_lo
	v_or_b32_e32 v3, 1, v3
	v_cndmask_b32_e64 v3, v3, s6, vcc_lo
	v_cmp_neq_f32_e32 vcc_lo, 1.0, v2
	s_mov_b32 s6, 0x3e76c4e1
	v_cvt_f32_i32_e32 v3, v3
	v_cndmask_b32_e32 v4, 1.0, v3, vcc_lo
	v_cmp_neq_f32_e32 vcc_lo, 0, v4
	v_cndmask_b32_e32 v5, 1.0, v2, vcc_lo
	v_frexp_mant_f32_e64 v2, |v5|
	v_cmp_eq_f32_e64 s9, 0, v5
	v_cmp_gt_f32_e32 vcc_lo, 0x3f2aaaab, v2
	v_cndmask_b32_e64 v3, 1.0, 2.0, vcc_lo
	v_mul_f32_e32 v2, v2, v3
	v_add_f32_e32 v3, 1.0, v2
	v_add_f32_e32 v7, -1.0, v2
	v_rcp_f32_e32 v6, v3
	v_add_f32_e32 v9, -1.0, v3
	v_sub_f32_e32 v2, v2, v9
	v_mul_f32_e32 v8, v7, v6
	v_mul_f32_e32 v10, v3, v8
	v_fma_f32 v3, v8, v3, -v10
	v_fmac_f32_e32 v3, v8, v2
	v_add_f32_e32 v2, v10, v3
	v_sub_f32_e32 v9, v7, v2
	v_sub_f32_e32 v10, v2, v10
	;; [unrolled: 1-line block ×5, first 2 shown]
	v_add_f32_e32 v2, v3, v2
	v_add_f32_e32 v2, v9, v2
	v_mul_f32_e32 v2, v6, v2
	v_add_f32_e32 v6, v8, v2
	v_sub_f32_e32 v3, v6, v8
	v_mul_f32_e32 v7, v6, v6
	v_sub_f32_e32 v8, v2, v3
	v_fma_f32 v2, v6, v6, -v7
	v_add_f32_e32 v3, v8, v8
	v_fmac_f32_e32 v2, v6, v3
	v_add_f32_e32 v9, v7, v2
	v_fmaak_f32 v3, s6, v9, 0x3e91f4c4
	v_sub_f32_e32 v7, v9, v7
	v_mul_f32_e32 v14, v6, v9
	v_fmaak_f32 v3, v9, v3, 0x3ecccdef
	v_sub_f32_e32 v7, v2, v7
	v_fma_f32 v15, v9, v6, -v14
	v_mul_f32_e32 v10, v9, v3
	v_fmac_f32_e32 v15, v9, v8
	v_ldexp_f32 v8, v8, 1
	v_fma_f32 v11, v9, v3, -v10
	v_fmac_f32_e32 v15, v7, v6
	v_fmac_f32_e32 v11, v7, v3
	v_cvt_f64_f32_e64 v[2:3], |v5|
	v_add_f32_e32 v12, v10, v11
	v_sub_f32_e32 v10, v12, v10
	v_add_f32_e32 v13, 0x3f2aaaaa, v12
	v_sub_f32_e32 v10, v11, v10
	v_add_f32_e32 v11, 0xbf2aaaaa, v13
	v_add_f32_e32 v10, 0x31739010, v10
	v_sub_f32_e32 v11, v12, v11
	v_frexp_exp_i32_f64_e32 v2, v[2:3]
	v_add_f32_e32 v9, v10, v11
	v_add_f32_e32 v10, v14, v15
	;; [unrolled: 1-line block ×3, first 2 shown]
	v_sub_f32_e32 v12, v10, v14
	v_sub_f32_e32 v3, v13, v7
	v_mul_f32_e32 v11, v10, v7
	v_sub_f32_e32 v12, v15, v12
	v_add_f32_e32 v3, v9, v3
	v_fma_f32 v9, v10, v7, -v11
	v_subrev_co_ci_u32_e64 v2, null, 0, v2, vcc_lo
	v_fmac_f32_e32 v9, v10, v3
	v_ldexp_f32 v3, v6, 1
	v_cvt_f32_i32_e32 v2, v2
	v_fmac_f32_e32 v9, v12, v7
	v_add_f32_e32 v6, v11, v9
	v_add_f32_e32 v7, v3, v6
	v_sub_f32_e32 v10, v6, v11
	v_mul_f32_e32 v11, 0x3f317218, v2
	v_sub_f32_e32 v3, v7, v3
	v_sub_f32_e32 v9, v9, v10
	v_fma_f32 v10, 0x3f317218, v2, -v11
	v_sub_f32_e32 v3, v6, v3
	v_add_f32_e32 v6, v8, v9
	v_fmamk_f32 v2, v2, 0xb102e308, v10
	v_add_f32_e32 v3, v6, v3
	v_add_f32_e32 v6, v11, v2
	;; [unrolled: 1-line block ×3, first 2 shown]
	v_sub_f32_e32 v11, v6, v11
	v_add_f32_e32 v9, v6, v8
	v_sub_f32_e32 v7, v8, v7
	v_sub_f32_e32 v2, v2, v11
	;; [unrolled: 1-line block ×6, first 2 shown]
	v_add_f32_e32 v8, v2, v3
	v_sub_f32_e32 v6, v6, v12
	v_add_f32_e32 v6, v7, v6
	v_sub_f32_e32 v7, v8, v2
	;; [unrolled: 2-line block ×3, first 2 shown]
	v_sub_f32_e32 v3, v3, v7
	v_add_f32_e32 v10, v9, v6
	v_sub_f32_e32 v2, v2, v8
	v_sub_f32_e32 v7, v10, v9
	v_add_f32_e32 v2, v3, v2
	v_sub_f32_e32 v3, v6, v7
	v_add_f32_e32 v2, v2, v3
	v_add_f32_e32 v3, v10, v2
	v_sub_f32_e32 v6, v3, v10
	v_mul_f32_e32 v7, v4, v3
	v_sub_f32_e32 v2, v2, v6
	v_fma_f32 v3, v4, v3, -v7
	v_cmp_class_f32_e64 vcc_lo, v7, 0x204
	v_fmac_f32_e32 v3, v4, v2
	v_add_f32_e32 v2, v7, v3
	v_cndmask_b32_e32 v6, v2, v7, vcc_lo
	v_sub_f32_e32 v2, v2, v7
	v_cmp_eq_f32_e32 vcc_lo, 0x42b17218, v6
	v_sub_f32_e32 v2, v3, v2
	v_cndmask_b32_e64 v8, 0, 0x37000000, vcc_lo
	v_cmp_neq_f32_e64 vcc_lo, 0x7f800000, |v6|
	v_sub_f32_e32 v9, v6, v8
	v_cndmask_b32_e32 v2, 0, v2, vcc_lo
	v_trunc_f32_e32 v6, v4
	v_mul_f32_e32 v10, 0x3fb8aa3b, v9
	v_cmp_ngt_f32_e32 vcc_lo, 0xc2ce8ed0, v9
	v_add_f32_e32 v2, v8, v2
	v_fma_f32 v11, 0x3fb8aa3b, v9, -v10
	v_rndne_f32_e32 v12, v10
	v_fmamk_f32 v11, v9, 0x32a5705f, v11
	v_sub_f32_e32 v10, v10, v12
	v_cvt_i32_f32_e32 v7, v12
	v_add_f32_e32 v10, v10, v11
	v_exp_f32_e32 v10, v10
	v_ldexp_f32 v3, v10, v7
	v_mul_f32_e32 v7, 0.5, v4
	v_cndmask_b32_e32 v3, 0, v3, vcc_lo
	v_cmp_nlt_f32_e32 vcc_lo, 0x42b17218, v9
	v_trunc_f32_e32 v10, v7
	v_cndmask_b32_e32 v3, 0x7f800000, v3, vcc_lo
	v_cmp_eq_f32_e32 vcc_lo, v6, v4
	v_cmp_neq_f32_e64 s6, v10, v7
	v_fma_f32 v2, v3, v2, v3
	v_cmp_class_f32_e64 s7, v3, 0x204
	s_and_b32 s6, vcc_lo, s6
	v_cndmask_b32_e64 v6, 1.0, v5, s6
	v_cndmask_b32_e64 v2, v2, v3, s7
	v_cmp_gt_f32_e64 s7, 0, v4
	v_bfi_b32 v2, 0x7fffffff, v2, v6
	s_xor_b32 s7, s7, s9
	v_cndmask_b32_e64 v6, 0, v5, s6
	v_cndmask_b32_e64 v3, 0x7f800000, 0, s7
	v_cmp_class_f32_e64 s6, v5, 0x204
	v_cndmask_b32_e32 v4, 0x7fc00000, v2, vcc_lo
	v_cmp_gt_f32_e32 vcc_lo, 0, v5
	v_bfi_b32 v3, 0x7fffffff, v3, v6
	v_cndmask_b32_e32 v2, v2, v4, vcc_lo
	s_or_b32 vcc_lo, s9, s6
	v_cndmask_b32_e32 v2, v2, v3, vcc_lo
	v_cmp_o_f32_e32 vcc_lo, v5, v5
	v_cndmask_b32_e32 v28, 0x7fc00000, v2, vcc_lo
.LBB68_4:
	s_lshl_b32 s7, s8, 1
	s_movk_i32 s9, 0x90
	v_cmp_gt_u32_e64 s6, 18, v0
	v_mad_u32_u24 v31, v1, s9, 0x14e0
	v_lshlrev_b32_e32 v24, 3, v0
	v_add_nc_u32_e32 v2, s7, v1
	s_mul_hi_u32 s7, s37, s11
	s_and_saveexec_b32 s9, s6
	s_cbranch_execz .LBB68_6
; %bb.5:
	v_mul_hi_u32 v3, s28, v2
	s_load_dwordx4 s[48:51], s[4:5], 0x70
	v_add_nc_u32_e32 v7, v31, v24
	v_add_nc_u32_e32 v3, v2, v3
	v_lshrrev_b32_e32 v3, s29, v3
	v_mul_lo_u32 v3, v3, s30
	s_waitcnt lgkmcnt(0)
	s_mul_i32 s11, s33, s50
	s_mul_i32 s18, s40, s49
	s_ashr_i32 s19, s11, 31
	s_add_u32 s11, s12, s11
	s_addc_u32 s12, s13, s19
	s_ashr_i32 s13, s18, 31
	s_add_u32 s11, s11, s18
	v_sub_nc_u32_e32 v5, v2, v3
	s_addc_u32 s18, s12, s13
	s_ashr_i32 s49, s48, 31
	s_lshr_b64 s[12:13], s[48:49], 2
	v_mad_u64_u32 v[3:4], null, s12, v5, 0
	s_lshr_b32 s12, s49, 2
	v_mad_u64_u32 v[4:5], null, s12, v5, v[4:5]
	v_lshlrev_b32_e32 v5, 4, v0
	v_lshlrev_b64 v[3:4], 2, v[3:4]
	v_add_co_u32 v3, vcc_lo, s11, v3
	v_add_co_ci_u32_e64 v4, null, s18, v4, vcc_lo
	v_add_co_u32 v3, vcc_lo, v3, v5
	v_add_co_ci_u32_e64 v4, null, 0, v4, vcc_lo
	global_load_dwordx4 v[3:6], v[3:4], off
	s_waitcnt vmcnt(0)
	v_fma_mixlo_f16 v4, s36, v4, 0
	v_fma_mixlo_f16 v3, s36, v3, 0
	;; [unrolled: 1-line block ×4, first 2 shown]
	v_lshlrev_b32_e32 v4, 16, v4
	v_and_b32_e32 v3, 0xffff, v3
	v_and_b32_e32 v5, 0xffff, v5
	v_lshlrev_b32_e32 v6, 16, v6
	v_or_b32_e32 v3, v4, v3
	v_or3_b32 v4, v6, v5, 0
	v_or3_b32 v3, 0, 0, v3
	ds_write_b64 v7, v[3:4]
.LBB68_6:
	s_or_b32 exec_lo, exec_lo, s9
	s_ashr_i32 s41, s40, 31
	s_ashr_i32 s12, s10, 31
	s_cmp_eq_u64 s[22:23], 0
	s_waitcnt lgkmcnt(0)
	s_barrier
	buffer_gl0_inv
	s_cbranch_scc1 .LBB68_8
; %bb.7:
	s_load_dword s9, s[4:5], 0xd0
	s_waitcnt lgkmcnt(0)
	s_mul_i32 s9, s9, s33
	s_add_i32 s8, s9, s8
	s_mov_b32 s9, 0
	s_lshl_b64 s[8:9], s[8:9], 2
	s_add_u32 s8, s22, s8
	s_addc_u32 s9, s23, s9
	s_load_dword s44, s[8:9], 0x0
.LBB68_8:
	s_clause 0x2
	s_load_dwordx2 s[22:23], s[4:5], 0x8c
	s_load_dwordx4 s[8:11], s[4:5], 0x98
	s_load_dwordx2 s[38:39], s[4:5], 0xa8
	s_ashr_i32 s13, s33, 31
	s_ashr_i32 s19, s47, 1
	s_mul_i32 s36, s7, s35
	v_lshl_add_u32 v30, v1, 5, v0
	v_lshrrev_b32_e32 v36, 3, v0
	v_lshlrev_b32_e32 v35, 2, v0
	v_mul_u32_u24_e32 v33, 0xa0, v0
	v_lshl_add_u32 v26, v1, 6, 0x1600
	v_mbcnt_lo_u32_b32 v25, -1, 0
	s_waitcnt lgkmcnt(0)
	s_ashr_i32 s22, s22, 2
	s_ashr_i32 s18, s10, 2
	s_mul_hi_u32 s10, s8, s33
	s_mul_i32 s45, s8, s13
	s_mul_i32 s9, s9, s33
	s_add_i32 s10, s10, s45
	s_mul_i32 s8, s8, s33
	s_add_i32 s10, s10, s9
	s_add_u32 s8, s14, s8
	s_addc_u32 s9, s15, s10
	s_xor_b32 s10, s41, s12
	s_sub_i32 s12, s37, s36
	s_add_i32 s14, s7, 1
	s_sub_i32 s15, s12, s35
	s_cmp_ge_u32 s12, s35
	s_mul_i32 s13, s38, s13
	s_cselect_b32 s7, s14, s7
	s_cselect_b32 s12, s15, s12
	s_add_i32 s14, s7, 1
	s_cmp_ge_u32 s12, s35
	s_mul_i32 s15, s39, s33
	s_cselect_b32 s7, s14, s7
	s_mul_hi_u32 s14, s38, s33
	s_xor_b32 s7, s7, s10
	s_sub_i32 s7, s7, s10
	s_mul_i32 s10, s7, s23
	s_mul_i32 s23, s38, s33
	s_ashr_i32 s12, s10, 31
	s_add_u32 s10, s8, s10
	s_addc_u32 s12, s9, s12
	s_add_i32 s8, s14, s13
	s_mul_i32 s7, s7, s11
	s_add_i32 s8, s8, s15
	s_add_u32 s9, s16, s23
	s_addc_u32 s8, s17, s8
	s_ashr_i32 s11, s7, 31
	s_add_u32 s14, s9, s7
	s_addc_u32 s15, s8, s11
	s_lshl_b32 s16, s34, 5
	s_sub_i32 s11, s44, 32
	s_cmp_ge_i32 s16, s11
	s_cbranch_scc1 .LBB68_19
; %bb.9:
	v_lshl_add_u32 v5, v1, 2, v36
	v_mul_hi_u32 v3, s28, v2
	s_lshl_b32 s8, s22, 3
	s_cmp_lg_u64 s[42:43], 0
	v_and_b32_e32 v29, 28, v35
	v_mul_lo_u32 v6, s22, v5
	v_add_nc_u32_e32 v17, 24, v5
	s_cselect_b32 s13, -1, 0
	v_mul_lo_u32 v8, s22, v30
	v_add_nc_u32_e32 v3, v2, v3
	v_mul_lo_u32 v18, s18, v30
	v_mul_lo_u32 v16, s18, v17
	;; [unrolled: 1-line block ×3, first 2 shown]
	v_add_nc_u32_e32 v10, s8, v6
	v_lshrrev_b32_e32 v3, s29, v3
	v_lshlrev_b32_e32 v32, 2, v29
	v_ashrrev_i32_e32 v9, 31, v8
	v_ashrrev_i32_e32 v7, 31, v6
	v_add_nc_u32_e32 v12, s8, v10
	v_mul_lo_u32 v3, v3, s30
	v_ashrrev_i32_e32 v11, 31, v10
	v_ashrrev_i32_e32 v19, 31, v18
	v_mad_u32_u24 v43, 0x90, v17, v32
	v_add_nc_u32_e32 v14, s8, v12
	s_lshl_b32 s8, s18, 3
	v_ashrrev_i32_e32 v13, 31, v12
	v_subrev_nc_u32_e32 v20, s8, v16
	v_sub_nc_u32_e32 v3, v2, v3
	v_ashrrev_i32_e32 v15, 31, v14
	v_ashrrev_i32_e32 v17, 31, v16
	;; [unrolled: 1-line block ×3, first 2 shown]
	v_subrev_nc_u32_e32 v49, s8, v20
	v_ashrrev_i32_e32 v21, 31, v20
	v_mad_u32_u24 v37, 0xa0, v5, v32
	s_movk_i32 s9, 0x80
	v_mad_u64_u32 v[3:4], null, v3, s19, v[0:1]
	v_ashrrev_i32_e32 v50, 31, v49
	v_mad_u32_u24 v41, 0xa0, v30, s9
	s_movk_i32 s9, 0x90
	v_mad_u32_u24 v47, 0x90, v5, v32
	v_lshlrev_b64 v[4:5], 2, v[8:9]
	v_lshlrev_b64 v[6:7], 2, v[6:7]
	;; [unrolled: 1-line block ×10, first 2 shown]
	v_cmp_gt_u32_e64 s7, 32, v30
	v_mov_b32_e32 v27, 0
	v_add_nc_u32_e32 v38, 0x500, v37
	v_add_nc_u32_e32 v39, 0xa00, v37
	;; [unrolled: 1-line block ×3, first 2 shown]
	v_lshl_add_u32 v42, v0, 1, v26
	v_mad_u32_u24 v44, v30, s9, 0x80
	v_add_nc_u32_e32 v45, 0xfffffb80, v43
	v_add_nc_u32_e32 v46, 0xfffff700, v43
	v_mov_b32_e32 v52, 0xfeffffff
	v_lshlrev_b32_e32 v48, 2, v29
	v_mbcnt_lo_u32_b32 v49, -1, 0
	v_mov_b32_e32 v50, 0x10001
	v_mov_b32_e32 v29, 0
	;; [unrolled: 1-line block ×3, first 2 shown]
	s_add_u32 s8, s4, 0xd0
	s_addc_u32 s9, s5, 0
.LBB68_10:                              ; =>This Inner Loop Header: Depth=1
	s_mul_hi_i32 s37, s16, s22
	s_mul_i32 s36, s16, s22
	s_lshl_b64 s[36:37], s[36:37], 2
	s_add_u32 s17, s10, s36
	s_addc_u32 s23, s12, s37
	s_and_saveexec_b32 s35, s7
	s_cbranch_execz .LBB68_12
; %bb.11:                               ;   in Loop: Header=BB68_10 Depth=1
	v_add_co_u32 v53, vcc_lo, s17, v4
	v_add_co_ci_u32_e64 v54, null, s23, v5, vcc_lo
	global_load_dwordx4 v[53:56], v[53:54], off offset:128
	s_waitcnt vmcnt(0)
	ds_write_b128 v41, v[53:56]
.LBB68_12:                              ;   in Loop: Header=BB68_10 Depth=1
	s_or_b32 exec_lo, exec_lo, s35
	v_add_co_u32 v32, vcc_lo, s17, v6
	v_add_co_ci_u32_e64 v34, null, s23, v7, vcc_lo
	v_add_co_u32 v55, vcc_lo, s17, v8
	v_add_co_ci_u32_e64 v56, null, s23, v9, vcc_lo
	;; [unrolled: 2-line block ×8, first 2 shown]
	s_clause 0x3
	global_load_dwordx4 v[53:56], v[53:54], off
	global_load_dwordx4 v[57:60], v[57:58], off
	;; [unrolled: 1-line block ×4, first 2 shown]
	v_mov_b32_e32 v32, 0
	s_andn2_b32 vcc_lo, exec_lo, s13
	s_waitcnt vmcnt(3)
	ds_write_b128 v37, v[53:56]
	s_waitcnt vmcnt(2)
	ds_write_b128 v38, v[57:60]
	;; [unrolled: 2-line block ×4, first 2 shown]
	s_waitcnt lgkmcnt(0)
	s_barrier
	buffer_gl0_inv
	ds_read_b128 v[53:56], v33
	ds_read_b128 v[57:60], v31
	s_waitcnt lgkmcnt(0)
	;;#ASMSTART
	v_dot2_f32_f16 v32, v53, v57, v32
	;;#ASMEND
	;;#ASMSTART
	v_dot2_f32_f16 v32, v54, v58, v32
	;;#ASMEND
	;;#ASMSTART
	v_dot2_f32_f16 v32, v55, v59, v32
	;;#ASMEND
	;;#ASMSTART
	v_dot2_f32_f16 v32, v56, v60, v32
	;;#ASMEND
	ds_read_b128 v[53:56], v33 offset:16
	ds_read_b128 v[57:60], v31 offset:16
	s_waitcnt lgkmcnt(0)
	;;#ASMSTART
	v_dot2_f32_f16 v32, v53, v57, v32
	;;#ASMEND
	;;#ASMSTART
	v_dot2_f32_f16 v32, v54, v58, v32
	;;#ASMEND
	;;#ASMSTART
	v_dot2_f32_f16 v32, v55, v59, v32
	;;#ASMEND
	;;#ASMSTART
	v_dot2_f32_f16 v32, v56, v60, v32
	;;#ASMEND
	ds_read_b128 v[53:56], v33 offset:32
	ds_read_b128 v[57:60], v31 offset:32
	;; [unrolled: 15-line block ×8, first 2 shown]
	s_waitcnt lgkmcnt(0)
	;;#ASMSTART
	v_dot2_f32_f16 v32, v53, v57, v32
	;;#ASMEND
	;;#ASMSTART
	v_dot2_f32_f16 v32, v54, v58, v32
	;;#ASMEND
	;; [unrolled: 3-line block ×4, first 2 shown]
	s_cbranch_vccnz .LBB68_14
; %bb.13:                               ;   in Loop: Header=BB68_10 Depth=1
	v_add_nc_u32_e32 v53, s16, v3
	v_ashrrev_i32_e32 v54, 31, v53
	v_lshlrev_b64 v[53:54], 1, v[53:54]
	v_add_co_u32 v53, vcc_lo, s42, v53
	v_add_co_ci_u32_e64 v54, null, s43, v54, vcc_lo
	global_load_ushort v34, v[53:54], off
	s_waitcnt vmcnt(0)
	v_cvt_f32_f16_e32 v34, v34
	v_mul_f32_e32 v34, v28, v34
	s_branch .LBB68_15
.LBB68_14:                              ;   in Loop: Header=BB68_10 Depth=1
	v_mov_b32_e32 v34, 0
.LBB68_15:                              ;   in Loop: Header=BB68_10 Depth=1
	v_xor_b32_e32 v53, 16, v49
	v_add_f32_e32 v32, v32, v34
	v_max_f32_e32 v34, v52, v52
	s_mul_hi_i32 s37, s16, s18
	s_mul_i32 s36, s16, s18
	v_cmp_gt_i32_e32 vcc_lo, 32, v53
	v_add_f32_e32 v54, 0x40051340, v32
	s_lshl_b64 s[36:37], s[36:37], 2
	s_add_u32 s17, s14, s36
	v_cndmask_b32_e32 v53, v49, v53, vcc_lo
	v_max_f32_e32 v34, v34, v54
	v_xor_b32_e32 v54, 8, v49
	s_addc_u32 s23, s15, s37
	s_barrier
	v_lshlrev_b32_e32 v53, 2, v53
	buffer_gl0_inv
	v_cmp_gt_i32_e32 vcc_lo, 32, v54
	ds_bpermute_b32 v53, v53, v34
	v_cndmask_b32_e32 v54, v49, v54, vcc_lo
	v_lshlrev_b32_e32 v54, 2, v54
	s_waitcnt lgkmcnt(0)
	v_max_f32_e32 v53, v53, v53
	v_max_f32_e32 v34, v34, v53
	ds_bpermute_b32 v53, v54, v34
	v_xor_b32_e32 v54, 4, v49
	v_cmp_gt_i32_e32 vcc_lo, 32, v54
	v_cndmask_b32_e32 v54, v49, v54, vcc_lo
	v_lshlrev_b32_e32 v54, 2, v54
	s_waitcnt lgkmcnt(0)
	v_max_f32_e32 v53, v53, v53
	v_max_f32_e32 v34, v34, v53
	ds_bpermute_b32 v53, v54, v34
	v_xor_b32_e32 v54, 2, v49
	v_cmp_gt_i32_e32 vcc_lo, 32, v54
	;; [unrolled: 8-line block ×3, first 2 shown]
	v_cndmask_b32_e32 v54, v49, v54, vcc_lo
	v_lshlrev_b32_e32 v54, 2, v54
	s_waitcnt lgkmcnt(0)
	v_max_f32_e32 v53, v53, v53
	v_max_f32_e32 v34, v34, v53
	ds_bpermute_b32 v53, v54, v34
	s_waitcnt lgkmcnt(0)
	v_max_f32_e32 v53, v53, v53
	v_max_f32_e32 v34, v34, v53
	v_sub_f32_e32 v32, v32, v34
	v_mul_f32_e32 v53, 0x3fb8aa3b, v32
	v_cmp_ngt_f32_e32 vcc_lo, 0xc2ce8ed0, v32
	v_fma_f32 v54, 0x3fb8aa3b, v32, -v53
	v_rndne_f32_e32 v55, v53
	v_fmac_f32_e32 v54, 0x32a5705f, v32
	v_sub_f32_e32 v53, v53, v55
	v_add_f32_e32 v53, v53, v54
	v_cvt_i32_f32_e32 v54, v55
	v_exp_f32_e32 v53, v53
	v_ldexp_f32 v53, v53, v54
	v_cndmask_b32_e32 v53, 0, v53, vcc_lo
	v_cmp_nlt_f32_e32 vcc_lo, 0x42b17218, v32
	v_cndmask_b32_e32 v32, 0x7f800000, v53, vcc_lo
	v_cvt_f16_f32_e32 v53, v32
	ds_write_b16 v42, v53
	s_and_saveexec_b32 s35, s7
	s_cbranch_execz .LBB68_17
; %bb.16:                               ;   in Loop: Header=BB68_10 Depth=1
	v_add_co_u32 v53, vcc_lo, s17, v14
	v_add_co_ci_u32_e64 v54, null, s23, v15, vcc_lo
	global_load_dwordx4 v[53:56], v[53:54], off offset:128
	s_waitcnt vmcnt(0)
	ds_write_b128 v44, v[53:56]
.LBB68_17:                              ;   in Loop: Header=BB68_10 Depth=1
	s_or_b32 exec_lo, exec_lo, s35
	v_add_co_u32 v53, vcc_lo, s17, v18
	v_add_co_ci_u32_e64 v54, null, s23, v19, vcc_lo
	v_add_co_u32 v55, vcc_lo, s17, v16
	v_add_co_ci_u32_e64 v56, null, s23, v17, vcc_lo
	v_add_co_u32 v61, vcc_lo, v53, v48
	v_add_co_ci_u32_e64 v62, null, 0, v54, vcc_lo
	v_add_co_u32 v53, vcc_lo, s17, v20
	v_add_co_ci_u32_e64 v54, null, s23, v21, vcc_lo
	v_add_co_u32 v59, vcc_lo, s17, v22
	v_add_co_ci_u32_e64 v60, null, s23, v23, vcc_lo
	v_add_co_u32 v57, vcc_lo, v53, v48
	v_add_co_ci_u32_e64 v58, null, 0, v54, vcc_lo
	v_add_co_u32 v53, vcc_lo, v59, v48
	v_add_co_ci_u32_e64 v54, null, 0, v60, vcc_lo
	v_add_co_u32 v65, vcc_lo, v55, v48
	v_add_co_ci_u32_e64 v66, null, 0, v56, vcc_lo
	s_clause 0x3
	global_load_dwordx4 v[53:56], v[53:54], off
	global_load_dwordx4 v[57:60], v[57:58], off
	;; [unrolled: 1-line block ×4, first 2 shown]
	v_sub_f32_e32 v69, v52, v34
	s_waitcnt vmcnt(3)
	ds_write_b128 v47, v[53:56]
	s_waitcnt vmcnt(2)
	ds_write_b128 v46, v[57:60]
	;; [unrolled: 2-line block ×4, first 2 shown]
	v_mul_f32_e32 v52, 0x3fb8aa3b, v69
	s_waitcnt lgkmcnt(0)
	s_barrier
	buffer_gl0_inv
	ds_read2_b64 v[56:59], v24 offset1:18
	v_fma_f32 v70, 0x3fb8aa3b, v69, -v52
	v_rndne_f32_e32 v71, v52
	v_cmp_ngt_f32_e32 vcc_lo, 0xc2ce8ed0, v69
	v_fmac_f32_e32 v70, 0x32a5705f, v69
	v_sub_f32_e32 v52, v52, v71
	v_add_f32_e32 v52, v52, v70
	v_cvt_i32_f32_e32 v70, v71
	v_exp_f32_e32 v71, v52
	ds_read_b128 v[52:55], v26
	v_ldexp_f32 v60, v71, v70
	v_cndmask_b32_e32 v60, 0, v60, vcc_lo
	v_cmp_nlt_f32_e32 vcc_lo, 0x42b17218, v69
	v_cndmask_b32_e32 v72, 0x7f800000, v60, vcc_lo
	ds_read_b128 v[60:63], v26 offset:16
	ds_read2_b64 v[64:67], v24 offset0:36 offset1:54
	s_waitcnt lgkmcnt(2)
	v_mul_u32_u24_sdwa v69, v52, v50 dst_sel:DWORD dst_unused:UNUSED_PAD src0_sel:WORD_0 src1_sel:DWORD
	v_mul_u32_u24_sdwa v52, v52, v50 dst_sel:DWORD dst_unused:UNUSED_PAD src0_sel:WORD_1 src1_sel:DWORD
	v_cvt_f16_f32_e32 v68, v72
	v_fmac_f32_e32 v32, v51, v72
	v_pk_mul_f16 v56, v56, v69
	v_pk_mul_f16 v57, v57, v69
	v_mul_u32_u24_sdwa v73, v68, v50 dst_sel:DWORD dst_unused:UNUSED_PAD src0_sel:WORD_0 src1_sel:DWORD
	ds_read2_b64 v[68:71], v24 offset0:72 offset1:90
	v_pk_fma_f16 v27, v27, v73, v56
	v_pk_fma_f16 v29, v29, v73, v57
	v_mul_u32_u24_sdwa v73, v53, v50 dst_sel:DWORD dst_unused:UNUSED_PAD src0_sel:WORD_0 src1_sel:DWORD
	v_pk_fma_f16 v27, v58, v52, v27
	v_pk_fma_f16 v29, v59, v52, v29
	ds_read2_b64 v[56:59], v24 offset0:108 offset1:126
	v_mul_u32_u24_sdwa v52, v53, v50 dst_sel:DWORD dst_unused:UNUSED_PAD src0_sel:WORD_1 src1_sel:DWORD
	v_mul_u32_u24_sdwa v53, v54, v50 dst_sel:DWORD dst_unused:UNUSED_PAD src0_sel:WORD_0 src1_sel:DWORD
	s_waitcnt lgkmcnt(2)
	v_pk_fma_f16 v27, v64, v73, v27
	v_pk_fma_f16 v29, v65, v73, v29
	v_add_nc_u32_e32 v73, 0x800, v24
	v_mul_u32_u24_sdwa v74, v63, v50 dst_sel:DWORD dst_unused:UNUSED_PAD src0_sel:WORD_1 src1_sel:DWORD
	v_pk_fma_f16 v27, v66, v52, v27
	v_pk_fma_f16 v29, v67, v52, v29
	ds_read2_b64 v[64:67], v24 offset0:144 offset1:162
	v_mul_u32_u24_sdwa v52, v54, v50 dst_sel:DWORD dst_unused:UNUSED_PAD src0_sel:WORD_1 src1_sel:DWORD
	s_waitcnt lgkmcnt(2)
	v_pk_fma_f16 v27, v68, v53, v27
	v_pk_fma_f16 v29, v69, v53, v29
	v_mul_u32_u24_sdwa v53, v55, v50 dst_sel:DWORD dst_unused:UNUSED_PAD src0_sel:WORD_0 src1_sel:DWORD
	v_pk_fma_f16 v27, v70, v52, v27
	v_pk_fma_f16 v29, v71, v52, v29
	ds_read2_b64 v[68:71], v24 offset0:180 offset1:198
	v_mul_u32_u24_sdwa v52, v55, v50 dst_sel:DWORD dst_unused:UNUSED_PAD src0_sel:WORD_1 src1_sel:DWORD
	s_waitcnt lgkmcnt(2)
	v_pk_fma_f16 v27, v56, v53, v27
	v_pk_fma_f16 v29, v57, v53, v29
	v_mul_u32_u24_sdwa v56, v60, v50 dst_sel:DWORD dst_unused:UNUSED_PAD src0_sel:WORD_0 src1_sel:DWORD
	v_mul_u32_u24_sdwa v57, v60, v50 dst_sel:DWORD dst_unused:UNUSED_PAD src0_sel:WORD_1 src1_sel:DWORD
	v_mul_u32_u24_sdwa v60, v61, v50 dst_sel:DWORD dst_unused:UNUSED_PAD src0_sel:WORD_0 src1_sel:DWORD
	v_pk_fma_f16 v27, v58, v52, v27
	v_pk_fma_f16 v29, v59, v52, v29
	ds_read2_b64 v[52:55], v24 offset0:216 offset1:234
	v_mul_u32_u24_sdwa v61, v61, v50 dst_sel:DWORD dst_unused:UNUSED_PAD src0_sel:WORD_1 src1_sel:DWORD
	s_waitcnt lgkmcnt(2)
	v_pk_fma_f16 v27, v64, v56, v27
	v_pk_fma_f16 v29, v65, v56, v29
	v_add_nc_u32_e32 v56, 0x400, v24
	v_pk_fma_f16 v27, v66, v57, v27
	v_pk_fma_f16 v29, v67, v57, v29
	ds_read2_b64 v[56:59], v56 offset0:124 offset1:142
	ds_read_b128 v[64:67], v26 offset:32
	s_waitcnt lgkmcnt(3)
	v_pk_fma_f16 v27, v68, v60, v27
	v_pk_fma_f16 v29, v69, v60, v29
	v_mul_u32_u24_sdwa v60, v62, v50 dst_sel:DWORD dst_unused:UNUSED_PAD src0_sel:WORD_0 src1_sel:DWORD
	v_pk_fma_f16 v27, v70, v61, v27
	v_pk_fma_f16 v29, v71, v61, v29
	ds_read2_b64 v[68:71], v73 offset0:32 offset1:50
	v_mul_u32_u24_sdwa v61, v62, v50 dst_sel:DWORD dst_unused:UNUSED_PAD src0_sel:WORD_1 src1_sel:DWORD
	s_waitcnt lgkmcnt(3)
	v_pk_fma_f16 v27, v52, v60, v27
	v_pk_fma_f16 v29, v53, v60, v29
	v_mul_u32_u24_sdwa v60, v63, v50 dst_sel:DWORD dst_unused:UNUSED_PAD src0_sel:WORD_0 src1_sel:DWORD
	v_pk_fma_f16 v27, v54, v61, v27
	v_pk_fma_f16 v29, v55, v61, v29
	ds_read2_b64 v[52:55], v73 offset0:68 offset1:86
	s_waitcnt lgkmcnt(3)
	v_pk_fma_f16 v27, v56, v60, v27
	v_pk_fma_f16 v29, v57, v60, v29
	ds_read_b128 v[60:63], v26 offset:48
	s_waitcnt lgkmcnt(3)
	v_mul_u32_u24_sdwa v75, v64, v50 dst_sel:DWORD dst_unused:UNUSED_PAD src0_sel:WORD_0 src1_sel:DWORD
	v_mul_u32_u24_sdwa v64, v64, v50 dst_sel:DWORD dst_unused:UNUSED_PAD src0_sel:WORD_1 src1_sel:DWORD
	v_pk_fma_f16 v27, v58, v74, v27
	v_pk_fma_f16 v29, v59, v74, v29
	ds_read2_b64 v[56:59], v73 offset0:104 offset1:122
	v_mul_u32_u24_sdwa v74, v65, v50 dst_sel:DWORD dst_unused:UNUSED_PAD src0_sel:WORD_0 src1_sel:DWORD
	s_waitcnt lgkmcnt(3)
	v_pk_fma_f16 v27, v68, v75, v27
	v_pk_fma_f16 v29, v69, v75, v29
	;; [unrolled: 1-line block ×4, first 2 shown]
	ds_read2_b64 v[68:71], v73 offset0:140 offset1:158
	v_mul_u32_u24_sdwa v64, v65, v50 dst_sel:DWORD dst_unused:UNUSED_PAD src0_sel:WORD_1 src1_sel:DWORD
	v_mul_u32_u24_sdwa v65, v66, v50 dst_sel:DWORD dst_unused:UNUSED_PAD src0_sel:WORD_0 src1_sel:DWORD
	s_waitcnt lgkmcnt(3)
	v_pk_fma_f16 v27, v52, v74, v27
	v_pk_fma_f16 v29, v53, v74, v29
	;; [unrolled: 1-line block ×4, first 2 shown]
	ds_read2_b64 v[52:55], v73 offset0:176 offset1:194
	v_mul_u32_u24_sdwa v64, v66, v50 dst_sel:DWORD dst_unused:UNUSED_PAD src0_sel:WORD_1 src1_sel:DWORD
	s_waitcnt lgkmcnt(2)
	v_pk_fma_f16 v27, v56, v65, v27
	v_pk_fma_f16 v29, v57, v65, v29
	v_mul_u32_u24_sdwa v65, v67, v50 dst_sel:DWORD dst_unused:UNUSED_PAD src0_sel:WORD_0 src1_sel:DWORD
	v_pk_fma_f16 v27, v58, v64, v27
	v_pk_fma_f16 v29, v59, v64, v29
	ds_read2_b64 v[56:59], v73 offset0:212 offset1:230
	v_mul_u32_u24_sdwa v64, v67, v50 dst_sel:DWORD dst_unused:UNUSED_PAD src0_sel:WORD_1 src1_sel:DWORD
	s_waitcnt lgkmcnt(2)
	v_pk_fma_f16 v27, v68, v65, v27
	v_pk_fma_f16 v29, v69, v65, v29
	v_add_nc_u32_e32 v65, 0xc00, v24
	v_mul_u32_u24_sdwa v68, v60, v50 dst_sel:DWORD dst_unused:UNUSED_PAD src0_sel:WORD_0 src1_sel:DWORD
	v_mul_u32_u24_sdwa v60, v60, v50 dst_sel:DWORD dst_unused:UNUSED_PAD src0_sel:WORD_1 src1_sel:DWORD
	v_pk_fma_f16 v27, v70, v64, v27
	v_pk_fma_f16 v29, v71, v64, v29
	ds_read2_b64 v[64:67], v65 offset0:120 offset1:138
	v_add_nc_u32_e32 v69, 0x1000, v24
	s_waitcnt lgkmcnt(2)
	v_pk_fma_f16 v27, v52, v68, v27
	v_pk_fma_f16 v29, v53, v68, v29
	v_mul_u32_u24_sdwa v52, v61, v50 dst_sel:DWORD dst_unused:UNUSED_PAD src0_sel:WORD_0 src1_sel:DWORD
	ds_read2_b64 v[68:71], v69 offset0:28 offset1:46
	v_mul_u32_u24_sdwa v53, v61, v50 dst_sel:DWORD dst_unused:UNUSED_PAD src0_sel:WORD_1 src1_sel:DWORD
	v_pk_fma_f16 v27, v54, v60, v27
	v_pk_fma_f16 v29, v55, v60, v29
	s_waitcnt lgkmcnt(0)
	s_barrier
	buffer_gl0_inv
	v_pk_fma_f16 v27, v56, v52, v27
	v_pk_fma_f16 v29, v57, v52, v29
	s_load_dword s17, s[8:9], 0x4
	v_mul_u32_u24_sdwa v52, v62, v50 dst_sel:DWORD dst_unused:UNUSED_PAD src0_sel:WORD_0 src1_sel:DWORD
	v_pk_fma_f16 v27, v58, v53, v27
	v_pk_fma_f16 v29, v59, v53, v29
	v_mul_u32_u24_sdwa v53, v62, v50 dst_sel:DWORD dst_unused:UNUSED_PAD src0_sel:WORD_1 src1_sel:DWORD
	v_pk_fma_f16 v27, v64, v52, v27
	v_pk_fma_f16 v29, v65, v52, v29
	v_mul_u32_u24_sdwa v52, v63, v50 dst_sel:DWORD dst_unused:UNUSED_PAD src0_sel:WORD_0 src1_sel:DWORD
	v_pk_fma_f16 v27, v66, v53, v27
	v_pk_fma_f16 v29, v67, v53, v29
	v_mul_u32_u24_sdwa v53, v63, v50 dst_sel:DWORD dst_unused:UNUSED_PAD src0_sel:WORD_1 src1_sel:DWORD
	v_pk_fma_f16 v27, v68, v52, v27
	v_pk_fma_f16 v29, v69, v52, v29
	s_waitcnt lgkmcnt(0)
	s_lshl_b32 s17, s17, 5
	s_add_i32 s16, s17, s16
	v_pk_fma_f16 v27, v70, v53, v27
	v_pk_fma_f16 v29, v71, v53, v29
	s_cmp_lt_i32 s16, s11
	s_cbranch_scc0 .LBB68_20
; %bb.18:                               ;   in Loop: Header=BB68_10 Depth=1
	v_mov_b32_e32 v52, v34
	v_mov_b32_e32 v51, v32
	s_branch .LBB68_10
.LBB68_19:
	v_mov_b32_e32 v29, 0
	v_mov_b32_e32 v32, 0
	;; [unrolled: 1-line block ×4, first 2 shown]
.LBB68_20:
	s_cmp_gt_i32 s44, s16
	s_cbranch_scc1 .LBB68_23
; %bb.21:
	v_mbcnt_lo_u32_b32 v10, -1, 0
	v_mov_b32_e32 v9, 32
	v_xor_b32_e32 v4, 16, v10
	v_xor_b32_e32 v5, 8, v10
	;; [unrolled: 1-line block ×5, first 2 shown]
	s_cbranch_execz .LBB68_24
; %bb.22:
	v_mov_b32_e32 v3, v34
	v_mov_b32_e32 v25, v10
	s_branch .LBB68_33
.LBB68_23:
                                        ; implicit-def: $vgpr10
                                        ; implicit-def: $vgpr9
                                        ; implicit-def: $vgpr4
                                        ; implicit-def: $vgpr5
                                        ; implicit-def: $vgpr6
                                        ; implicit-def: $vgpr7
                                        ; implicit-def: $vgpr8
.LBB68_24:
	s_mul_hi_i32 s9, s16, s22
	s_mul_i32 s8, s16, s22
	v_cmp_gt_u32_e64 s11, 32, v30
	s_lshl_b64 s[8:9], s[8:9], 2
	s_sub_i32 s17, s44, s16
	s_add_u32 s10, s10, s8
	s_addc_u32 s23, s12, s9
	v_cmp_gt_i32_e32 vcc_lo, s17, v30
	s_and_saveexec_b32 s8, s11
	s_cbranch_execz .LBB68_26
; %bb.25:
	v_mul_lo_u32 v3, s22, v30
	s_mov_b64 s[12:13], src_private_base
	v_mov_b32_e32 v5, 0
	v_mul_u32_u24_e32 v7, 0xa0, v30
	buffer_store_dword v5, off, s[0:3], 0
	buffer_store_dword v5, off, s[0:3], 0 offset:4
	buffer_store_dword v5, off, s[0:3], 0 offset:8
	;; [unrolled: 1-line block ×3, first 2 shown]
	v_ashrrev_i32_e32 v4, 31, v3
	v_lshlrev_b64 v[3:4], 2, v[3:4]
	v_add_co_u32 v3, s7, s10, v3
	v_add_co_ci_u32_e64 v4, null, s23, v4, s7
	v_add_co_u32 v3, s7, 0x80, v3
	v_add_co_ci_u32_e64 v4, null, 0, v4, s7
	v_cndmask_b32_e32 v3, 0, v3, vcc_lo
	v_cndmask_b32_e32 v4, s13, v4, vcc_lo
	flat_load_dwordx4 v[3:6], v[3:4]
	s_waitcnt vmcnt(0) lgkmcnt(0)
	ds_write_b128 v7, v[3:6] offset:128
.LBB68_26:
	s_or_b32 exec_lo, exec_lo, s8
	v_lshl_add_u32 v10, v1, 2, v36
	v_and_b32_e32 v1, 28, v35
	s_mov_b64 s[12:13], src_private_base
	s_lshl_b32 s12, s22, 3
	v_mul_lo_u32 v8, s22, v10
	v_lshlrev_b32_e32 v1, 2, v1
	v_mad_u32_u24 v13, 0xa0, v10, v1
	v_ashrrev_i32_e32 v9, 31, v8
	v_lshlrev_b64 v[3:4], 2, v[8:9]
	v_add_nc_u32_e32 v8, s12, v8
	v_ashrrev_i32_e32 v9, 31, v8
	v_add_co_u32 v3, s7, s10, v3
	v_add_co_ci_u32_e64 v4, null, s23, v4, s7
	v_lshlrev_b64 v[11:12], 2, v[8:9]
	v_add_co_u32 v6, s7, v3, v1
	v_add_co_ci_u32_e64 v4, null, 0, v4, s7
	v_cmp_gt_i32_e64 s7, s17, v10
	v_mov_b32_e32 v3, 0
	buffer_store_dword v3, off, s[0:3], 0
	buffer_store_dword v3, off, s[0:3], 0 offset:4
	buffer_store_dword v3, off, s[0:3], 0 offset:8
	;; [unrolled: 1-line block ×3, first 2 shown]
	v_cndmask_b32_e64 v5, s13, v4, s7
	v_cndmask_b32_e64 v4, 0, v6, s7
	v_add_co_u32 v9, s8, s10, v11
	v_add_co_ci_u32_e64 v11, null, s23, v12, s8
	flat_load_dwordx4 v[4:7], v[4:5]
	v_add_nc_u32_e32 v12, 8, v10
	v_add_co_u32 v9, s8, v9, v1
	v_add_co_ci_u32_e64 v11, null, 0, v11, s8
	v_cmp_gt_i32_e64 s8, s17, v12
	buffer_store_dword v3, off, s[0:3], 0
	buffer_store_dword v3, off, s[0:3], 0 offset:4
	buffer_store_dword v3, off, s[0:3], 0 offset:8
	;; [unrolled: 1-line block ×3, first 2 shown]
	v_add_nc_u32_e32 v8, s12, v8
	v_cndmask_b32_e64 v12, s13, v11, s8
	v_cndmask_b32_e64 v11, 0, v9, s8
	v_ashrrev_i32_e32 v9, 31, v8
	s_waitcnt vmcnt(0) lgkmcnt(0)
	ds_write_b128 v13, v[4:7]
	flat_load_dwordx4 v[4:7], v[11:12]
	v_lshlrev_b64 v[11:12], 2, v[8:9]
	buffer_store_dword v3, off, s[0:3], 0
	buffer_store_dword v3, off, s[0:3], 0 offset:4
	buffer_store_dword v3, off, s[0:3], 0 offset:8
	;; [unrolled: 1-line block ×3, first 2 shown]
	v_add_nc_u32_e32 v8, s12, v8
	v_add_co_u32 v9, s9, s10, v11
	v_add_co_ci_u32_e64 v11, null, s23, v12, s9
	v_add_nc_u32_e32 v12, 16, v10
	v_add_co_u32 v9, s9, v9, v1
	v_add_co_ci_u32_e64 v11, null, 0, v11, s9
	v_cmp_gt_i32_e64 s9, s17, v12
	v_cndmask_b32_e64 v12, s13, v11, s9
	v_cndmask_b32_e64 v11, 0, v9, s9
	v_ashrrev_i32_e32 v9, 31, v8
	v_lshlrev_b64 v[8:9], 2, v[8:9]
	v_add_co_u32 v8, s10, s10, v8
	v_add_co_ci_u32_e64 v9, null, s23, v9, s10
	v_add_co_u32 v8, s10, v8, v1
	v_add_co_ci_u32_e64 v9, null, 0, v9, s10
	s_waitcnt vmcnt(0) lgkmcnt(0)
	ds_write_b128 v13, v[4:7] offset:1280
	flat_load_dwordx4 v[4:7], v[11:12]
	v_add_nc_u32_e32 v12, 24, v10
	buffer_store_dword v3, off, s[0:3], 0
	buffer_store_dword v3, off, s[0:3], 0 offset:4
	buffer_store_dword v3, off, s[0:3], 0 offset:8
	;; [unrolled: 1-line block ×3, first 2 shown]
	v_cmp_gt_i32_e64 s10, s17, v12
	v_cndmask_b32_e64 v9, s13, v9, s10
	v_cndmask_b32_e64 v8, 0, v8, s10
	s_mov_b32 s13, exec_lo
	s_waitcnt vmcnt(0) lgkmcnt(0)
	ds_write_b128 v13, v[4:7] offset:2560
	flat_load_dwordx4 v[4:7], v[8:9]
	v_mov_b32_e32 v9, 0
	s_waitcnt vmcnt(0) lgkmcnt(0)
	ds_write_b128 v13, v[4:7] offset:3840
	s_waitcnt lgkmcnt(0)
	s_waitcnt_vscnt null, 0x0
	s_barrier
	buffer_gl0_inv
	ds_read_b128 v[4:7], v33
	ds_read_b128 v[13:16], v31
	s_waitcnt lgkmcnt(0)
	;;#ASMSTART
	v_dot2_f32_f16 v9, v4, v13, v9
	;;#ASMEND
	;;#ASMSTART
	v_dot2_f32_f16 v9, v5, v14, v9
	;;#ASMEND
	;;#ASMSTART
	v_dot2_f32_f16 v9, v6, v15, v9
	;;#ASMEND
	;;#ASMSTART
	v_dot2_f32_f16 v9, v7, v16, v9
	;;#ASMEND
	ds_read_b128 v[4:7], v33 offset:16
	ds_read_b128 v[13:16], v31 offset:16
	s_waitcnt lgkmcnt(0)
	;;#ASMSTART
	v_dot2_f32_f16 v9, v4, v13, v9
	;;#ASMEND
	;;#ASMSTART
	v_dot2_f32_f16 v9, v5, v14, v9
	;;#ASMEND
	;;#ASMSTART
	v_dot2_f32_f16 v9, v6, v15, v9
	;;#ASMEND
	;;#ASMSTART
	v_dot2_f32_f16 v9, v7, v16, v9
	;;#ASMEND
	ds_read_b128 v[4:7], v33 offset:32
	ds_read_b128 v[13:16], v31 offset:32
	;; [unrolled: 15-line block ×8, first 2 shown]
	v_mov_b32_e32 v6, v34
	s_waitcnt lgkmcnt(0)
	;;#ASMSTART
	v_dot2_f32_f16 v9, v13, v17, v9
	;;#ASMEND
	;;#ASMSTART
	v_dot2_f32_f16 v9, v14, v18, v9
	;;#ASMEND
	;; [unrolled: 3-line block ×4, first 2 shown]
	v_cmpx_gt_i32_e64 s17, v0
	s_cbranch_execz .LBB68_30
; %bb.27:
	s_cmp_eq_u64 s[42:43], 0
	s_cbranch_scc1 .LBB68_29
; %bb.28:
	v_mul_hi_u32 v3, s28, v2
	v_add_nc_u32_e32 v3, v2, v3
	v_lshrrev_b32_e32 v3, s29, v3
	v_mul_lo_u32 v3, v3, s30
	v_sub_nc_u32_e32 v3, v2, v3
	v_mul_lo_u32 v3, v3, s19
	v_add3_u32 v3, v3, v0, s16
	v_ashrrev_i32_e32 v4, 31, v3
	v_lshlrev_b64 v[3:4], 1, v[3:4]
	v_add_co_u32 v3, s12, s42, v3
	v_add_co_ci_u32_e64 v4, null, s43, v4, s12
	global_load_ushort v3, v[3:4], off
	s_waitcnt vmcnt(0)
	v_cvt_f32_f16_e32 v3, v3
	v_mul_f32_e32 v3, v28, v3
.LBB68_29:
	v_add_f32_e32 v9, v9, v3
	v_max_f32_e32 v4, v34, v34
	v_add_f32_e32 v3, 0x40051340, v9
	v_max_f32_e32 v6, v4, v3
.LBB68_30:
	s_or_b32 exec_lo, exec_lo, s13
	v_xor_b32_e32 v4, 16, v25
	v_xor_b32_e32 v5, 8, v25
	s_mul_hi_i32 s13, s16, s18
	s_barrier
	v_cmp_gt_i32_e64 s12, 32, v4
	buffer_gl0_inv
	v_cndmask_b32_e64 v3, v25, v4, s12
	v_cmp_gt_i32_e64 s12, 32, v5
	v_lshlrev_b32_e32 v3, 2, v3
	v_cndmask_b32_e64 v7, v25, v5, s12
	ds_bpermute_b32 v3, v3, v6
	v_max_f32_e32 v6, v6, v6
	v_lshlrev_b32_e32 v7, 2, v7
	s_waitcnt lgkmcnt(0)
	v_max_f32_e32 v3, v3, v3
	v_max_f32_e32 v3, v6, v3
	v_xor_b32_e32 v6, 4, v25
	ds_bpermute_b32 v7, v7, v3
	v_cmp_gt_i32_e64 s12, 32, v6
	v_cndmask_b32_e64 v8, v25, v6, s12
	v_lshlrev_b32_e32 v8, 2, v8
	s_waitcnt lgkmcnt(0)
	v_max_f32_e32 v7, v7, v7
	v_max_f32_e32 v3, v3, v7
	v_xor_b32_e32 v7, 2, v25
	ds_bpermute_b32 v8, v8, v3
	v_cmp_gt_i32_e64 s12, 32, v7
	v_cndmask_b32_e64 v11, v25, v7, s12
	;; [unrolled: 8-line block ×3, first 2 shown]
	v_lshlrev_b32_e32 v13, 2, v13
	s_waitcnt lgkmcnt(0)
	v_max_f32_e32 v11, v11, v11
	v_max_f32_e32 v3, v3, v11
	ds_bpermute_b32 v11, v13, v3
	s_waitcnt lgkmcnt(0)
	v_max_f32_e32 v11, v11, v11
	v_max_f32_e32 v3, v3, v11
	v_sub_f32_e32 v9, v9, v3
	v_mul_f32_e32 v11, 0x3fb8aa3b, v9
	v_cmp_ngt_f32_e64 s12, 0xc2ce8ed0, v9
	v_fma_f32 v13, 0x3fb8aa3b, v9, -v11
	v_rndne_f32_e32 v14, v11
	v_fmac_f32_e32 v13, 0x32a5705f, v9
	v_sub_f32_e32 v11, v11, v14
	v_add_f32_e32 v11, v11, v13
	v_cvt_i32_f32_e32 v13, v14
	v_lshl_add_u32 v14, v0, 1, v26
	v_exp_f32_e32 v11, v11
	v_ldexp_f32 v11, v11, v13
	v_cndmask_b32_e64 v11, 0, v11, s12
	v_cmp_nlt_f32_e64 s12, 0x42b17218, v9
	v_mov_b32_e32 v9, 32
	v_cndmask_b32_e64 v11, 0x7f800000, v11, s12
	v_cmp_gt_u32_e64 s12, s17, v0
	v_cndmask_b32_e64 v11, 0, v11, s12
	s_mul_i32 s12, s16, s18
	s_lshl_b64 s[12:13], s[12:13], 2
	v_cvt_f16_f32_e32 v13, v11
	s_add_u32 s14, s14, s12
	s_addc_u32 s15, s15, s13
	ds_write_b16 v14, v13
	s_and_saveexec_b32 s12, s11
	s_cbranch_execz .LBB68_32
; %bb.31:
	v_mul_lo_u32 v13, s18, v30
	s_mov_b64 s[16:17], src_private_base
	v_mov_b32_e32 v15, 0
	v_mul_u32_u24_e32 v17, 0x90, v30
	buffer_store_dword v15, off, s[0:3], 0
	buffer_store_dword v15, off, s[0:3], 0 offset:4
	buffer_store_dword v15, off, s[0:3], 0 offset:8
	;; [unrolled: 1-line block ×3, first 2 shown]
	v_ashrrev_i32_e32 v14, 31, v13
	v_lshlrev_b64 v[13:14], 2, v[13:14]
	v_add_co_u32 v13, s11, s14, v13
	v_add_co_ci_u32_e64 v14, null, s15, v14, s11
	v_add_co_u32 v13, s11, 0x80, v13
	v_add_co_ci_u32_e64 v14, null, 0, v14, s11
	v_cndmask_b32_e32 v13, 0, v13, vcc_lo
	v_cndmask_b32_e32 v14, s17, v14, vcc_lo
	flat_load_dwordx4 v[13:16], v[13:14]
	s_waitcnt vmcnt(0) lgkmcnt(0)
	ds_write_b128 v17, v[13:16] offset:128
.LBB68_32:
	s_or_b32 exec_lo, exec_lo, s12
	v_mul_lo_u32 v13, s18, v10
	s_mov_b64 s[12:13], src_private_base
	v_mov_b32_e32 v21, 0
	v_mul_lo_u32 v17, s18, v12
	v_mad_u32_u24 v10, 0x90, v10, v1
	buffer_store_dword v21, off, s[0:3], 0
	buffer_store_dword v21, off, s[0:3], 0 offset:4
	buffer_store_dword v21, off, s[0:3], 0 offset:8
	;; [unrolled: 1-line block ×3, first 2 shown]
	v_ashrrev_i32_e32 v14, 31, v13
	v_lshlrev_b64 v[13:14], 2, v[13:14]
	v_add_co_u32 v13, vcc_lo, s14, v13
	v_add_co_ci_u32_e64 v14, null, s15, v14, vcc_lo
	v_add_co_u32 v13, vcc_lo, v13, v1
	v_add_co_ci_u32_e64 v14, null, 0, v14, vcc_lo
	v_cndmask_b32_e64 v13, 0, v13, s7
	v_cndmask_b32_e64 v14, s13, v14, s7
	s_lshl_b32 s7, s18, 3
	v_subrev_nc_u32_e32 v18, s7, v17
	flat_load_dwordx4 v[13:16], v[13:14]
	buffer_store_dword v21, off, s[0:3], 0
	buffer_store_dword v21, off, s[0:3], 0 offset:4
	buffer_store_dword v21, off, s[0:3], 0 offset:8
	;; [unrolled: 1-line block ×3, first 2 shown]
	v_subrev_nc_u32_e32 v19, s7, v18
	v_ashrrev_i32_e32 v20, 31, v19
	v_lshlrev_b64 v[19:20], 2, v[19:20]
	v_add_co_u32 v19, vcc_lo, s14, v19
	v_add_co_ci_u32_e64 v20, null, s15, v20, vcc_lo
	v_add_co_u32 v19, vcc_lo, v19, v1
	v_add_co_ci_u32_e64 v20, null, 0, v20, vcc_lo
	v_cndmask_b32_e64 v19, 0, v19, s8
	v_cndmask_b32_e64 v20, s13, v20, s8
	s_waitcnt vmcnt(0) lgkmcnt(0)
	ds_write_b128 v10, v[13:16]
	flat_load_dwordx4 v[13:16], v[19:20]
	v_ashrrev_i32_e32 v19, 31, v18
	v_mad_u32_u24 v20, 0x90, v12, v1
	buffer_store_dword v21, off, s[0:3], 0
	buffer_store_dword v21, off, s[0:3], 0 offset:4
	buffer_store_dword v21, off, s[0:3], 0 offset:8
	;; [unrolled: 1-line block ×3, first 2 shown]
	v_lshlrev_b64 v[18:19], 2, v[18:19]
	v_add_nc_u32_e32 v22, 0xfffff700, v20
	v_add_co_u32 v10, vcc_lo, s14, v18
	v_add_co_ci_u32_e64 v18, null, s15, v19, vcc_lo
	v_add_co_u32 v10, vcc_lo, v10, v1
	v_add_co_ci_u32_e64 v12, null, 0, v18, vcc_lo
	v_cndmask_b32_e64 v18, 0, v10, s9
	v_cndmask_b32_e64 v19, s13, v12, s9
	s_waitcnt vmcnt(0) lgkmcnt(0)
	ds_write_b128 v22, v[13:16]
	flat_load_dwordx4 v[12:15], v[18:19]
	v_ashrrev_i32_e32 v18, 31, v17
	buffer_store_dword v21, off, s[0:3], 0
	buffer_store_dword v21, off, s[0:3], 0 offset:4
	buffer_store_dword v21, off, s[0:3], 0 offset:8
	;; [unrolled: 1-line block ×3, first 2 shown]
	v_lshlrev_b64 v[16:17], 2, v[17:18]
	v_add_nc_u32_e32 v18, 0xfffffb80, v20
	v_add_co_u32 v10, vcc_lo, s14, v16
	v_add_co_ci_u32_e64 v16, null, s15, v17, vcc_lo
	v_add_co_u32 v1, vcc_lo, v10, v1
	v_add_co_ci_u32_e64 v10, null, 0, v16, vcc_lo
	v_cndmask_b32_e64 v16, 0, v1, s10
	v_sub_f32_e32 v1, v34, v3
	v_cndmask_b32_e64 v17, s13, v10, s10
	v_mul_f32_e32 v10, 0x3fb8aa3b, v1
	v_cmp_ngt_f32_e32 vcc_lo, 0xc2ce8ed0, v1
	s_waitcnt vmcnt(0) lgkmcnt(0)
	ds_write_b128 v18, v[12:15]
	flat_load_dwordx4 v[12:15], v[16:17]
	v_fma_f32 v16, 0x3fb8aa3b, v1, -v10
	v_rndne_f32_e32 v17, v10
	v_fmac_f32_e32 v16, 0x32a5705f, v1
	v_sub_f32_e32 v10, v10, v17
	v_add_f32_e32 v10, v10, v16
	v_cvt_i32_f32_e32 v16, v17
	v_exp_f32_e32 v10, v10
	v_ldexp_f32 v10, v10, v16
	v_cndmask_b32_e32 v10, 0, v10, vcc_lo
	v_cmp_nlt_f32_e32 vcc_lo, 0x42b17218, v1
	v_cndmask_b32_e32 v1, 0x7f800000, v10, vcc_lo
	v_mov_b32_e32 v10, 0x10001
	v_cvt_f16_f32_e32 v28, v1
	v_fmac_f32_e32 v11, v32, v1
	v_mul_u32_u24_sdwa v28, v28, v10 dst_sel:DWORD dst_unused:UNUSED_PAD src0_sel:WORD_0 src1_sel:DWORD
	v_mov_b32_e32 v32, v11
	s_waitcnt vmcnt(0) lgkmcnt(0)
	ds_write_b128 v20, v[12:15]
	s_waitcnt lgkmcnt(0)
	s_waitcnt_vscnt null, 0x0
	s_barrier
	buffer_gl0_inv
	ds_read_b128 v[12:15], v26
	ds_read2_b64 v[16:19], v24 offset1:18
	ds_read_b128 v[20:23], v26 offset:16
	ds_read2_b64 v[33:36], v24 offset0:36 offset1:54
	ds_read2_b64 v[37:40], v24 offset0:72 offset1:90
	s_waitcnt lgkmcnt(4)
	v_mul_u32_u24_sdwa v30, v12, v10 dst_sel:DWORD dst_unused:UNUSED_PAD src0_sel:WORD_0 src1_sel:DWORD
	v_mul_u32_u24_sdwa v12, v12, v10 dst_sel:DWORD dst_unused:UNUSED_PAD src0_sel:WORD_1 src1_sel:DWORD
	v_mul_u32_u24_sdwa v31, v14, v10 dst_sel:DWORD dst_unused:UNUSED_PAD src0_sel:WORD_0 src1_sel:DWORD
	s_waitcnt lgkmcnt(3)
	v_pk_mul_f16 v16, v16, v30
	v_pk_mul_f16 v17, v17, v30
	v_pk_fma_f16 v16, v27, v28, v16
	v_pk_fma_f16 v17, v29, v28, v17
	v_mul_u32_u24_sdwa v27, v13, v10 dst_sel:DWORD dst_unused:UNUSED_PAD src0_sel:WORD_0 src1_sel:DWORD
	v_mul_u32_u24_sdwa v13, v13, v10 dst_sel:DWORD dst_unused:UNUSED_PAD src0_sel:WORD_1 src1_sel:DWORD
	v_pk_fma_f16 v28, v18, v12, v16
	v_pk_fma_f16 v12, v19, v12, v17
	ds_read2_b64 v[16:19], v24 offset0:108 offset1:126
	s_waitcnt lgkmcnt(2)
	v_pk_fma_f16 v28, v33, v27, v28
	v_pk_fma_f16 v12, v34, v27, v12
	;; [unrolled: 1-line block ×4, first 2 shown]
	ds_read2_b64 v[27:30], v24 offset0:144 offset1:162
	v_mul_u32_u24_sdwa v13, v14, v10 dst_sel:DWORD dst_unused:UNUSED_PAD src0_sel:WORD_1 src1_sel:DWORD
	s_waitcnt lgkmcnt(2)
	v_pk_fma_f16 v14, v37, v31, v33
	v_pk_fma_f16 v12, v38, v31, v12
	v_mul_u32_u24_sdwa v31, v15, v10 dst_sel:DWORD dst_unused:UNUSED_PAD src0_sel:WORD_0 src1_sel:DWORD
	ds_read2_b64 v[33:36], v24 offset0:180 offset1:198
	v_add_nc_u32_e32 v37, 0x800, v24
	v_pk_fma_f16 v14, v39, v13, v14
	v_pk_fma_f16 v12, v40, v13, v12
	v_mul_u32_u24_sdwa v13, v15, v10 dst_sel:DWORD dst_unused:UNUSED_PAD src0_sel:WORD_1 src1_sel:DWORD
	v_mul_u32_u24_sdwa v38, v22, v10 dst_sel:DWORD dst_unused:UNUSED_PAD src0_sel:WORD_0 src1_sel:DWORD
	s_waitcnt lgkmcnt(2)
	v_pk_fma_f16 v14, v16, v31, v14
	v_pk_fma_f16 v12, v17, v31, v12
	v_mul_u32_u24_sdwa v16, v20, v10 dst_sel:DWORD dst_unused:UNUSED_PAD src0_sel:WORD_0 src1_sel:DWORD
	v_pk_fma_f16 v17, v18, v13, v14
	v_pk_fma_f16 v18, v19, v13, v12
	ds_read2_b64 v[12:15], v24 offset0:216 offset1:234
	v_mul_u32_u24_sdwa v19, v20, v10 dst_sel:DWORD dst_unused:UNUSED_PAD src0_sel:WORD_1 src1_sel:DWORD
	v_mul_u32_u24_sdwa v20, v21, v10 dst_sel:DWORD dst_unused:UNUSED_PAD src0_sel:WORD_0 src1_sel:DWORD
	s_waitcnt lgkmcnt(2)
	v_pk_fma_f16 v17, v27, v16, v17
	v_pk_fma_f16 v16, v28, v16, v18
	v_add_nc_u32_e32 v18, 0x400, v24
	v_mul_u32_u24_sdwa v21, v21, v10 dst_sel:DWORD dst_unused:UNUSED_PAD src0_sel:WORD_1 src1_sel:DWORD
	v_pk_fma_f16 v27, v29, v19, v17
	v_pk_fma_f16 v28, v30, v19, v16
	ds_read2_b64 v[16:19], v18 offset0:124 offset1:142
	s_waitcnt lgkmcnt(2)
	v_pk_fma_f16 v31, v33, v20, v27
	v_pk_fma_f16 v20, v34, v20, v28
	ds_read_b128 v[27:30], v26 offset:32
	v_pk_fma_f16 v31, v35, v21, v31
	v_pk_fma_f16 v20, v36, v21, v20
	ds_read2_b64 v[33:36], v37 offset0:32 offset1:50
	v_mul_u32_u24_sdwa v21, v22, v10 dst_sel:DWORD dst_unused:UNUSED_PAD src0_sel:WORD_1 src1_sel:DWORD
	s_waitcnt lgkmcnt(3)
	v_pk_fma_f16 v12, v12, v38, v31
	v_pk_fma_f16 v13, v13, v38, v20
	v_mul_u32_u24_sdwa v20, v23, v10 dst_sel:DWORD dst_unused:UNUSED_PAD src0_sel:WORD_0 src1_sel:DWORD
	v_mul_u32_u24_sdwa v31, v23, v10 dst_sel:DWORD dst_unused:UNUSED_PAD src0_sel:WORD_1 src1_sel:DWORD
	v_pk_fma_f16 v22, v14, v21, v12
	v_pk_fma_f16 v21, v15, v21, v13
	ds_read2_b64 v[12:15], v37 offset0:68 offset1:86
	s_waitcnt lgkmcnt(3)
	v_pk_fma_f16 v16, v16, v20, v22
	v_pk_fma_f16 v17, v17, v20, v21
	ds_read_b128 v[20:23], v26 offset:48
	s_waitcnt lgkmcnt(3)
	v_mul_u32_u24_sdwa v26, v27, v10 dst_sel:DWORD dst_unused:UNUSED_PAD src0_sel:WORD_0 src1_sel:DWORD
	v_mul_u32_u24_sdwa v27, v27, v10 dst_sel:DWORD dst_unused:UNUSED_PAD src0_sel:WORD_1 src1_sel:DWORD
	v_pk_fma_f16 v38, v18, v31, v16
	v_pk_fma_f16 v31, v19, v31, v17
	ds_read2_b64 v[16:19], v37 offset0:104 offset1:122
	s_waitcnt lgkmcnt(3)
	v_pk_fma_f16 v33, v33, v26, v38
	v_pk_fma_f16 v26, v34, v26, v31
	v_mul_u32_u24_sdwa v31, v28, v10 dst_sel:DWORD dst_unused:UNUSED_PAD src0_sel:WORD_0 src1_sel:DWORD
	v_pk_fma_f16 v38, v35, v27, v33
	v_pk_fma_f16 v26, v36, v27, v26
	ds_read2_b64 v[33:36], v37 offset0:140 offset1:158
	v_mul_u32_u24_sdwa v27, v28, v10 dst_sel:DWORD dst_unused:UNUSED_PAD src0_sel:WORD_1 src1_sel:DWORD
	s_waitcnt lgkmcnt(3)
	v_pk_fma_f16 v12, v12, v31, v38
	v_pk_fma_f16 v13, v13, v31, v26
	v_mul_u32_u24_sdwa v26, v29, v10 dst_sel:DWORD dst_unused:UNUSED_PAD src0_sel:WORD_0 src1_sel:DWORD
	v_mul_u32_u24_sdwa v29, v29, v10 dst_sel:DWORD dst_unused:UNUSED_PAD src0_sel:WORD_1 src1_sel:DWORD
	v_pk_fma_f16 v28, v14, v27, v12
	v_pk_fma_f16 v27, v15, v27, v13
	ds_read2_b64 v[12:15], v37 offset0:176 offset1:194
	s_waitcnt lgkmcnt(2)
	v_pk_fma_f16 v16, v16, v26, v28
	v_pk_fma_f16 v17, v17, v26, v27
	v_mul_u32_u24_sdwa v26, v30, v10 dst_sel:DWORD dst_unused:UNUSED_PAD src0_sel:WORD_0 src1_sel:DWORD
	v_pk_fma_f16 v27, v18, v29, v16
	v_pk_fma_f16 v28, v19, v29, v17
	ds_read2_b64 v[16:19], v37 offset0:212 offset1:230
	v_mul_u32_u24_sdwa v29, v30, v10 dst_sel:DWORD dst_unused:UNUSED_PAD src0_sel:WORD_1 src1_sel:DWORD
	v_mul_u32_u24_sdwa v30, v20, v10 dst_sel:DWORD dst_unused:UNUSED_PAD src0_sel:WORD_0 src1_sel:DWORD
	s_waitcnt lgkmcnt(2)
	v_pk_fma_f16 v27, v33, v26, v27
	v_pk_fma_f16 v26, v34, v26, v28
	v_add_nc_u32_e32 v28, 0xc00, v24
	v_mul_u32_u24_sdwa v20, v20, v10 dst_sel:DWORD dst_unused:UNUSED_PAD src0_sel:WORD_1 src1_sel:DWORD
	v_add_nc_u32_e32 v24, 0x1000, v24
	v_pk_fma_f16 v31, v35, v29, v27
	v_pk_fma_f16 v33, v36, v29, v26
	ds_read2_b64 v[26:29], v28 offset0:120 offset1:138
	s_waitcnt lgkmcnt(2)
	v_pk_fma_f16 v12, v12, v30, v31
	v_pk_fma_f16 v13, v13, v30, v33
	v_mul_u32_u24_sdwa v30, v21, v10 dst_sel:DWORD dst_unused:UNUSED_PAD src0_sel:WORD_0 src1_sel:DWORD
	v_mul_u32_u24_sdwa v21, v21, v10 dst_sel:DWORD dst_unused:UNUSED_PAD src0_sel:WORD_1 src1_sel:DWORD
	v_pk_fma_f16 v31, v14, v20, v12
	v_pk_fma_f16 v20, v15, v20, v13
	ds_read2_b64 v[12:15], v24 offset0:28 offset1:46
	s_waitcnt lgkmcnt(0)
	s_barrier
	v_pk_fma_f16 v16, v16, v30, v31
	v_pk_fma_f16 v17, v17, v30, v20
	v_mul_u32_u24_sdwa v20, v22, v10 dst_sel:DWORD dst_unused:UNUSED_PAD src0_sel:WORD_0 src1_sel:DWORD
	buffer_gl0_inv
	v_pk_fma_f16 v16, v18, v21, v16
	v_pk_fma_f16 v17, v19, v21, v17
	v_mul_u32_u24_sdwa v18, v22, v10 dst_sel:DWORD dst_unused:UNUSED_PAD src0_sel:WORD_1 src1_sel:DWORD
	v_mul_u32_u24_sdwa v19, v23, v10 dst_sel:DWORD dst_unused:UNUSED_PAD src0_sel:WORD_0 src1_sel:DWORD
	v_mul_u32_u24_sdwa v10, v23, v10 dst_sel:DWORD dst_unused:UNUSED_PAD src0_sel:WORD_1 src1_sel:DWORD
	v_pk_fma_f16 v16, v26, v20, v16
	v_pk_fma_f16 v17, v27, v20, v17
	;; [unrolled: 1-line block ×8, first 2 shown]
.LBB68_33:
	v_cmp_lt_i32_e32 vcc_lo, v4, v9
	s_cmp_eq_u64 s[20:21], 0
	s_cselect_b32 s7, -1, 0
	s_cmp_lg_u32 s34, 0
	v_cndmask_b32_e32 v1, v25, v4, vcc_lo
	v_cmp_lt_i32_e32 vcc_lo, v5, v9
	s_cselect_b32 s8, -1, 0
	s_or_b32 s7, s8, s7
	v_lshlrev_b32_e32 v1, 2, v1
	v_cndmask_b32_e32 v4, v25, v5, vcc_lo
	v_cmp_lt_i32_e32 vcc_lo, v6, v9
	ds_bpermute_b32 v1, v1, v32
	v_lshlrev_b32_e32 v4, 2, v4
	v_cndmask_b32_e32 v5, v25, v6, vcc_lo
	v_cmp_lt_i32_e32 vcc_lo, v7, v9
	v_lshlrev_b32_e32 v5, 2, v5
	s_waitcnt lgkmcnt(0)
	v_add_f32_e32 v1, v32, v1
	ds_bpermute_b32 v4, v4, v1
	s_waitcnt lgkmcnt(0)
	v_add_f32_e32 v1, v1, v4
	ds_bpermute_b32 v4, v5, v1
	v_cndmask_b32_e32 v5, v25, v7, vcc_lo
	v_cmp_lt_i32_e32 vcc_lo, v8, v9
	v_lshlrev_b32_e32 v5, 2, v5
	s_waitcnt lgkmcnt(0)
	v_add_f32_e32 v1, v1, v4
	ds_bpermute_b32 v4, v5, v1
	v_cndmask_b32_e32 v5, v25, v8, vcc_lo
	s_and_b32 vcc_lo, exec_lo, s7
	v_lshlrev_b32_e32 v5, 2, v5
	s_waitcnt lgkmcnt(0)
	v_add_f32_e32 v1, v1, v4
	ds_bpermute_b32 v4, v5, v1
	s_waitcnt lgkmcnt(0)
	v_add_f32_e32 v4, v1, v4
	s_cbranch_vccnz .LBB68_35
; %bb.34:
	s_lshl_b64 s[8:9], s[40:41], 2
	v_mov_b32_e32 v1, 0
	s_add_u32 s8, s20, s8
	s_addc_u32 s9, s21, s9
	v_max_f32_e32 v5, v3, v3
	global_load_dword v1, v1, s[8:9]
	s_waitcnt vmcnt(0)
	v_max_f32_e32 v6, v1, v1
	v_max_f32_e32 v5, v5, v6
	v_sub_f32_e32 v3, v3, v5
	v_sub_f32_e32 v1, v1, v5
	v_mul_f32_e32 v6, 0x3fb8aa3b, v3
	v_mul_f32_e32 v7, 0x3fb8aa3b, v1
	v_cmp_ngt_f32_e32 vcc_lo, 0xc2ce8ed0, v3
	v_fma_f32 v8, 0x3fb8aa3b, v3, -v6
	v_rndne_f32_e32 v9, v6
	v_fma_f32 v10, 0x3fb8aa3b, v1, -v7
	v_rndne_f32_e32 v11, v7
	v_fmac_f32_e32 v8, 0x32a5705f, v3
	v_sub_f32_e32 v6, v6, v9
	v_fmac_f32_e32 v10, 0x32a5705f, v1
	v_sub_f32_e32 v7, v7, v11
	v_add_f32_e32 v6, v6, v8
	v_cvt_i32_f32_e32 v8, v9
	v_add_f32_e32 v7, v7, v10
	v_cvt_i32_f32_e32 v9, v11
	v_exp_f32_e32 v6, v6
	v_exp_f32_e32 v7, v7
	v_ldexp_f32 v6, v6, v8
	v_ldexp_f32 v7, v7, v9
	v_cndmask_b32_e32 v6, 0, v6, vcc_lo
	v_cmp_ngt_f32_e32 vcc_lo, 0xc2ce8ed0, v1
	v_cndmask_b32_e32 v7, 0, v7, vcc_lo
	v_cmp_nlt_f32_e32 vcc_lo, 0x42b17218, v3
	v_cndmask_b32_e32 v3, 0x7f800000, v6, vcc_lo
	v_cmp_nlt_f32_e32 vcc_lo, 0x42b17218, v1
	v_mov_b32_e32 v6, 0x10001
	v_cndmask_b32_e32 v1, 0x7f800000, v7, vcc_lo
	v_cvt_f16_f32_e32 v7, v3
	v_fmac_f32_e32 v1, v4, v3
	v_mul_u32_u24_sdwa v3, v7, v6 dst_sel:DWORD dst_unused:UNUSED_PAD src0_sel:WORD_0 src1_sel:DWORD
	v_mov_b32_e32 v4, v1
	v_pk_mul_f16 v27, v27, v3
	v_pk_mul_f16 v29, v29, v3
	v_mov_b32_e32 v3, v5
.LBB68_35:
	s_mov_b32 s7, exec_lo
	v_cmpx_gt_i32_e64 s30, v2
	s_cbranch_execz .LBB68_40
; %bb.36:
	s_load_dword s4, s[4:5], 0xd4
	v_mad_u64_u32 v[1:2], null, s33, s30, v[2:3]
	v_mad_u64_u32 v[1:2], null, v1, s31, s[40:41]
	s_waitcnt lgkmcnt(0)
	v_mad_u64_u32 v[1:2], null, s4, v1, s[34:35]
	s_cmp_lg_u32 s4, 1
	s_cselect_b32 s4, -1, 0
	s_and_saveexec_b32 s5, s6
	s_cbranch_execz .LBB68_38
; %bb.37:
	v_div_scale_f32 v2, null, v4, v4, 1.0
	v_div_scale_f32 v7, vcc_lo, 1.0, v4, 1.0
	v_cvt_f32_f16_e32 v11, v29
	v_rcp_f32_e32 v5, v2
	v_cvt_f32_f16_sdwa v12, v27 dst_sel:DWORD dst_unused:UNUSED_PAD src0_sel:WORD_1
	v_cvt_f32_f16_e32 v13, v27
	v_fma_f32 v6, -v2, v5, 1.0
	v_fmac_f32_e32 v5, v6, v5
	v_mul_f32_e32 v6, v7, v5
	v_fma_f32 v8, -v2, v6, v7
	v_fmac_f32_e32 v6, v8, v5
	v_fma_f32 v2, -v2, v6, v7
	v_cvt_f32_f16_sdwa v7, v29 dst_sel:DWORD dst_unused:UNUSED_PAD src0_sel:WORD_1
	v_div_fmas_f32 v2, v2, v5, v6
	v_mul_lo_u32 v5, 0x48, v1
	v_mov_b32_e32 v6, 0
	v_div_fixup_f32 v2, v2, v4, 1.0
	v_lshl_add_u32 v5, v0, 2, v5
	v_cndmask_b32_e64 v2, v2, 1.0, s4
	v_lshlrev_b64 v[9:10], 2, v[5:6]
	v_mul_f32_e32 v8, v2, v7
	v_mul_f32_e32 v7, v2, v11
	;; [unrolled: 1-line block ×4, first 2 shown]
	v_add_co_u32 v9, vcc_lo, s24, v9
	v_add_co_ci_u32_e64 v10, null, s25, v10, vcc_lo
	global_store_dwordx4 v[9:10], v[5:8], off
.LBB68_38:
	s_or_b32 exec_lo, exec_lo, s5
	v_cmp_eq_u32_e32 vcc_lo, 0, v0
	s_and_b32 s4, vcc_lo, s4
	s_and_b32 exec_lo, exec_lo, s4
	s_cbranch_execz .LBB68_40
; %bb.39:
	v_ashrrev_i32_e32 v2, 31, v1
	v_lshlrev_b64 v[0:1], 3, v[1:2]
	v_add_co_u32 v0, vcc_lo, s26, v0
	v_add_co_ci_u32_e64 v1, null, s27, v1, vcc_lo
	global_store_dwordx2 v[0:1], v[3:4], off
.LBB68_40:
	s_endpgm
	.section	.rodata,"a",@progbits
	.p2align	6, 0x0
	.amdhsa_kernel _ZL15flash_attn_tileILi72ELi72ELi2ELi1ELb0EEvPKcS1_S1_S1_S1_PKiPfP15HIP_vector_typeIfLj2EEffffjfiS5_IjLj3EEiiiiiiiiiiiliiliiiiil
		.amdhsa_group_segment_fixed_size 5760
		.amdhsa_private_segment_fixed_size 32
		.amdhsa_kernarg_size 464
		.amdhsa_user_sgpr_count 8
		.amdhsa_user_sgpr_private_segment_buffer 1
		.amdhsa_user_sgpr_dispatch_ptr 0
		.amdhsa_user_sgpr_queue_ptr 0
		.amdhsa_user_sgpr_kernarg_segment_ptr 1
		.amdhsa_user_sgpr_dispatch_id 0
		.amdhsa_user_sgpr_flat_scratch_init 1
		.amdhsa_user_sgpr_private_segment_size 0
		.amdhsa_wavefront_size32 1
		.amdhsa_uses_dynamic_stack 0
		.amdhsa_system_sgpr_private_segment_wavefront_offset 1
		.amdhsa_system_sgpr_workgroup_id_x 1
		.amdhsa_system_sgpr_workgroup_id_y 1
		.amdhsa_system_sgpr_workgroup_id_z 1
		.amdhsa_system_sgpr_workgroup_info 0
		.amdhsa_system_vgpr_workitem_id 1
		.amdhsa_next_free_vgpr 76
		.amdhsa_next_free_sgpr 52
		.amdhsa_reserve_vcc 1
		.amdhsa_reserve_flat_scratch 1
		.amdhsa_float_round_mode_32 0
		.amdhsa_float_round_mode_16_64 0
		.amdhsa_float_denorm_mode_32 3
		.amdhsa_float_denorm_mode_16_64 3
		.amdhsa_dx10_clamp 1
		.amdhsa_ieee_mode 1
		.amdhsa_fp16_overflow 0
		.amdhsa_workgroup_processor_mode 1
		.amdhsa_memory_ordered 1
		.amdhsa_forward_progress 1
		.amdhsa_shared_vgpr_count 0
		.amdhsa_exception_fp_ieee_invalid_op 0
		.amdhsa_exception_fp_denorm_src 0
		.amdhsa_exception_fp_ieee_div_zero 0
		.amdhsa_exception_fp_ieee_overflow 0
		.amdhsa_exception_fp_ieee_underflow 0
		.amdhsa_exception_fp_ieee_inexact 0
		.amdhsa_exception_int_div_zero 0
	.end_amdhsa_kernel
	.section	.text._ZL15flash_attn_tileILi72ELi72ELi2ELi1ELb0EEvPKcS1_S1_S1_S1_PKiPfP15HIP_vector_typeIfLj2EEffffjfiS5_IjLj3EEiiiiiiiiiiiliiliiiiil,"axG",@progbits,_ZL15flash_attn_tileILi72ELi72ELi2ELi1ELb0EEvPKcS1_S1_S1_S1_PKiPfP15HIP_vector_typeIfLj2EEffffjfiS5_IjLj3EEiiiiiiiiiiiliiliiiiil,comdat
.Lfunc_end68:
	.size	_ZL15flash_attn_tileILi72ELi72ELi2ELi1ELb0EEvPKcS1_S1_S1_S1_PKiPfP15HIP_vector_typeIfLj2EEffffjfiS5_IjLj3EEiiiiiiiiiiiliiliiiiil, .Lfunc_end68-_ZL15flash_attn_tileILi72ELi72ELi2ELi1ELb0EEvPKcS1_S1_S1_S1_PKiPfP15HIP_vector_typeIfLj2EEffffjfiS5_IjLj3EEiiiiiiiiiiiliiliiiiil
                                        ; -- End function
	.set _ZL15flash_attn_tileILi72ELi72ELi2ELi1ELb0EEvPKcS1_S1_S1_S1_PKiPfP15HIP_vector_typeIfLj2EEffffjfiS5_IjLj3EEiiiiiiiiiiiliiliiiiil.num_vgpr, 76
	.set _ZL15flash_attn_tileILi72ELi72ELi2ELi1ELb0EEvPKcS1_S1_S1_S1_PKiPfP15HIP_vector_typeIfLj2EEffffjfiS5_IjLj3EEiiiiiiiiiiiliiliiiiil.num_agpr, 0
	.set _ZL15flash_attn_tileILi72ELi72ELi2ELi1ELb0EEvPKcS1_S1_S1_S1_PKiPfP15HIP_vector_typeIfLj2EEffffjfiS5_IjLj3EEiiiiiiiiiiiliiliiiiil.numbered_sgpr, 52
	.set _ZL15flash_attn_tileILi72ELi72ELi2ELi1ELb0EEvPKcS1_S1_S1_S1_PKiPfP15HIP_vector_typeIfLj2EEffffjfiS5_IjLj3EEiiiiiiiiiiiliiliiiiil.num_named_barrier, 0
	.set _ZL15flash_attn_tileILi72ELi72ELi2ELi1ELb0EEvPKcS1_S1_S1_S1_PKiPfP15HIP_vector_typeIfLj2EEffffjfiS5_IjLj3EEiiiiiiiiiiiliiliiiiil.private_seg_size, 32
	.set _ZL15flash_attn_tileILi72ELi72ELi2ELi1ELb0EEvPKcS1_S1_S1_S1_PKiPfP15HIP_vector_typeIfLj2EEffffjfiS5_IjLj3EEiiiiiiiiiiiliiliiiiil.uses_vcc, 1
	.set _ZL15flash_attn_tileILi72ELi72ELi2ELi1ELb0EEvPKcS1_S1_S1_S1_PKiPfP15HIP_vector_typeIfLj2EEffffjfiS5_IjLj3EEiiiiiiiiiiiliiliiiiil.uses_flat_scratch, 1
	.set _ZL15flash_attn_tileILi72ELi72ELi2ELi1ELb0EEvPKcS1_S1_S1_S1_PKiPfP15HIP_vector_typeIfLj2EEffffjfiS5_IjLj3EEiiiiiiiiiiiliiliiiiil.has_dyn_sized_stack, 0
	.set _ZL15flash_attn_tileILi72ELi72ELi2ELi1ELb0EEvPKcS1_S1_S1_S1_PKiPfP15HIP_vector_typeIfLj2EEffffjfiS5_IjLj3EEiiiiiiiiiiiliiliiiiil.has_recursion, 0
	.set _ZL15flash_attn_tileILi72ELi72ELi2ELi1ELb0EEvPKcS1_S1_S1_S1_PKiPfP15HIP_vector_typeIfLj2EEffffjfiS5_IjLj3EEiiiiiiiiiiiliiliiiiil.has_indirect_call, 0
	.section	.AMDGPU.csdata,"",@progbits
; Kernel info:
; codeLenInByte = 10420
; TotalNumSgprs: 54
; NumVgprs: 76
; ScratchSize: 32
; MemoryBound: 0
; FloatMode: 240
; IeeeMode: 1
; LDSByteSize: 5760 bytes/workgroup (compile time only)
; SGPRBlocks: 0
; VGPRBlocks: 9
; NumSGPRsForWavesPerEU: 54
; NumVGPRsForWavesPerEU: 76
; Occupancy: 11
; WaveLimiterHint : 1
; COMPUTE_PGM_RSRC2:SCRATCH_EN: 1
; COMPUTE_PGM_RSRC2:USER_SGPR: 8
; COMPUTE_PGM_RSRC2:TRAP_HANDLER: 0
; COMPUTE_PGM_RSRC2:TGID_X_EN: 1
; COMPUTE_PGM_RSRC2:TGID_Y_EN: 1
; COMPUTE_PGM_RSRC2:TGID_Z_EN: 1
; COMPUTE_PGM_RSRC2:TIDIG_COMP_CNT: 1
	.section	.text._ZL33flash_attn_stream_k_fixup_uniformILi72ELi2ELi1EEvPfPK15HIP_vector_typeIfLj2EEiiiiiiS1_IjLj3EES5_S5_,"axG",@progbits,_ZL33flash_attn_stream_k_fixup_uniformILi72ELi2ELi1EEvPfPK15HIP_vector_typeIfLj2EEiiiiiiS1_IjLj3EES5_S5_,comdat
	.globl	_ZL33flash_attn_stream_k_fixup_uniformILi72ELi2ELi1EEvPfPK15HIP_vector_typeIfLj2EEiiiiiiS1_IjLj3EES5_S5_ ; -- Begin function _ZL33flash_attn_stream_k_fixup_uniformILi72ELi2ELi1EEvPfPK15HIP_vector_typeIfLj2EEiiiiiiS1_IjLj3EES5_S5_
	.p2align	8
	.type	_ZL33flash_attn_stream_k_fixup_uniformILi72ELi2ELi1EEvPfPK15HIP_vector_typeIfLj2EEiiiiiiS1_IjLj3EES5_S5_,@function
_ZL33flash_attn_stream_k_fixup_uniformILi72ELi2ELi1EEvPfPK15HIP_vector_typeIfLj2EEiiiiiiS1_IjLj3EES5_S5_: ; @_ZL33flash_attn_stream_k_fixup_uniformILi72ELi2ELi1EEvPfPK15HIP_vector_typeIfLj2EEiiiiiiS1_IjLj3EES5_S5_
; %bb.0:
	s_clause 0x2
	s_load_dwordx8 s[12:19], s[4:5], 0x1c
	s_load_dwordx4 s[20:23], s[4:5], 0x3c
	s_load_dwordx2 s[10:11], s[4:5], 0x10
	s_waitcnt lgkmcnt(0)
	s_mul_hi_u32 s0, s15, s6
	s_add_i32 s0, s6, s0
	s_lshr_b32 s0, s0, s16
	s_mul_i32 s1, s0, s17
	s_sub_i32 s1, s6, s1
	s_mul_hi_u32 s2, s1, s18
	s_add_i32 s2, s1, s2
	s_lshr_b32 s9, s2, s19
	s_mul_i32 s2, s9, s20
	s_sub_i32 s1, s1, s2
	;; [unrolled: 5-line block ×3, first 2 shown]
	s_lshl_b32 s1, s15, 1
	s_add_i32 s1, s1, s7
	s_cmp_lt_i32 s1, s10
	s_cselect_b32 s1, -1, 0
	s_add_i32 s16, s16, s8
	s_cmp_lt_i32 s16, s13
	s_cselect_b32 s2, -1, 0
	s_and_b32 s1, s1, s2
	s_andn2_b32 vcc_lo, exec_lo, s1
	s_cbranch_vccnz .LBB69_6
; %bb.1:
	s_mul_i32 s10, s0, s10
	s_load_dwordx4 s[0:3], s[4:5], 0x0
	s_add_i32 s4, s10, s7
	s_mul_i32 s9, s9, s13
	s_mul_i32 s4, s4, s11
	s_add_i32 s5, s16, s9
	s_mul_i32 s9, s11, s15
	s_add_i32 s4, s5, s4
	s_mulk_i32 s9, 0x90
	s_mulk_i32 s4, 0x48
	s_add_i32 s8, s7, s8
	v_add3_u32 v1, s4, s9, v0
	s_mul_i32 s4, s14, s6
	s_add_i32 s9, s4, s14
	v_ashrrev_i32_e32 v2, 31, v1
	v_lshlrev_b64 v[1:2], 2, v[1:2]
	s_waitcnt lgkmcnt(0)
	v_add_co_u32 v1, vcc_lo, s0, v1
	v_add_co_ci_u32_e64 v2, null, s1, v2, vcc_lo
	s_lshl_b32 s0, s9, 1
	s_add_i32 s0, s8, s0
	global_load_dword v5, v[1:2], off
	s_add_i32 s0, s0, -2
	s_ashr_i32 s1, s0, 31
	s_lshl_b64 s[0:1], s[0:1], 3
	s_add_u32 s0, s2, s0
	s_addc_u32 s1, s3, s1
	s_add_i32 s5, s9, -2
	s_load_dword s10, s[0:1], 0x4
	s_cmp_lt_i32 s5, s4
	s_cbranch_scc1 .LBB69_4
; %bb.2:
	s_load_dword s11, s[0:1], 0x0
	s_lshl_b32 s0, s12, 3
	s_waitcnt lgkmcnt(0)
	v_mov_b32_e32 v6, s10
	s_ashr_i32 s1, s0, 31
	s_lshl_b64 s[0:1], s[0:1], 2
	s_add_u32 s5, s2, s0
	s_addc_u32 s7, s3, s1
	s_add_i32 s6, s6, 1
	s_mul_i32 s1, s8, 0x48
	s_mul_i32 s0, s14, s6
	s_lshl_b32 s6, s0, 1
	s_mulk_i32 s0, 0x90
	s_add_i32 s6, s8, s6
	s_add_i32 s1, s1, s0
	s_lshl_b32 s0, s12, 1
	v_add3_u32 v3, s1, v0, 0xfffffee0
	s_add_i32 s0, s6, s0
	v_mov_b32_e32 v0, s11
	s_add_i32 s6, s9, -1
	s_add_i32 s0, s0, -4
.LBB69_3:                               ; =>This Inner Loop Header: Depth=1
	v_ashrrev_i32_e32 v4, 31, v3
	s_ashr_i32 s1, s0, 31
	s_lshl_b64 s[8:9], s[0:1], 3
	s_add_u32 s8, s2, s8
	v_lshlrev_b64 v[7:8], 2, v[3:4]
	s_addc_u32 s9, s3, s9
	v_add_nc_u32_e32 v3, 0xffffff70, v3
	s_add_i32 s6, s6, -1
	s_add_i32 s0, s0, -2
	s_cmp_le_i32 s6, s4
	v_add_co_u32 v7, vcc_lo, s5, v7
	v_add_co_ci_u32_e64 v8, null, s7, v8, vcc_lo
	s_load_dwordx2 s[8:9], s[8:9], 0x0
	global_load_dword v4, v[7:8], off
	v_max_f32_e32 v7, v0, v0
	s_waitcnt lgkmcnt(0)
	v_max_f32_e64 v8, s8, s8
	v_max_f32_e32 v7, v7, v8
	v_sub_f32_e32 v8, s8, v7
	v_sub_f32_e32 v0, v0, v7
	v_mul_f32_e32 v9, 0x3fb8aa3b, v8
	v_mul_f32_e32 v12, 0x3fb8aa3b, v0
	v_cmp_ngt_f32_e32 vcc_lo, 0xc2ce8ed0, v8
	v_fma_f32 v10, 0x3fb8aa3b, v8, -v9
	v_rndne_f32_e32 v11, v9
	v_fma_f32 v13, 0x3fb8aa3b, v0, -v12
	v_rndne_f32_e32 v14, v12
	v_fmac_f32_e32 v10, 0x32a5705f, v8
	v_sub_f32_e32 v9, v9, v11
	v_fmac_f32_e32 v13, 0x32a5705f, v0
	v_cvt_i32_f32_e32 v11, v11
	v_add_f32_e32 v9, v9, v10
	v_sub_f32_e32 v10, v12, v14
	v_exp_f32_e32 v9, v9
	v_add_f32_e32 v10, v10, v13
	v_exp_f32_e32 v10, v10
	v_ldexp_f32 v9, v9, v11
	v_cvt_i32_f32_e32 v11, v14
	v_cndmask_b32_e32 v9, 0, v9, vcc_lo
	v_cmp_nlt_f32_e32 vcc_lo, 0x42b17218, v8
	v_ldexp_f32 v10, v10, v11
	v_mov_b32_e32 v11, v6
	v_cndmask_b32_e32 v9, 0x7f800000, v9, vcc_lo
	v_cmp_ngt_f32_e32 vcc_lo, 0xc2ce8ed0, v0
	v_cndmask_b32_e32 v10, 0, v10, vcc_lo
	v_cmp_le_f32_e32 vcc_lo, 0xc1a00000, v8
	v_cndmask_b32_e32 v8, 0, v9, vcc_lo
	v_cmp_nlt_f32_e32 vcc_lo, 0x42b17218, v0
	s_waitcnt vmcnt(1)
	v_mov_b32_e32 v9, v5
	v_cndmask_b32_e32 v5, 0x7f800000, v10, vcc_lo
	v_mul_f32_e32 v10, s9, v8
	v_cmp_le_f32_e32 vcc_lo, 0xc1a00000, v0
	v_mov_b32_e32 v0, v7
	v_mov_b32_e32 v6, v10
	v_cndmask_b32_e32 v12, 0, v5, vcc_lo
	v_fmac_f32_e32 v6, v11, v12
	s_waitcnt vmcnt(0)
	v_mul_f32_e32 v5, v4, v8
	v_fmac_f32_e32 v5, v9, v12
	s_cbranch_scc0 .LBB69_3
	s_branch .LBB69_5
.LBB69_4:
	s_waitcnt lgkmcnt(0)
	v_mov_b32_e32 v6, s10
.LBB69_5:
	s_waitcnt vmcnt(0)
	v_div_scale_f32 v0, null, v6, v6, v5
	v_rcp_f32_e32 v3, v0
	v_fma_f32 v4, -v0, v3, 1.0
	v_fmac_f32_e32 v3, v4, v3
	v_div_scale_f32 v4, vcc_lo, v5, v6, v5
	v_mul_f32_e32 v7, v4, v3
	v_fma_f32 v8, -v0, v7, v4
	v_fmac_f32_e32 v7, v8, v3
	v_fma_f32 v0, -v0, v7, v4
	v_div_fmas_f32 v0, v0, v3, v7
	v_div_fixup_f32 v0, v0, v6, v5
	global_store_dword v[1:2], v0, off
.LBB69_6:
	s_endpgm
	.section	.rodata,"a",@progbits
	.p2align	6, 0x0
	.amdhsa_kernel _ZL33flash_attn_stream_k_fixup_uniformILi72ELi2ELi1EEvPfPK15HIP_vector_typeIfLj2EEiiiiiiS1_IjLj3EES5_S5_
		.amdhsa_group_segment_fixed_size 0
		.amdhsa_private_segment_fixed_size 0
		.amdhsa_kernarg_size 76
		.amdhsa_user_sgpr_count 6
		.amdhsa_user_sgpr_private_segment_buffer 1
		.amdhsa_user_sgpr_dispatch_ptr 0
		.amdhsa_user_sgpr_queue_ptr 0
		.amdhsa_user_sgpr_kernarg_segment_ptr 1
		.amdhsa_user_sgpr_dispatch_id 0
		.amdhsa_user_sgpr_flat_scratch_init 0
		.amdhsa_user_sgpr_private_segment_size 0
		.amdhsa_wavefront_size32 1
		.amdhsa_uses_dynamic_stack 0
		.amdhsa_system_sgpr_private_segment_wavefront_offset 0
		.amdhsa_system_sgpr_workgroup_id_x 1
		.amdhsa_system_sgpr_workgroup_id_y 1
		.amdhsa_system_sgpr_workgroup_id_z 1
		.amdhsa_system_sgpr_workgroup_info 0
		.amdhsa_system_vgpr_workitem_id 0
		.amdhsa_next_free_vgpr 15
		.amdhsa_next_free_sgpr 24
		.amdhsa_reserve_vcc 1
		.amdhsa_reserve_flat_scratch 0
		.amdhsa_float_round_mode_32 0
		.amdhsa_float_round_mode_16_64 0
		.amdhsa_float_denorm_mode_32 3
		.amdhsa_float_denorm_mode_16_64 3
		.amdhsa_dx10_clamp 1
		.amdhsa_ieee_mode 1
		.amdhsa_fp16_overflow 0
		.amdhsa_workgroup_processor_mode 1
		.amdhsa_memory_ordered 1
		.amdhsa_forward_progress 1
		.amdhsa_shared_vgpr_count 0
		.amdhsa_exception_fp_ieee_invalid_op 0
		.amdhsa_exception_fp_denorm_src 0
		.amdhsa_exception_fp_ieee_div_zero 0
		.amdhsa_exception_fp_ieee_overflow 0
		.amdhsa_exception_fp_ieee_underflow 0
		.amdhsa_exception_fp_ieee_inexact 0
		.amdhsa_exception_int_div_zero 0
	.end_amdhsa_kernel
	.section	.text._ZL33flash_attn_stream_k_fixup_uniformILi72ELi2ELi1EEvPfPK15HIP_vector_typeIfLj2EEiiiiiiS1_IjLj3EES5_S5_,"axG",@progbits,_ZL33flash_attn_stream_k_fixup_uniformILi72ELi2ELi1EEvPfPK15HIP_vector_typeIfLj2EEiiiiiiS1_IjLj3EES5_S5_,comdat
.Lfunc_end69:
	.size	_ZL33flash_attn_stream_k_fixup_uniformILi72ELi2ELi1EEvPfPK15HIP_vector_typeIfLj2EEiiiiiiS1_IjLj3EES5_S5_, .Lfunc_end69-_ZL33flash_attn_stream_k_fixup_uniformILi72ELi2ELi1EEvPfPK15HIP_vector_typeIfLj2EEiiiiiiS1_IjLj3EES5_S5_
                                        ; -- End function
	.set _ZL33flash_attn_stream_k_fixup_uniformILi72ELi2ELi1EEvPfPK15HIP_vector_typeIfLj2EEiiiiiiS1_IjLj3EES5_S5_.num_vgpr, 15
	.set _ZL33flash_attn_stream_k_fixup_uniformILi72ELi2ELi1EEvPfPK15HIP_vector_typeIfLj2EEiiiiiiS1_IjLj3EES5_S5_.num_agpr, 0
	.set _ZL33flash_attn_stream_k_fixup_uniformILi72ELi2ELi1EEvPfPK15HIP_vector_typeIfLj2EEiiiiiiS1_IjLj3EES5_S5_.numbered_sgpr, 24
	.set _ZL33flash_attn_stream_k_fixup_uniformILi72ELi2ELi1EEvPfPK15HIP_vector_typeIfLj2EEiiiiiiS1_IjLj3EES5_S5_.num_named_barrier, 0
	.set _ZL33flash_attn_stream_k_fixup_uniformILi72ELi2ELi1EEvPfPK15HIP_vector_typeIfLj2EEiiiiiiS1_IjLj3EES5_S5_.private_seg_size, 0
	.set _ZL33flash_attn_stream_k_fixup_uniformILi72ELi2ELi1EEvPfPK15HIP_vector_typeIfLj2EEiiiiiiS1_IjLj3EES5_S5_.uses_vcc, 1
	.set _ZL33flash_attn_stream_k_fixup_uniformILi72ELi2ELi1EEvPfPK15HIP_vector_typeIfLj2EEiiiiiiS1_IjLj3EES5_S5_.uses_flat_scratch, 0
	.set _ZL33flash_attn_stream_k_fixup_uniformILi72ELi2ELi1EEvPfPK15HIP_vector_typeIfLj2EEiiiiiiS1_IjLj3EES5_S5_.has_dyn_sized_stack, 0
	.set _ZL33flash_attn_stream_k_fixup_uniformILi72ELi2ELi1EEvPfPK15HIP_vector_typeIfLj2EEiiiiiiS1_IjLj3EES5_S5_.has_recursion, 0
	.set _ZL33flash_attn_stream_k_fixup_uniformILi72ELi2ELi1EEvPfPK15HIP_vector_typeIfLj2EEiiiiiiS1_IjLj3EES5_S5_.has_indirect_call, 0
	.section	.AMDGPU.csdata,"",@progbits
; Kernel info:
; codeLenInByte = 828
; TotalNumSgprs: 26
; NumVgprs: 15
; ScratchSize: 0
; MemoryBound: 0
; FloatMode: 240
; IeeeMode: 1
; LDSByteSize: 0 bytes/workgroup (compile time only)
; SGPRBlocks: 0
; VGPRBlocks: 1
; NumSGPRsForWavesPerEU: 26
; NumVGPRsForWavesPerEU: 15
; Occupancy: 16
; WaveLimiterHint : 0
; COMPUTE_PGM_RSRC2:SCRATCH_EN: 0
; COMPUTE_PGM_RSRC2:USER_SGPR: 6
; COMPUTE_PGM_RSRC2:TRAP_HANDLER: 0
; COMPUTE_PGM_RSRC2:TGID_X_EN: 1
; COMPUTE_PGM_RSRC2:TGID_Y_EN: 1
; COMPUTE_PGM_RSRC2:TGID_Z_EN: 1
; COMPUTE_PGM_RSRC2:TIDIG_COMP_CNT: 0
	.section	.text._ZL33flash_attn_stream_k_fixup_generalILi72ELi2ELi1EEvPfPK15HIP_vector_typeIfLj2EEiiiiS1_IjLj3EES5_S5_S5_,"axG",@progbits,_ZL33flash_attn_stream_k_fixup_generalILi72ELi2ELi1EEvPfPK15HIP_vector_typeIfLj2EEiiiiS1_IjLj3EES5_S5_S5_,comdat
	.globl	_ZL33flash_attn_stream_k_fixup_generalILi72ELi2ELi1EEvPfPK15HIP_vector_typeIfLj2EEiiiiS1_IjLj3EES5_S5_S5_ ; -- Begin function _ZL33flash_attn_stream_k_fixup_generalILi72ELi2ELi1EEvPfPK15HIP_vector_typeIfLj2EEiiiiS1_IjLj3EES5_S5_S5_
	.p2align	8
	.type	_ZL33flash_attn_stream_k_fixup_generalILi72ELi2ELi1EEvPfPK15HIP_vector_typeIfLj2EEiiiiS1_IjLj3EES5_S5_S5_,@function
_ZL33flash_attn_stream_k_fixup_generalILi72ELi2ELi1EEvPfPK15HIP_vector_typeIfLj2EEiiiiS1_IjLj3EES5_S5_S5_: ; @_ZL33flash_attn_stream_k_fixup_generalILi72ELi2ELi1EEvPfPK15HIP_vector_typeIfLj2EEiiiiS1_IjLj3EES5_S5_S5_
; %bb.0:
	s_clause 0x1
	s_load_dwordx4 s[0:3], s[4:5], 0x10
	s_load_dword s9, s[4:5], 0x50
	s_mov_b32 s16, 0
	s_waitcnt lgkmcnt(0)
	s_mul_hi_i32 s17, s3, s6
	s_mul_i32 s18, s3, s6
	s_cmp_lg_u64 s[16:17], 0
	s_cbranch_scc0 .LBB70_21
; %bb.1:
	s_add_u32 s10, s9, 0
	s_addc_u32 s11, 0, 0
	s_xor_b64 s[10:11], s[10:11], 0
	v_cvt_f32_u32_e32 v1, s10
	v_cvt_f32_u32_e32 v2, s11
	s_sub_u32 s14, 0, s10
	s_subb_u32 s15, 0, s11
	v_fmamk_f32 v1, v2, 0x4f800000, v1
	v_rcp_f32_e32 v1, v1
	v_mul_f32_e32 v1, 0x5f7ffffc, v1
	v_mul_f32_e32 v2, 0x2f800000, v1
	v_trunc_f32_e32 v2, v2
	v_fmamk_f32 v1, v2, 0xcf800000, v1
	v_cvt_u32_f32_e32 v2, v2
	v_cvt_u32_f32_e32 v1, v1
	v_readfirstlane_b32 s12, v2
	v_readfirstlane_b32 s13, v1
	s_mul_i32 s19, s14, s12
	s_mul_hi_u32 s21, s14, s13
	s_mul_i32 s20, s15, s13
	s_add_i32 s19, s21, s19
	s_mul_i32 s22, s14, s13
	s_add_i32 s19, s19, s20
	s_mul_hi_u32 s21, s13, s22
	s_mul_i32 s24, s13, s19
	s_mul_hi_u32 s23, s12, s22
	s_mul_i32 s20, s12, s22
	s_mul_hi_u32 s22, s13, s19
	s_add_u32 s21, s21, s24
	s_addc_u32 s22, 0, s22
	s_mul_hi_u32 s25, s12, s19
	s_add_u32 s20, s21, s20
	s_mul_i32 s19, s12, s19
	s_addc_u32 s20, s22, s23
	s_addc_u32 s21, s25, 0
	s_add_u32 s19, s20, s19
	s_addc_u32 s20, 0, s21
	s_add_u32 s13, s13, s19
	s_cselect_b32 s19, -1, 0
	s_mul_hi_u32 s21, s14, s13
	s_cmp_lg_u32 s19, 0
	s_mul_i32 s19, s14, s13
	s_addc_u32 s12, s12, s20
	s_mul_i32 s15, s15, s13
	s_mul_i32 s14, s14, s12
	s_mul_hi_u32 s20, s13, s19
	s_add_i32 s14, s21, s14
	s_mul_hi_u32 s21, s12, s19
	s_add_i32 s14, s14, s15
	s_mul_i32 s15, s12, s19
	s_mul_i32 s23, s13, s14
	s_mul_hi_u32 s22, s13, s14
	s_add_u32 s20, s20, s23
	s_addc_u32 s22, 0, s22
	s_mul_hi_u32 s19, s12, s14
	s_add_u32 s15, s20, s15
	s_mul_i32 s14, s12, s14
	s_addc_u32 s15, s22, s21
	s_addc_u32 s19, s19, 0
	s_add_u32 s14, s15, s14
	s_addc_u32 s15, 0, s19
	s_add_u32 s19, s13, s14
	s_cselect_b32 s13, -1, 0
	s_cmp_lg_u32 s13, 0
	s_addc_u32 s20, s12, s15
	s_ashr_i32 s12, s17, 31
	s_add_u32 s14, s18, s12
	s_mov_b32 s13, s12
	s_addc_u32 s15, s17, s12
	s_xor_b64 s[14:15], s[14:15], s[12:13]
	s_mul_i32 s21, s14, s20
	s_mul_hi_u32 s22, s14, s19
	s_mul_hi_u32 s17, s14, s20
	s_mul_hi_u32 s24, s15, s19
	s_mul_i32 s19, s15, s19
	s_add_u32 s21, s22, s21
	s_addc_u32 s17, 0, s17
	s_mul_hi_u32 s23, s15, s20
	s_add_u32 s19, s21, s19
	s_mul_i32 s20, s15, s20
	s_addc_u32 s17, s17, s24
	s_addc_u32 s19, s23, 0
	s_add_u32 s17, s17, s20
	s_addc_u32 s19, 0, s19
	s_mul_hi_u32 s20, s10, s17
	s_mul_i32 s21, s10, s19
	s_mul_i32 s22, s11, s17
	s_add_i32 s20, s20, s21
	s_mul_i32 s21, s10, s17
	s_add_i32 s20, s20, s22
	s_sub_i32 s22, s15, s20
	s_sub_u32 s14, s14, s21
	s_cselect_b32 s21, -1, 0
	s_cmp_lg_u32 s21, 0
	s_subb_u32 s22, s22, s11
	s_sub_u32 s23, s14, s10
	s_cselect_b32 s24, -1, 0
	s_cmp_lg_u32 s24, 0
	s_subb_u32 s22, s22, 0
	s_cmp_ge_u32 s22, s11
	s_cselect_b32 s24, -1, 0
	s_cmp_ge_u32 s23, s10
	s_cselect_b32 s23, -1, 0
	s_cmp_eq_u32 s22, s11
	s_cselect_b32 s22, s23, s24
	s_add_u32 s23, s17, 1
	s_addc_u32 s24, s19, 0
	s_add_u32 s25, s17, 2
	s_addc_u32 s26, s19, 0
	s_cmp_lg_u32 s22, 0
	s_cselect_b32 s22, s25, s23
	s_cselect_b32 s23, s26, s24
	s_cmp_lg_u32 s21, 0
	s_subb_u32 s15, s15, s20
	s_cmp_ge_u32 s15, s11
	s_cselect_b32 s20, -1, 0
	s_cmp_ge_u32 s14, s10
	s_cselect_b32 s10, -1, 0
	s_cmp_eq_u32 s15, s11
	s_cselect_b32 s10, s10, s20
	s_cmp_lg_u32 s10, 0
	s_cselect_b32 s11, s23, s19
	s_cselect_b32 s10, s22, s17
	s_xor_b64 s[12:13], s[12:13], 0
	s_xor_b64 s[10:11], s[10:11], s[12:13]
	s_sub_u32 s10, s10, s12
	s_load_dwordx4 s[12:15], s[4:5], 0x44
	s_andn2_b32 vcc_lo, exec_lo, s16
	s_cbranch_vccnz .LBB70_3
.LBB70_2:
	v_cvt_f32_u32_e32 v1, s9
	s_sub_i32 s11, 0, s9
	v_rcp_iflag_f32_e32 v1, v1
	v_mul_f32_e32 v1, 0x4f7ffffe, v1
	v_cvt_u32_f32_e32 v1, v1
	v_readfirstlane_b32 s10, v1
	s_mul_i32 s11, s11, s10
	s_mul_hi_u32 s11, s10, s11
	s_add_i32 s10, s10, s11
	s_mul_hi_u32 s10, s18, s10
	s_mul_i32 s11, s10, s9
	s_waitcnt lgkmcnt(0)
	s_add_i32 s15, s10, 1
	s_sub_i32 s11, s18, s11
	s_sub_i32 s16, s11, s9
	s_cmp_ge_u32 s11, s9
	s_cselect_b32 s10, s15, s10
	s_cselect_b32 s11, s16, s11
	s_add_i32 s15, s10, 1
	s_cmp_ge_u32 s11, s9
	s_cselect_b32 s10, s15, s10
.LBB70_3:
	s_add_i32 s11, s6, 1
	s_mov_b32 s16, 0
	s_mul_hi_i32 s17, s3, s11
	s_mul_i32 s11, s3, s11
	s_cmp_lg_u64 s[16:17], 0
	s_cbranch_scc0 .LBB70_22
; %bb.4:
	s_add_u32 s18, s9, 0
	s_addc_u32 s19, 0, 0
	s_xor_b64 s[18:19], s[18:19], 0
	v_cvt_f32_u32_e32 v1, s18
	v_cvt_f32_u32_e32 v2, s19
	s_sub_u32 s21, 0, s18
	s_subb_u32 s22, 0, s19
	v_fmamk_f32 v1, v2, 0x4f800000, v1
	v_rcp_f32_e32 v1, v1
	v_mul_f32_e32 v1, 0x5f7ffffc, v1
	v_mul_f32_e32 v2, 0x2f800000, v1
	v_trunc_f32_e32 v2, v2
	v_fmamk_f32 v1, v2, 0xcf800000, v1
	v_cvt_u32_f32_e32 v2, v2
	v_cvt_u32_f32_e32 v1, v1
	s_waitcnt lgkmcnt(0)
	v_readfirstlane_b32 s15, v2
	v_readfirstlane_b32 s20, v1
	s_mul_i32 s23, s21, s15
	s_mul_hi_u32 s25, s21, s20
	s_mul_i32 s24, s22, s20
	s_add_i32 s23, s25, s23
	s_mul_i32 s26, s21, s20
	s_add_i32 s23, s23, s24
	s_mul_hi_u32 s25, s20, s26
	s_mul_i32 s28, s20, s23
	s_mul_hi_u32 s27, s15, s26
	s_mul_i32 s24, s15, s26
	s_mul_hi_u32 s26, s20, s23
	s_add_u32 s25, s25, s28
	s_addc_u32 s26, 0, s26
	s_mul_hi_u32 s29, s15, s23
	s_add_u32 s24, s25, s24
	s_mul_i32 s23, s15, s23
	s_addc_u32 s24, s26, s27
	s_addc_u32 s25, s29, 0
	s_add_u32 s23, s24, s23
	s_addc_u32 s24, 0, s25
	s_add_u32 s20, s20, s23
	s_cselect_b32 s23, -1, 0
	s_mul_hi_u32 s25, s21, s20
	s_cmp_lg_u32 s23, 0
	s_mul_i32 s23, s21, s20
	s_addc_u32 s15, s15, s24
	s_mul_i32 s22, s22, s20
	s_mul_i32 s21, s21, s15
	s_mul_hi_u32 s24, s20, s23
	s_add_i32 s21, s25, s21
	s_mul_hi_u32 s25, s15, s23
	s_add_i32 s21, s21, s22
	s_mul_i32 s22, s15, s23
	s_mul_i32 s27, s20, s21
	s_mul_hi_u32 s26, s20, s21
	s_add_u32 s24, s24, s27
	s_addc_u32 s26, 0, s26
	s_mul_hi_u32 s23, s15, s21
	s_add_u32 s22, s24, s22
	s_mul_i32 s21, s15, s21
	s_addc_u32 s22, s26, s25
	s_addc_u32 s23, s23, 0
	s_add_u32 s21, s22, s21
	s_addc_u32 s22, 0, s23
	s_add_u32 s24, s20, s21
	s_cselect_b32 s20, -1, 0
	s_cmp_lg_u32 s20, 0
	s_addc_u32 s15, s15, s22
	s_ashr_i32 s20, s17, 31
	s_add_u32 s22, s11, s20
	s_mov_b32 s21, s20
	s_addc_u32 s23, s17, s20
	s_xor_b64 s[22:23], s[22:23], s[20:21]
	s_mul_i32 s25, s22, s15
	s_mul_hi_u32 s26, s22, s24
	s_mul_hi_u32 s17, s22, s15
	;; [unrolled: 1-line block ×3, first 2 shown]
	s_mul_i32 s24, s23, s24
	s_add_u32 s25, s26, s25
	s_addc_u32 s17, 0, s17
	s_mul_hi_u32 s27, s23, s15
	s_add_u32 s24, s25, s24
	s_mul_i32 s15, s23, s15
	s_addc_u32 s17, s17, s28
	s_addc_u32 s24, s27, 0
	s_add_u32 s15, s17, s15
	s_addc_u32 s17, 0, s24
	s_mul_hi_u32 s24, s18, s15
	s_mul_i32 s25, s18, s17
	s_mul_i32 s26, s19, s15
	s_add_i32 s24, s24, s25
	s_mul_i32 s25, s18, s15
	s_add_i32 s24, s24, s26
	s_sub_i32 s26, s23, s24
	s_sub_u32 s22, s22, s25
	s_cselect_b32 s25, -1, 0
	s_cmp_lg_u32 s25, 0
	s_subb_u32 s26, s26, s19
	s_sub_u32 s27, s22, s18
	s_cselect_b32 s28, -1, 0
	s_cmp_lg_u32 s28, 0
	s_subb_u32 s26, s26, 0
	s_cmp_ge_u32 s26, s19
	s_cselect_b32 s28, -1, 0
	s_cmp_ge_u32 s27, s18
	s_cselect_b32 s27, -1, 0
	s_cmp_eq_u32 s26, s19
	s_cselect_b32 s26, s27, s28
	s_add_u32 s27, s15, 1
	s_addc_u32 s28, s17, 0
	s_add_u32 s29, s15, 2
	s_addc_u32 s30, s17, 0
	s_cmp_lg_u32 s26, 0
	s_cselect_b32 s26, s29, s27
	s_cselect_b32 s27, s30, s28
	s_cmp_lg_u32 s25, 0
	s_subb_u32 s23, s23, s24
	s_cmp_ge_u32 s23, s19
	s_cselect_b32 s24, -1, 0
	s_cmp_ge_u32 s22, s18
	s_cselect_b32 s18, -1, 0
	s_cmp_eq_u32 s23, s19
	s_cselect_b32 s18, s18, s24
	s_cmp_lg_u32 s18, 0
	s_cselect_b32 s19, s27, s17
	s_cselect_b32 s18, s26, s15
	s_xor_b64 s[20:21], s[20:21], 0
	s_xor_b64 s[18:19], s[18:19], s[20:21]
	s_sub_u32 s18, s18, s20
	s_andn2_b32 vcc_lo, exec_lo, s16
	s_cbranch_vccnz .LBB70_6
.LBB70_5:
	v_cvt_f32_u32_e32 v1, s9
	s_sub_i32 s16, 0, s9
	v_rcp_iflag_f32_e32 v1, v1
	v_mul_f32_e32 v1, 0x4f7ffffe, v1
	v_cvt_u32_f32_e32 v1, v1
	s_waitcnt lgkmcnt(0)
	v_readfirstlane_b32 s15, v1
	s_mul_i32 s16, s16, s15
	s_mul_hi_u32 s16, s15, s16
	s_add_i32 s15, s15, s16
	s_mul_hi_u32 s15, s11, s15
	s_mul_i32 s16, s15, s9
	s_sub_i32 s11, s11, s16
	s_add_i32 s16, s15, 1
	s_sub_i32 s17, s11, s9
	s_cmp_ge_u32 s11, s9
	s_cselect_b32 s15, s16, s15
	s_cselect_b32 s11, s17, s11
	s_add_i32 s16, s15, 1
	s_cmp_ge_u32 s11, s9
	s_cselect_b32 s18, s16, s15
.LBB70_6:
	s_cmp_eq_u32 s10, s18
	s_waitcnt lgkmcnt(0)
	s_mul_hi_u32 s11, s10, s12
	s_cselect_b32 s15, -1, 0
	s_add_i32 s11, s11, s10
	s_lshr_b32 s11, s11, s13
	s_mul_i32 s16, s11, s14
	s_cmp_eq_u32 s16, s10
	s_mul_hi_u32 s16, s18, s12
	s_cselect_b32 s17, -1, 0
	s_add_i32 s16, s16, s18
	s_lshr_b32 s16, s16, s13
	s_cmp_eq_u32 s11, s16
	s_mul_i32 s16, s16, s14
	s_cselect_b32 s19, -1, 0
	s_cmp_lg_u32 s16, s18
	s_cselect_b32 s16, -1, 0
	s_or_b32 s15, s15, s17
	s_and_b32 s16, s19, s16
	s_or_b32 s15, s15, s16
	s_and_b32 vcc_lo, exec_lo, s15
	s_cbranch_vccnz .LBB70_24
; %bb.7:
	s_clause 0x1
	s_load_dwordx8 s[20:27], s[4:5], 0x20
	s_load_dword s16, s[4:5], 0x40
	s_waitcnt lgkmcnt(0)
	s_mul_hi_u32 s15, s10, s20
	s_add_i32 s15, s15, s10
	s_lshr_b32 s15, s15, s21
	s_mul_i32 s17, s15, s22
	s_sub_i32 s17, s10, s17
	s_mul_hi_u32 s18, s17, s23
	s_add_i32 s18, s17, s18
	s_lshr_b32 s21, s18, s24
	s_mul_i32 s18, s21, s25
	s_sub_i32 s17, s17, s18
	;; [unrolled: 5-line block ×3, first 2 shown]
	s_mul_hi_u32 s17, s16, s12
	s_add_i32 s16, s16, s17
	s_lshr_b32 s20, s16, s13
	s_lshl_b32 s16, s20, 1
	s_add_i32 s16, s16, s7
	s_cmp_lt_i32 s16, s0
	s_cselect_b32 s16, -1, 0
	s_add_i32 s22, s22, s8
	s_cmp_lt_i32 s22, s2
	s_cselect_b32 s17, -1, 0
	s_and_b32 s16, s16, s17
	s_andn2_b32 vcc_lo, exec_lo, s16
	s_cbranch_vccnz .LBB70_24
; %bb.8:
	s_load_dwordx4 s[16:19], s[4:5], 0x0
	s_mov_b32 s4, 0
	s_lshl_b32 s24, s9, 3
	s_mov_b32 s25, s4
	s_add_i32 s8, s7, s8
	s_lshl_b64 s[24:25], s[24:25], 2
	s_mul_i32 s0, s15, s0
	s_mul_i32 s21, s21, s2
	v_cvt_f32_u32_e32 v3, s9
	v_rcp_iflag_f32_e32 v3, v3
	s_waitcnt lgkmcnt(0)
	s_add_u32 s2, s18, s24
	s_addc_u32 s15, s19, s25
	s_add_i32 s0, s0, s7
	s_add_i32 s5, s22, s21
	s_mul_i32 s0, s0, s1
	s_mul_i32 s1, s1, s20
	s_add_i32 s0, s5, s0
	s_mulk_i32 s1, 0x90
	s_mulk_i32 s0, 0x48
	v_mul_f32_e32 v7, 0x4f7ffffe, v3
	v_add3_u32 v1, s1, s0, v0
	s_lshl_b32 s0, s6, 1
	s_add_i32 s0, s0, s8
	v_ashrrev_i32_e32 v2, 31, v1
	s_ashr_i32 s1, s0, 31
	s_lshl_b64 s[0:1], s[0:1], 3
	v_lshlrev_b64 v[1:2], 2, v[1:2]
	s_add_u32 s0, s18, s0
	s_addc_u32 s1, s19, s1
	s_load_dwordx2 s[0:1], s[0:1], 0x0
	v_add_co_u32 v1, vcc_lo, s16, v1
	v_add_co_ci_u32_e64 v2, null, s17, v2, vcc_lo
	s_add_i32 s17, s6, -1
	v_mad_u64_u32 v[3:4], null, 0x48, s8, v[0:1]
	global_load_dword v5, v[1:2], off
	v_cvt_u32_f32_e32 v0, v7
	s_sub_i32 s16, 0, s9
	s_waitcnt lgkmcnt(0)
	v_mov_b32_e32 v4, s1
	v_mov_b32_e32 v6, s0
.LBB70_9:                               ; =>This Inner Loop Header: Depth=1
	s_mul_hi_i32 s5, s17, s3
	s_mul_i32 s6, s17, s3
	s_cmp_lg_u64 s[4:5], 0
	s_mov_b32 s7, -1
                                        ; implicit-def: $sgpr0_sgpr1
	s_cbranch_scc0 .LBB70_11
; %bb.10:                               ;   in Loop: Header=BB70_9 Depth=1
	s_add_u32 s0, s9, 0
	s_addc_u32 s1, 0, 0
	s_xor_b64 s[0:1], s[0:1], 0
	v_cvt_f32_u32_e32 v7, s0
	v_cvt_f32_u32_e32 v8, s1
	s_sub_u32 s21, 0, s0
	s_subb_u32 s22, 0, s1
	v_fmac_f32_e32 v7, 0x4f800000, v8
	v_rcp_f32_e32 v7, v7
	v_mul_f32_e32 v7, 0x5f7ffffc, v7
	v_mul_f32_e32 v8, 0x2f800000, v7
	v_trunc_f32_e32 v8, v8
	v_fmac_f32_e32 v7, 0xcf800000, v8
	v_cvt_u32_f32_e32 v8, v8
	v_cvt_u32_f32_e32 v7, v7
	v_readfirstlane_b32 s7, v8
	v_readfirstlane_b32 s20, v7
	s_mul_i32 s23, s21, s7
	s_mul_hi_u32 s25, s21, s20
	s_mul_i32 s24, s22, s20
	s_add_i32 s23, s25, s23
	s_mul_i32 s26, s21, s20
	s_add_i32 s23, s23, s24
	s_mul_hi_u32 s25, s20, s26
	s_mul_i32 s28, s20, s23
	s_mul_hi_u32 s27, s7, s26
	s_mul_i32 s24, s7, s26
	s_mul_hi_u32 s26, s20, s23
	s_add_u32 s25, s25, s28
	s_addc_u32 s26, 0, s26
	s_mul_hi_u32 s29, s7, s23
	s_add_u32 s24, s25, s24
	s_mul_i32 s23, s7, s23
	s_addc_u32 s24, s26, s27
	s_addc_u32 s25, s29, 0
	s_add_u32 s23, s24, s23
	s_addc_u32 s24, 0, s25
	s_add_u32 s20, s20, s23
	s_cselect_b32 s23, -1, 0
	s_mul_hi_u32 s25, s21, s20
	s_cmp_lg_u32 s23, 0
	s_mul_i32 s23, s21, s20
	s_addc_u32 s7, s7, s24
	s_mul_i32 s22, s22, s20
	s_mul_i32 s21, s21, s7
	s_mul_hi_u32 s24, s20, s23
	s_add_i32 s21, s25, s21
	s_mul_hi_u32 s25, s7, s23
	s_add_i32 s21, s21, s22
	s_mul_i32 s22, s7, s23
	s_mul_i32 s27, s20, s21
	s_mul_hi_u32 s26, s20, s21
	s_add_u32 s24, s24, s27
	s_addc_u32 s26, 0, s26
	s_mul_hi_u32 s23, s7, s21
	s_add_u32 s22, s24, s22
	s_mul_i32 s21, s7, s21
	s_addc_u32 s22, s26, s25
	s_addc_u32 s23, s23, 0
	s_add_u32 s21, s22, s21
	s_addc_u32 s22, 0, s23
	s_add_u32 s24, s20, s21
	s_cselect_b32 s20, -1, 0
	s_cmp_lg_u32 s20, 0
	s_addc_u32 s7, s7, s22
	s_ashr_i32 s20, s5, 31
	s_add_u32 s22, s6, s20
	s_mov_b32 s21, s20
	s_addc_u32 s23, s5, s20
	s_xor_b64 s[22:23], s[22:23], s[20:21]
	s_mul_i32 s25, s22, s7
	s_mul_hi_u32 s26, s22, s24
	s_mul_hi_u32 s5, s22, s7
	;; [unrolled: 1-line block ×3, first 2 shown]
	s_mul_i32 s24, s23, s24
	s_add_u32 s25, s26, s25
	s_addc_u32 s5, 0, s5
	s_mul_hi_u32 s27, s23, s7
	s_add_u32 s24, s25, s24
	s_mul_i32 s7, s23, s7
	s_addc_u32 s5, s5, s28
	s_addc_u32 s24, s27, 0
	s_add_u32 s5, s5, s7
	s_addc_u32 s7, 0, s24
	s_mul_hi_u32 s24, s0, s5
	s_mul_i32 s25, s0, s7
	s_mul_i32 s26, s1, s5
	s_add_i32 s24, s24, s25
	s_mul_i32 s25, s0, s5
	s_add_i32 s24, s24, s26
	s_sub_i32 s26, s23, s24
	s_sub_u32 s22, s22, s25
	s_cselect_b32 s25, -1, 0
	s_cmp_lg_u32 s25, 0
	s_subb_u32 s26, s26, s1
	s_sub_u32 s27, s22, s0
	s_cselect_b32 s28, -1, 0
	s_cmp_lg_u32 s28, 0
	s_subb_u32 s26, s26, 0
	s_cmp_ge_u32 s26, s1
	s_cselect_b32 s28, -1, 0
	s_cmp_ge_u32 s27, s0
	s_cselect_b32 s27, -1, 0
	s_cmp_eq_u32 s26, s1
	s_cselect_b32 s26, s27, s28
	s_add_u32 s27, s5, 1
	s_addc_u32 s28, s7, 0
	s_add_u32 s29, s5, 2
	s_addc_u32 s30, s7, 0
	s_cmp_lg_u32 s26, 0
	s_cselect_b32 s26, s29, s27
	s_cselect_b32 s27, s30, s28
	s_cmp_lg_u32 s25, 0
	s_subb_u32 s23, s23, s24
	s_cmp_ge_u32 s23, s1
	s_cselect_b32 s24, -1, 0
	s_cmp_ge_u32 s22, s0
	s_cselect_b32 s0, -1, 0
	s_cmp_eq_u32 s23, s1
	s_cselect_b32 s0, s0, s24
	s_cmp_lg_u32 s0, 0
	s_cselect_b32 s1, s27, s7
	s_cselect_b32 s0, s26, s5
	s_xor_b64 s[20:21], s[20:21], 0
	s_mov_b32 s7, 0
	s_xor_b64 s[0:1], s[0:1], s[20:21]
	s_sub_u32 s0, s0, s20
.LBB70_11:                              ;   in Loop: Header=BB70_9 Depth=1
	s_andn2_b32 vcc_lo, exec_lo, s7
	s_cbranch_vccnz .LBB70_13
; %bb.12:                               ;   in Loop: Header=BB70_9 Depth=1
	v_readfirstlane_b32 s0, v0
	s_mul_i32 s1, s16, s0
	s_mul_hi_u32 s1, s0, s1
	s_add_i32 s0, s0, s1
	s_mul_hi_u32 s0, s6, s0
	s_mul_i32 s1, s0, s9
	s_add_i32 s5, s0, 1
	s_sub_i32 s1, s6, s1
	s_sub_i32 s6, s1, s9
	s_cmp_ge_u32 s1, s9
	s_cselect_b32 s0, s5, s0
	s_cselect_b32 s1, s6, s1
	s_add_i32 s5, s0, 1
	s_cmp_ge_u32 s1, s9
	s_cselect_b32 s0, s5, s0
.LBB70_13:                              ;   in Loop: Header=BB70_9 Depth=1
	s_cmp_lg_u32 s10, s0
	s_mov_b32 s6, -1
                                        ; implicit-def: $sgpr5
                                        ; implicit-def: $vgpr8
                                        ; implicit-def: $vgpr7
                                        ; implicit-def: $vgpr9
                                        ; implicit-def: $sgpr1
                                        ; implicit-def: $sgpr20
	s_cbranch_scc0 .LBB70_18
; %bb.14:                               ;   in Loop: Header=BB70_9 Depth=1
	s_add_i32 s1, s17, s9
	s_mov_b32 s7, s4
	s_lshl_b32 s1, s1, 1
	s_mov_b32 s20, s10
	s_add_i32 s6, s1, s8
	s_mul_hi_u32 s1, s0, s12
	s_lshl_b64 s[6:7], s[6:7], 3
	s_add_u32 s6, s18, s6
	s_addc_u32 s7, s19, s7
	s_add_i32 s1, s1, s0
	s_lshr_b32 s1, s1, s13
	s_mul_i32 s5, s1, s14
	s_cmp_eq_u32 s5, s0
	s_cselect_b32 s5, -1, 0
	s_cmp_lt_u32 s1, s11
	s_cselect_b32 s1, -1, 0
	s_or_b32 s1, s1, s5
	s_mov_b32 s5, -1
	s_and_b32 vcc_lo, exec_lo, s1
	s_mov_b32 s1, s17
	s_cbranch_vccnz .LBB70_16
; %bb.15:                               ;   in Loop: Header=BB70_9 Depth=1
	s_add_i32 s1, s17, -1
	s_mov_b32 s5, 0
	s_mov_b32 s20, s0
.LBB70_16:                              ;   in Loop: Header=BB70_9 Depth=1
	v_mad_u64_u32 v[7:8], null, 0x90, s17, v[3:4]
	s_load_dwordx2 s[6:7], s[6:7], 0x0
	v_ashrrev_i32_e32 v8, 31, v7
	v_lshlrev_b64 v[7:8], 2, v[7:8]
	v_add_co_u32 v7, vcc_lo, s2, v7
	v_add_co_ci_u32_e64 v8, null, s15, v8, vcc_lo
	s_waitcnt lgkmcnt(0)
	v_max_f32_e64 v9, s6, s6
	global_load_dword v8, v[7:8], off
	v_max_f32_e32 v7, v6, v6
	v_max_f32_e32 v7, v7, v9
	v_sub_f32_e32 v9, s6, v7
	v_sub_f32_e32 v10, v6, v7
	v_mul_f32_e32 v11, 0x3fb8aa3b, v9
	v_mul_f32_e32 v12, 0x3fb8aa3b, v10
	v_cmp_ngt_f32_e32 vcc_lo, 0xc2ce8ed0, v9
	v_fma_f32 v13, 0x3fb8aa3b, v9, -v11
	v_rndne_f32_e32 v14, v11
	v_fma_f32 v15, 0x3fb8aa3b, v10, -v12
	v_rndne_f32_e32 v16, v12
	v_fmac_f32_e32 v13, 0x32a5705f, v9
	v_sub_f32_e32 v11, v11, v14
	v_fmac_f32_e32 v15, 0x32a5705f, v10
	v_sub_f32_e32 v12, v12, v16
	v_add_f32_e32 v11, v11, v13
	v_cvt_i32_f32_e32 v13, v14
	v_add_f32_e32 v12, v12, v15
	v_cvt_i32_f32_e32 v14, v16
	v_exp_f32_e32 v11, v11
	v_exp_f32_e32 v12, v12
	v_ldexp_f32 v11, v11, v13
	v_ldexp_f32 v12, v12, v14
	v_cndmask_b32_e32 v11, 0, v11, vcc_lo
	v_cmp_ngt_f32_e32 vcc_lo, 0xc2ce8ed0, v10
	v_cndmask_b32_e32 v12, 0, v12, vcc_lo
	v_cmp_nlt_f32_e32 vcc_lo, 0x42b17218, v9
	v_cndmask_b32_e32 v11, 0x7f800000, v11, vcc_lo
	v_cmp_nlt_f32_e32 vcc_lo, 0x42b17218, v10
	v_cndmask_b32_e32 v12, 0x7f800000, v12, vcc_lo
	v_cmp_le_f32_e32 vcc_lo, 0xc1a00000, v9
	v_cndmask_b32_e32 v9, 0, v11, vcc_lo
	v_cmp_le_f32_e32 vcc_lo, 0xc1a00000, v10
	v_cndmask_b32_e32 v10, 0, v12, vcc_lo
	s_waitcnt vmcnt(0)
	v_mul_f32_e32 v8, v8, v9
	v_mul_f32_e32 v9, s7, v9
	v_fmac_f32_e32 v8, v5, v10
	v_fmac_f32_e32 v9, v4, v10
	s_cbranch_execz .LBB70_19
.LBB70_17:                              ;   in Loop: Header=BB70_9 Depth=1
	s_andn2_b32 vcc_lo, exec_lo, s5
	s_cbranch_vccnz .LBB70_20
	s_branch .LBB70_23
.LBB70_18:                              ;   in Loop: Header=BB70_9 Depth=1
	s_andn2_b32 vcc_lo, exec_lo, s6
	s_cbranch_vccnz .LBB70_17
.LBB70_19:                              ;   in Loop: Header=BB70_9 Depth=1
	v_mov_b32_e32 v9, v4
	v_mov_b32_e32 v7, v6
	s_waitcnt vmcnt(0)
	v_mov_b32_e32 v8, v5
	s_add_i32 s1, s17, -1
	s_mov_b32 s20, s10
	s_cbranch_execz .LBB70_23
.LBB70_20:                              ;   in Loop: Header=BB70_9 Depth=1
	v_mov_b32_e32 v4, v9
	v_mov_b32_e32 v6, v7
	s_waitcnt vmcnt(0)
	v_mov_b32_e32 v5, v8
	s_mov_b32 s10, s20
	s_mov_b32 s17, s1
	s_branch .LBB70_9
.LBB70_21:
                                        ; implicit-def: $sgpr10_sgpr11
	s_load_dwordx4 s[12:15], s[4:5], 0x44
	s_branch .LBB70_2
.LBB70_22:
                                        ; implicit-def: $sgpr18_sgpr19
	s_branch .LBB70_5
.LBB70_23:
	v_div_scale_f32 v0, null, v9, v9, v8
	v_rcp_f32_e32 v3, v0
	v_fma_f32 v4, -v0, v3, 1.0
	v_fmac_f32_e32 v3, v4, v3
	v_div_scale_f32 v4, vcc_lo, v8, v9, v8
	s_waitcnt vmcnt(0)
	v_mul_f32_e32 v5, v4, v3
	v_fma_f32 v6, -v0, v5, v4
	v_fmac_f32_e32 v5, v6, v3
	v_fma_f32 v0, -v0, v5, v4
	v_div_fmas_f32 v0, v0, v3, v5
	v_div_fixup_f32 v0, v0, v9, v8
	global_store_dword v[1:2], v0, off
.LBB70_24:
	s_endpgm
	.section	.rodata,"a",@progbits
	.p2align	6, 0x0
	.amdhsa_kernel _ZL33flash_attn_stream_k_fixup_generalILi72ELi2ELi1EEvPfPK15HIP_vector_typeIfLj2EEiiiiS1_IjLj3EES5_S5_S5_
		.amdhsa_group_segment_fixed_size 0
		.amdhsa_private_segment_fixed_size 0
		.amdhsa_kernarg_size 336
		.amdhsa_user_sgpr_count 6
		.amdhsa_user_sgpr_private_segment_buffer 1
		.amdhsa_user_sgpr_dispatch_ptr 0
		.amdhsa_user_sgpr_queue_ptr 0
		.amdhsa_user_sgpr_kernarg_segment_ptr 1
		.amdhsa_user_sgpr_dispatch_id 0
		.amdhsa_user_sgpr_flat_scratch_init 0
		.amdhsa_user_sgpr_private_segment_size 0
		.amdhsa_wavefront_size32 1
		.amdhsa_uses_dynamic_stack 0
		.amdhsa_system_sgpr_private_segment_wavefront_offset 0
		.amdhsa_system_sgpr_workgroup_id_x 1
		.amdhsa_system_sgpr_workgroup_id_y 1
		.amdhsa_system_sgpr_workgroup_id_z 1
		.amdhsa_system_sgpr_workgroup_info 0
		.amdhsa_system_vgpr_workitem_id 0
		.amdhsa_next_free_vgpr 17
		.amdhsa_next_free_sgpr 31
		.amdhsa_reserve_vcc 1
		.amdhsa_reserve_flat_scratch 0
		.amdhsa_float_round_mode_32 0
		.amdhsa_float_round_mode_16_64 0
		.amdhsa_float_denorm_mode_32 3
		.amdhsa_float_denorm_mode_16_64 3
		.amdhsa_dx10_clamp 1
		.amdhsa_ieee_mode 1
		.amdhsa_fp16_overflow 0
		.amdhsa_workgroup_processor_mode 1
		.amdhsa_memory_ordered 1
		.amdhsa_forward_progress 1
		.amdhsa_shared_vgpr_count 0
		.amdhsa_exception_fp_ieee_invalid_op 0
		.amdhsa_exception_fp_denorm_src 0
		.amdhsa_exception_fp_ieee_div_zero 0
		.amdhsa_exception_fp_ieee_overflow 0
		.amdhsa_exception_fp_ieee_underflow 0
		.amdhsa_exception_fp_ieee_inexact 0
		.amdhsa_exception_int_div_zero 0
	.end_amdhsa_kernel
	.section	.text._ZL33flash_attn_stream_k_fixup_generalILi72ELi2ELi1EEvPfPK15HIP_vector_typeIfLj2EEiiiiS1_IjLj3EES5_S5_S5_,"axG",@progbits,_ZL33flash_attn_stream_k_fixup_generalILi72ELi2ELi1EEvPfPK15HIP_vector_typeIfLj2EEiiiiS1_IjLj3EES5_S5_S5_,comdat
.Lfunc_end70:
	.size	_ZL33flash_attn_stream_k_fixup_generalILi72ELi2ELi1EEvPfPK15HIP_vector_typeIfLj2EEiiiiS1_IjLj3EES5_S5_S5_, .Lfunc_end70-_ZL33flash_attn_stream_k_fixup_generalILi72ELi2ELi1EEvPfPK15HIP_vector_typeIfLj2EEiiiiS1_IjLj3EES5_S5_S5_
                                        ; -- End function
	.set _ZL33flash_attn_stream_k_fixup_generalILi72ELi2ELi1EEvPfPK15HIP_vector_typeIfLj2EEiiiiS1_IjLj3EES5_S5_S5_.num_vgpr, 17
	.set _ZL33flash_attn_stream_k_fixup_generalILi72ELi2ELi1EEvPfPK15HIP_vector_typeIfLj2EEiiiiS1_IjLj3EES5_S5_S5_.num_agpr, 0
	.set _ZL33flash_attn_stream_k_fixup_generalILi72ELi2ELi1EEvPfPK15HIP_vector_typeIfLj2EEiiiiS1_IjLj3EES5_S5_S5_.numbered_sgpr, 31
	.set _ZL33flash_attn_stream_k_fixup_generalILi72ELi2ELi1EEvPfPK15HIP_vector_typeIfLj2EEiiiiS1_IjLj3EES5_S5_S5_.num_named_barrier, 0
	.set _ZL33flash_attn_stream_k_fixup_generalILi72ELi2ELi1EEvPfPK15HIP_vector_typeIfLj2EEiiiiS1_IjLj3EES5_S5_S5_.private_seg_size, 0
	.set _ZL33flash_attn_stream_k_fixup_generalILi72ELi2ELi1EEvPfPK15HIP_vector_typeIfLj2EEiiiiS1_IjLj3EES5_S5_S5_.uses_vcc, 1
	.set _ZL33flash_attn_stream_k_fixup_generalILi72ELi2ELi1EEvPfPK15HIP_vector_typeIfLj2EEiiiiS1_IjLj3EES5_S5_S5_.uses_flat_scratch, 0
	.set _ZL33flash_attn_stream_k_fixup_generalILi72ELi2ELi1EEvPfPK15HIP_vector_typeIfLj2EEiiiiS1_IjLj3EES5_S5_S5_.has_dyn_sized_stack, 0
	.set _ZL33flash_attn_stream_k_fixup_generalILi72ELi2ELi1EEvPfPK15HIP_vector_typeIfLj2EEiiiiS1_IjLj3EES5_S5_S5_.has_recursion, 0
	.set _ZL33flash_attn_stream_k_fixup_generalILi72ELi2ELi1EEvPfPK15HIP_vector_typeIfLj2EEiiiiS1_IjLj3EES5_S5_S5_.has_indirect_call, 0
	.section	.AMDGPU.csdata,"",@progbits
; Kernel info:
; codeLenInByte = 2940
; TotalNumSgprs: 33
; NumVgprs: 17
; ScratchSize: 0
; MemoryBound: 0
; FloatMode: 240
; IeeeMode: 1
; LDSByteSize: 0 bytes/workgroup (compile time only)
; SGPRBlocks: 0
; VGPRBlocks: 2
; NumSGPRsForWavesPerEU: 33
; NumVGPRsForWavesPerEU: 17
; Occupancy: 16
; WaveLimiterHint : 0
; COMPUTE_PGM_RSRC2:SCRATCH_EN: 0
; COMPUTE_PGM_RSRC2:USER_SGPR: 6
; COMPUTE_PGM_RSRC2:TRAP_HANDLER: 0
; COMPUTE_PGM_RSRC2:TGID_X_EN: 1
; COMPUTE_PGM_RSRC2:TGID_Y_EN: 1
; COMPUTE_PGM_RSRC2:TGID_Z_EN: 1
; COMPUTE_PGM_RSRC2:TIDIG_COMP_CNT: 0
	.text
	.p2align	2                               ; -- Begin function __ockl_printf_append_string_n
	.type	__ockl_printf_append_string_n,@function
__ockl_printf_append_string_n:          ; @__ockl_printf_append_string_n
; %bb.0:
	s_waitcnt vmcnt(0) expcnt(0) lgkmcnt(0)
	v_mov_b32_e32 v3, v0
	v_mbcnt_lo_u32_b32 v36, -1, 0
	s_getpc_b64 s[4:5]
	s_add_u32 s4, s4, __FUNCTION__._ZL15flash_attn_tileILi72ELi72ELi8ELi8ELb1EEvPKcS1_S1_S1_S1_PKiPfP15HIP_vector_typeIfLj2EEffffjfiS5_IjLj3EEiiiiiiiiiiiliiliiiiil@rel32@lo+4
	s_addc_u32 s5, s5, __FUNCTION__._ZL15flash_attn_tileILi72ELi72ELi8ELi8ELb1EEvPKcS1_S1_S1_S1_PKiPfP15HIP_vector_typeIfLj2EEffffjfiS5_IjLj3EEiiiiiiiiiiiliiliiiiil@rel32@hi+12
	s_cmp_lg_u64 s[4:5], 0
	s_cbranch_scc0 .LBB71_87
; %bb.1:
	s_load_dwordx2 s[6:7], s[8:9], 0x50
	v_and_b32_e32 v0, -3, v3
	s_getpc_b64 s[4:5]
	s_add_u32 s4, s4, __FUNCTION__._ZL15flash_attn_tileILi72ELi72ELi8ELi8ELb1EEvPKcS1_S1_S1_S1_PKiPfP15HIP_vector_typeIfLj2EEffffjfiS5_IjLj3EEiiiiiiiiiiiliiliiiiil@rel32@lo+4
	s_addc_u32 s5, s5, __FUNCTION__._ZL15flash_attn_tileILi72ELi72ELi8ELi8ELb1EEvPKcS1_S1_S1_S1_PKiPfP15HIP_vector_typeIfLj2EEffffjfiS5_IjLj3EEiiiiiiiiiiiliiliiiiil@rel32@hi+12
	v_mov_b32_e32 v7, v1
	v_mov_b32_e32 v31, s5
	v_and_b32_e32 v2, 2, v3
	v_mov_b32_e32 v11, 0
	v_mov_b32_e32 v30, s4
	;; [unrolled: 1-line block ×5, first 2 shown]
	s_mov_b32 s15, 0
	s_mov_b32 s14, 0
	s_branch .LBB71_3
.LBB71_2:                               ;   in Loop: Header=BB71_3 Depth=1
	s_or_b32 exec_lo, exec_lo, s12
	v_sub_co_u32 v4, vcc_lo, v4, v32
	v_sub_co_ci_u32_e64 v5, null, v5, v33, vcc_lo
	v_add_co_u32 v30, s4, v30, v32
	v_add_co_ci_u32_e64 v31, null, v31, v33, s4
	v_cmp_eq_u64_e32 vcc_lo, 0, v[4:5]
	s_or_b32 s14, vcc_lo, s14
	s_andn2_b32 exec_lo, exec_lo, s14
	s_cbranch_execz .LBB71_85
.LBB71_3:                               ; =>This Loop Header: Depth=1
                                        ;     Child Loop BB71_6 Depth 2
                                        ;     Child Loop BB71_14 Depth 2
	;; [unrolled: 1-line block ×11, first 2 shown]
	v_cmp_gt_u64_e32 vcc_lo, 56, v[4:5]
	s_mov_b32 s5, exec_lo
	v_cndmask_b32_e32 v33, 0, v5, vcc_lo
	v_cndmask_b32_e32 v32, 56, v4, vcc_lo
	v_add_co_u32 v16, vcc_lo, v30, 8
	v_add_co_ci_u32_e64 v17, null, 0, v31, vcc_lo
	v_cmpx_gt_u64_e32 8, v[4:5]
	s_xor_b32 s5, exec_lo, s5
	s_cbranch_execz .LBB71_9
; %bb.4:                                ;   in Loop: Header=BB71_3 Depth=1
	v_mov_b32_e32 v8, 0
	v_mov_b32_e32 v9, 0
	s_mov_b32 s12, exec_lo
	v_cmpx_ne_u64_e32 0, v[4:5]
	s_cbranch_execz .LBB71_8
; %bb.5:                                ;   in Loop: Header=BB71_3 Depth=1
	v_lshlrev_b64 v[14:15], 3, v[32:33]
	v_mov_b32_e32 v8, 0
	v_mov_b32_e32 v15, v30
	;; [unrolled: 1-line block ×4, first 2 shown]
	s_mov_b64 s[10:11], 0
	s_mov_b32 s13, 0
	.p2align	6
.LBB71_6:                               ;   Parent Loop BB71_3 Depth=1
                                        ; =>  This Inner Loop Header: Depth=2
	global_load_ubyte v0, v[15:16], off
	v_mov_b32_e32 v18, s15
	v_add_co_u32 v15, vcc_lo, v15, 1
	v_add_co_ci_u32_e64 v16, null, 0, v16, vcc_lo
	s_waitcnt vmcnt(0)
	v_and_b32_e32 v17, 0xffff, v0
	v_lshlrev_b64 v[17:18], s10, v[17:18]
	s_add_u32 s10, s10, 8
	s_addc_u32 s11, s11, 0
	v_cmp_eq_u32_e64 s4, s10, v14
	v_or_b32_e32 v9, v18, v9
	v_or_b32_e32 v8, v17, v8
	s_or_b32 s13, s4, s13
	s_andn2_b32 exec_lo, exec_lo, s13
	s_cbranch_execnz .LBB71_6
; %bb.7:                                ;   in Loop: Header=BB71_3 Depth=1
	s_or_b32 exec_lo, exec_lo, s13
.LBB71_8:                               ;   in Loop: Header=BB71_3 Depth=1
	s_or_b32 exec_lo, exec_lo, s12
	v_mov_b32_e32 v16, v30
	v_mov_b32_e32 v17, v31
.LBB71_9:                               ;   in Loop: Header=BB71_3 Depth=1
	s_or_saveexec_b32 s4, s5
	v_mov_b32_e32 v0, 0
	s_xor_b32 exec_lo, exec_lo, s4
	s_cbranch_execz .LBB71_11
; %bb.10:                               ;   in Loop: Header=BB71_3 Depth=1
	global_load_dwordx2 v[8:9], v[30:31], off
	v_add_nc_u32_e32 v0, -8, v32
.LBB71_11:                              ;   in Loop: Header=BB71_3 Depth=1
	s_or_b32 exec_lo, exec_lo, s4
	v_add_co_u32 v18, s4, v16, 8
	v_add_co_ci_u32_e64 v19, null, 0, v17, s4
                                        ; implicit-def: $vgpr14_vgpr15
	s_mov_b32 s4, exec_lo
	v_cmpx_gt_u32_e32 8, v0
	s_xor_b32 s12, exec_lo, s4
	s_cbranch_execz .LBB71_17
; %bb.12:                               ;   in Loop: Header=BB71_3 Depth=1
	v_mov_b32_e32 v14, 0
	v_mov_b32_e32 v15, 0
	s_mov_b32 s13, exec_lo
	v_cmpx_ne_u32_e32 0, v0
	s_cbranch_execz .LBB71_16
; %bb.13:                               ;   in Loop: Header=BB71_3 Depth=1
	v_mov_b32_e32 v14, 0
	v_mov_b32_e32 v15, 0
	s_mov_b64 s[4:5], 0
	s_mov_b32 s16, 0
	s_mov_b64 s[10:11], 0
	.p2align	6
.LBB71_14:                              ;   Parent Loop BB71_3 Depth=1
                                        ; =>  This Inner Loop Header: Depth=2
	v_add_co_u32 v18, vcc_lo, v16, s10
	v_add_co_ci_u32_e64 v19, null, s11, v17, vcc_lo
	s_add_u32 s10, s10, 1
	s_addc_u32 s11, s11, 0
	v_cmp_eq_u32_e32 vcc_lo, s10, v0
	global_load_ubyte v10, v[18:19], off
	v_mov_b32_e32 v19, s15
	s_waitcnt vmcnt(0)
	v_and_b32_e32 v18, 0xffff, v10
	v_lshlrev_b64 v[18:19], s4, v[18:19]
	s_add_u32 s4, s4, 8
	s_addc_u32 s5, s5, 0
	s_or_b32 s16, vcc_lo, s16
	v_or_b32_e32 v15, v19, v15
	v_or_b32_e32 v14, v18, v14
	s_andn2_b32 exec_lo, exec_lo, s16
	s_cbranch_execnz .LBB71_14
; %bb.15:                               ;   in Loop: Header=BB71_3 Depth=1
	s_or_b32 exec_lo, exec_lo, s16
.LBB71_16:                              ;   in Loop: Header=BB71_3 Depth=1
	s_or_b32 exec_lo, exec_lo, s13
	v_mov_b32_e32 v19, v17
	v_mov_b32_e32 v18, v16
                                        ; implicit-def: $vgpr0
.LBB71_17:                              ;   in Loop: Header=BB71_3 Depth=1
	s_or_saveexec_b32 s4, s12
	v_mov_b32_e32 v10, 0
	s_xor_b32 exec_lo, exec_lo, s4
	s_cbranch_execz .LBB71_19
; %bb.18:                               ;   in Loop: Header=BB71_3 Depth=1
	global_load_dwordx2 v[14:15], v[16:17], off
	v_add_nc_u32_e32 v10, -8, v0
.LBB71_19:                              ;   in Loop: Header=BB71_3 Depth=1
	s_or_b32 exec_lo, exec_lo, s4
	v_add_co_u32 v20, s4, v18, 8
	v_add_co_ci_u32_e64 v21, null, 0, v19, s4
	s_mov_b32 s4, exec_lo
	v_cmpx_gt_u32_e32 8, v10
	s_xor_b32 s12, exec_lo, s4
	s_cbranch_execz .LBB71_25
; %bb.20:                               ;   in Loop: Header=BB71_3 Depth=1
	v_mov_b32_e32 v16, 0
	v_mov_b32_e32 v17, 0
	s_mov_b32 s13, exec_lo
	v_cmpx_ne_u32_e32 0, v10
	s_cbranch_execz .LBB71_24
; %bb.21:                               ;   in Loop: Header=BB71_3 Depth=1
	v_mov_b32_e32 v16, 0
	v_mov_b32_e32 v17, 0
	s_mov_b64 s[4:5], 0
	s_mov_b32 s16, 0
	s_mov_b64 s[10:11], 0
	.p2align	6
.LBB71_22:                              ;   Parent Loop BB71_3 Depth=1
                                        ; =>  This Inner Loop Header: Depth=2
	v_add_co_u32 v20, vcc_lo, v18, s10
	v_add_co_ci_u32_e64 v21, null, s11, v19, vcc_lo
	s_add_u32 s10, s10, 1
	s_addc_u32 s11, s11, 0
	v_cmp_eq_u32_e32 vcc_lo, s10, v10
	global_load_ubyte v0, v[20:21], off
	v_mov_b32_e32 v21, s15
	s_waitcnt vmcnt(0)
	v_and_b32_e32 v20, 0xffff, v0
	v_lshlrev_b64 v[20:21], s4, v[20:21]
	s_add_u32 s4, s4, 8
	s_addc_u32 s5, s5, 0
	s_or_b32 s16, vcc_lo, s16
	v_or_b32_e32 v17, v21, v17
	v_or_b32_e32 v16, v20, v16
	s_andn2_b32 exec_lo, exec_lo, s16
	s_cbranch_execnz .LBB71_22
; %bb.23:                               ;   in Loop: Header=BB71_3 Depth=1
	s_or_b32 exec_lo, exec_lo, s16
.LBB71_24:                              ;   in Loop: Header=BB71_3 Depth=1
	s_or_b32 exec_lo, exec_lo, s13
	v_mov_b32_e32 v21, v19
	v_mov_b32_e32 v20, v18
                                        ; implicit-def: $vgpr10
.LBB71_25:                              ;   in Loop: Header=BB71_3 Depth=1
	s_or_saveexec_b32 s4, s12
	v_mov_b32_e32 v0, 0
	s_xor_b32 exec_lo, exec_lo, s4
	s_cbranch_execz .LBB71_27
; %bb.26:                               ;   in Loop: Header=BB71_3 Depth=1
	global_load_dwordx2 v[16:17], v[18:19], off
	v_add_nc_u32_e32 v0, -8, v10
.LBB71_27:                              ;   in Loop: Header=BB71_3 Depth=1
	s_or_b32 exec_lo, exec_lo, s4
	v_add_co_u32 v22, s4, v20, 8
	v_add_co_ci_u32_e64 v23, null, 0, v21, s4
                                        ; implicit-def: $vgpr18_vgpr19
	s_mov_b32 s4, exec_lo
	v_cmpx_gt_u32_e32 8, v0
	s_xor_b32 s12, exec_lo, s4
	s_cbranch_execz .LBB71_33
; %bb.28:                               ;   in Loop: Header=BB71_3 Depth=1
	v_mov_b32_e32 v18, 0
	v_mov_b32_e32 v19, 0
	s_mov_b32 s13, exec_lo
	v_cmpx_ne_u32_e32 0, v0
	s_cbranch_execz .LBB71_32
; %bb.29:                               ;   in Loop: Header=BB71_3 Depth=1
	v_mov_b32_e32 v18, 0
	v_mov_b32_e32 v19, 0
	s_mov_b64 s[4:5], 0
	s_mov_b32 s16, 0
	s_mov_b64 s[10:11], 0
	.p2align	6
.LBB71_30:                              ;   Parent Loop BB71_3 Depth=1
                                        ; =>  This Inner Loop Header: Depth=2
	v_add_co_u32 v22, vcc_lo, v20, s10
	v_add_co_ci_u32_e64 v23, null, s11, v21, vcc_lo
	s_add_u32 s10, s10, 1
	s_addc_u32 s11, s11, 0
	v_cmp_eq_u32_e32 vcc_lo, s10, v0
	global_load_ubyte v10, v[22:23], off
	v_mov_b32_e32 v23, s15
	s_waitcnt vmcnt(0)
	v_and_b32_e32 v22, 0xffff, v10
	v_lshlrev_b64 v[22:23], s4, v[22:23]
	s_add_u32 s4, s4, 8
	s_addc_u32 s5, s5, 0
	s_or_b32 s16, vcc_lo, s16
	v_or_b32_e32 v19, v23, v19
	v_or_b32_e32 v18, v22, v18
	s_andn2_b32 exec_lo, exec_lo, s16
	s_cbranch_execnz .LBB71_30
; %bb.31:                               ;   in Loop: Header=BB71_3 Depth=1
	s_or_b32 exec_lo, exec_lo, s16
.LBB71_32:                              ;   in Loop: Header=BB71_3 Depth=1
	s_or_b32 exec_lo, exec_lo, s13
	v_mov_b32_e32 v23, v21
	v_mov_b32_e32 v22, v20
                                        ; implicit-def: $vgpr0
.LBB71_33:                              ;   in Loop: Header=BB71_3 Depth=1
	s_or_saveexec_b32 s4, s12
	v_mov_b32_e32 v10, 0
	s_xor_b32 exec_lo, exec_lo, s4
	s_cbranch_execz .LBB71_35
; %bb.34:                               ;   in Loop: Header=BB71_3 Depth=1
	global_load_dwordx2 v[18:19], v[20:21], off
	v_add_nc_u32_e32 v10, -8, v0
.LBB71_35:                              ;   in Loop: Header=BB71_3 Depth=1
	s_or_b32 exec_lo, exec_lo, s4
	v_add_co_u32 v24, s4, v22, 8
	v_add_co_ci_u32_e64 v25, null, 0, v23, s4
	s_mov_b32 s4, exec_lo
	v_cmpx_gt_u32_e32 8, v10
	s_xor_b32 s12, exec_lo, s4
	s_cbranch_execz .LBB71_41
; %bb.36:                               ;   in Loop: Header=BB71_3 Depth=1
	v_mov_b32_e32 v20, 0
	v_mov_b32_e32 v21, 0
	s_mov_b32 s13, exec_lo
	v_cmpx_ne_u32_e32 0, v10
	s_cbranch_execz .LBB71_40
; %bb.37:                               ;   in Loop: Header=BB71_3 Depth=1
	v_mov_b32_e32 v20, 0
	v_mov_b32_e32 v21, 0
	s_mov_b64 s[4:5], 0
	s_mov_b32 s16, 0
	s_mov_b64 s[10:11], 0
	.p2align	6
.LBB71_38:                              ;   Parent Loop BB71_3 Depth=1
                                        ; =>  This Inner Loop Header: Depth=2
	v_add_co_u32 v24, vcc_lo, v22, s10
	v_add_co_ci_u32_e64 v25, null, s11, v23, vcc_lo
	s_add_u32 s10, s10, 1
	s_addc_u32 s11, s11, 0
	v_cmp_eq_u32_e32 vcc_lo, s10, v10
	global_load_ubyte v0, v[24:25], off
	v_mov_b32_e32 v25, s15
	s_waitcnt vmcnt(0)
	v_and_b32_e32 v24, 0xffff, v0
	v_lshlrev_b64 v[24:25], s4, v[24:25]
	s_add_u32 s4, s4, 8
	s_addc_u32 s5, s5, 0
	s_or_b32 s16, vcc_lo, s16
	v_or_b32_e32 v21, v25, v21
	v_or_b32_e32 v20, v24, v20
	s_andn2_b32 exec_lo, exec_lo, s16
	s_cbranch_execnz .LBB71_38
; %bb.39:                               ;   in Loop: Header=BB71_3 Depth=1
	s_or_b32 exec_lo, exec_lo, s16
.LBB71_40:                              ;   in Loop: Header=BB71_3 Depth=1
	s_or_b32 exec_lo, exec_lo, s13
	v_mov_b32_e32 v25, v23
	v_mov_b32_e32 v24, v22
                                        ; implicit-def: $vgpr10
.LBB71_41:                              ;   in Loop: Header=BB71_3 Depth=1
	s_or_saveexec_b32 s4, s12
	v_mov_b32_e32 v0, 0
	s_xor_b32 exec_lo, exec_lo, s4
	s_cbranch_execz .LBB71_43
; %bb.42:                               ;   in Loop: Header=BB71_3 Depth=1
	global_load_dwordx2 v[20:21], v[22:23], off
	v_add_nc_u32_e32 v0, -8, v10
.LBB71_43:                              ;   in Loop: Header=BB71_3 Depth=1
	s_or_b32 exec_lo, exec_lo, s4
	v_add_co_u32 v26, s4, v24, 8
	v_add_co_ci_u32_e64 v27, null, 0, v25, s4
                                        ; implicit-def: $vgpr22_vgpr23
	s_mov_b32 s4, exec_lo
	v_cmpx_gt_u32_e32 8, v0
	s_xor_b32 s12, exec_lo, s4
	s_cbranch_execz .LBB71_49
; %bb.44:                               ;   in Loop: Header=BB71_3 Depth=1
	v_mov_b32_e32 v22, 0
	v_mov_b32_e32 v23, 0
	s_mov_b32 s13, exec_lo
	v_cmpx_ne_u32_e32 0, v0
	s_cbranch_execz .LBB71_48
; %bb.45:                               ;   in Loop: Header=BB71_3 Depth=1
	v_mov_b32_e32 v22, 0
	v_mov_b32_e32 v23, 0
	s_mov_b64 s[4:5], 0
	s_mov_b32 s16, 0
	s_mov_b64 s[10:11], 0
	.p2align	6
.LBB71_46:                              ;   Parent Loop BB71_3 Depth=1
                                        ; =>  This Inner Loop Header: Depth=2
	v_add_co_u32 v26, vcc_lo, v24, s10
	v_add_co_ci_u32_e64 v27, null, s11, v25, vcc_lo
	s_add_u32 s10, s10, 1
	s_addc_u32 s11, s11, 0
	v_cmp_eq_u32_e32 vcc_lo, s10, v0
	global_load_ubyte v10, v[26:27], off
	v_mov_b32_e32 v27, s15
	s_waitcnt vmcnt(0)
	v_and_b32_e32 v26, 0xffff, v10
	v_lshlrev_b64 v[26:27], s4, v[26:27]
	s_add_u32 s4, s4, 8
	s_addc_u32 s5, s5, 0
	s_or_b32 s16, vcc_lo, s16
	v_or_b32_e32 v23, v27, v23
	v_or_b32_e32 v22, v26, v22
	s_andn2_b32 exec_lo, exec_lo, s16
	s_cbranch_execnz .LBB71_46
; %bb.47:                               ;   in Loop: Header=BB71_3 Depth=1
	s_or_b32 exec_lo, exec_lo, s16
.LBB71_48:                              ;   in Loop: Header=BB71_3 Depth=1
	s_or_b32 exec_lo, exec_lo, s13
	v_mov_b32_e32 v27, v25
	v_mov_b32_e32 v26, v24
                                        ; implicit-def: $vgpr0
.LBB71_49:                              ;   in Loop: Header=BB71_3 Depth=1
	s_or_saveexec_b32 s4, s12
	v_mov_b32_e32 v10, 0
	s_xor_b32 exec_lo, exec_lo, s4
	s_cbranch_execz .LBB71_51
; %bb.50:                               ;   in Loop: Header=BB71_3 Depth=1
	global_load_dwordx2 v[22:23], v[24:25], off
	v_add_nc_u32_e32 v10, -8, v0
.LBB71_51:                              ;   in Loop: Header=BB71_3 Depth=1
	s_or_b32 exec_lo, exec_lo, s4
	s_mov_b32 s4, exec_lo
	v_cmpx_gt_u32_e32 8, v10
	s_xor_b32 s10, exec_lo, s4
	s_cbranch_execz .LBB71_57
; %bb.52:                               ;   in Loop: Header=BB71_3 Depth=1
	v_mov_b32_e32 v24, 0
	v_mov_b32_e32 v25, 0
	s_mov_b32 s11, exec_lo
	v_cmpx_ne_u32_e32 0, v10
	s_cbranch_execz .LBB71_56
; %bb.53:                               ;   in Loop: Header=BB71_3 Depth=1
	v_mov_b32_e32 v24, 0
	v_mov_b32_e32 v25, 0
	s_mov_b64 s[4:5], 0
	s_mov_b32 s12, 0
	.p2align	6
.LBB71_54:                              ;   Parent Loop BB71_3 Depth=1
                                        ; =>  This Inner Loop Header: Depth=2
	global_load_ubyte v0, v[26:27], off
	v_mov_b32_e32 v29, s15
	v_add_nc_u32_e32 v10, -1, v10
	v_add_co_u32 v26, vcc_lo, v26, 1
	v_add_co_ci_u32_e64 v27, null, 0, v27, vcc_lo
	v_cmp_eq_u32_e32 vcc_lo, 0, v10
	s_waitcnt vmcnt(0)
	v_and_b32_e32 v28, 0xffff, v0
	v_lshlrev_b64 v[28:29], s4, v[28:29]
	s_add_u32 s4, s4, 8
	s_addc_u32 s5, s5, 0
	s_or_b32 s12, vcc_lo, s12
	v_or_b32_e32 v25, v29, v25
	v_or_b32_e32 v24, v28, v24
	s_andn2_b32 exec_lo, exec_lo, s12
	s_cbranch_execnz .LBB71_54
; %bb.55:                               ;   in Loop: Header=BB71_3 Depth=1
	s_or_b32 exec_lo, exec_lo, s12
.LBB71_56:                              ;   in Loop: Header=BB71_3 Depth=1
	s_or_b32 exec_lo, exec_lo, s11
                                        ; implicit-def: $vgpr26_vgpr27
.LBB71_57:                              ;   in Loop: Header=BB71_3 Depth=1
	s_andn2_saveexec_b32 s4, s10
	s_cbranch_execz .LBB71_59
; %bb.58:                               ;   in Loop: Header=BB71_3 Depth=1
	global_load_dwordx2 v[24:25], v[26:27], off
.LBB71_59:                              ;   in Loop: Header=BB71_3 Depth=1
	s_or_b32 exec_lo, exec_lo, s4
	v_readfirstlane_b32 s4, v36
	v_mov_b32_e32 v34, 0
	v_mov_b32_e32 v35, 0
	v_cmp_eq_u32_e64 s4, s4, v36
	s_and_saveexec_b32 s5, s4
	s_cbranch_execz .LBB71_65
; %bb.60:                               ;   in Loop: Header=BB71_3 Depth=1
	s_waitcnt lgkmcnt(0)
	global_load_dwordx2 v[28:29], v11, s[6:7] offset:24 glc dlc
	s_waitcnt vmcnt(0)
	buffer_gl1_inv
	buffer_gl0_inv
	s_clause 0x1
	global_load_dwordx2 v[26:27], v11, s[6:7] offset:40
	global_load_dwordx2 v[34:35], v11, s[6:7]
	s_mov_b32 s10, exec_lo
	s_waitcnt vmcnt(1)
	v_and_b32_e32 v0, v27, v29
	v_and_b32_e32 v10, v26, v28
	v_mul_lo_u32 v0, v0, 24
	v_mul_hi_u32 v26, v10, 24
	v_mul_lo_u32 v10, v10, 24
	v_add_nc_u32_e32 v0, v26, v0
	s_waitcnt vmcnt(0)
	v_add_co_u32 v26, vcc_lo, v34, v10
	v_add_co_ci_u32_e64 v27, null, v35, v0, vcc_lo
	global_load_dwordx2 v[26:27], v[26:27], off glc dlc
	s_waitcnt vmcnt(0)
	global_atomic_cmpswap_x2 v[34:35], v11, v[26:29], s[6:7] offset:24 glc
	s_waitcnt vmcnt(0)
	buffer_gl1_inv
	buffer_gl0_inv
	v_cmpx_ne_u64_e64 v[34:35], v[28:29]
	s_cbranch_execz .LBB71_64
; %bb.61:                               ;   in Loop: Header=BB71_3 Depth=1
	s_mov_b32 s11, 0
	.p2align	6
.LBB71_62:                              ;   Parent Loop BB71_3 Depth=1
                                        ; =>  This Inner Loop Header: Depth=2
	s_sleep 1
	s_clause 0x1
	global_load_dwordx2 v[26:27], v11, s[6:7] offset:40
	global_load_dwordx2 v[37:38], v11, s[6:7]
	v_mov_b32_e32 v28, v34
	v_mov_b32_e32 v29, v35
	s_waitcnt vmcnt(1)
	v_and_b32_e32 v0, v26, v28
	v_and_b32_e32 v10, v27, v29
	s_waitcnt vmcnt(0)
	v_mad_u64_u32 v[34:35], null, v0, 24, v[37:38]
	v_mov_b32_e32 v0, v35
	v_mad_u64_u32 v[26:27], null, v10, 24, v[0:1]
	v_mov_b32_e32 v35, v26
	global_load_dwordx2 v[26:27], v[34:35], off glc dlc
	s_waitcnt vmcnt(0)
	global_atomic_cmpswap_x2 v[34:35], v11, v[26:29], s[6:7] offset:24 glc
	s_waitcnt vmcnt(0)
	buffer_gl1_inv
	buffer_gl0_inv
	v_cmp_eq_u64_e32 vcc_lo, v[34:35], v[28:29]
	s_or_b32 s11, vcc_lo, s11
	s_andn2_b32 exec_lo, exec_lo, s11
	s_cbranch_execnz .LBB71_62
; %bb.63:                               ;   in Loop: Header=BB71_3 Depth=1
	s_or_b32 exec_lo, exec_lo, s11
.LBB71_64:                              ;   in Loop: Header=BB71_3 Depth=1
	s_or_b32 exec_lo, exec_lo, s10
.LBB71_65:                              ;   in Loop: Header=BB71_3 Depth=1
	s_or_b32 exec_lo, exec_lo, s5
	s_waitcnt lgkmcnt(0)
	s_clause 0x1
	global_load_dwordx2 v[37:38], v11, s[6:7] offset:40
	global_load_dwordx4 v[26:29], v11, s[6:7]
	v_readfirstlane_b32 s11, v35
	v_readfirstlane_b32 s10, v34
	s_mov_b32 s5, exec_lo
	s_waitcnt vmcnt(1)
	v_readfirstlane_b32 s12, v37
	v_readfirstlane_b32 s13, v38
	s_and_b64 s[12:13], s[12:13], s[10:11]
	s_mul_i32 s16, s13, 24
	s_mul_hi_u32 s17, s12, 24
	s_mul_i32 s18, s12, 24
	s_add_i32 s17, s17, s16
	s_waitcnt vmcnt(0)
	v_add_co_u32 v34, vcc_lo, v26, s18
	v_add_co_ci_u32_e64 v35, null, s17, v27, vcc_lo
	s_and_saveexec_b32 s16, s4
	s_cbranch_execz .LBB71_67
; %bb.66:                               ;   in Loop: Header=BB71_3 Depth=1
	v_mov_b32_e32 v10, s5
	global_store_dwordx4 v[34:35], v[10:13], off offset:8
.LBB71_67:                              ;   in Loop: Header=BB71_3 Depth=1
	s_or_b32 exec_lo, exec_lo, s16
	v_cmp_gt_u64_e32 vcc_lo, 57, v[4:5]
	s_lshl_b64 s[12:13], s[12:13], 12
	v_and_b32_e32 v6, 0xffffff1f, v6
	v_lshl_add_u32 v37, v32, 2, 28
	v_cndmask_b32_e32 v10, 0, v2, vcc_lo
	v_add_co_u32 v0, vcc_lo, v28, s12
	v_add_co_ci_u32_e64 v28, null, s13, v29, vcc_lo
	v_or_b32_e32 v6, v6, v10
	v_lshlrev_b32_e32 v29, 6, v36
	v_readfirstlane_b32 s12, v0
	v_readfirstlane_b32 s13, v28
	v_and_or_b32 v6, 0x1e0, v37, v6
	global_store_dwordx4 v29, v[14:17], s[12:13] offset:16
	global_store_dwordx4 v29, v[6:9], s[12:13]
	global_store_dwordx4 v29, v[18:21], s[12:13] offset:32
	global_store_dwordx4 v29, v[22:25], s[12:13] offset:48
	s_and_saveexec_b32 s5, s4
	s_cbranch_execz .LBB71_75
; %bb.68:                               ;   in Loop: Header=BB71_3 Depth=1
	s_clause 0x1
	global_load_dwordx2 v[18:19], v11, s[6:7] offset:32 glc dlc
	global_load_dwordx2 v[6:7], v11, s[6:7] offset:40
	v_mov_b32_e32 v16, s10
	v_mov_b32_e32 v17, s11
	s_waitcnt vmcnt(0)
	v_readfirstlane_b32 s12, v6
	v_readfirstlane_b32 s13, v7
	s_and_b64 s[12:13], s[12:13], s[10:11]
	s_mul_i32 s13, s13, 24
	s_mul_hi_u32 s16, s12, 24
	s_mul_i32 s12, s12, 24
	s_add_i32 s16, s16, s13
	v_add_co_u32 v14, vcc_lo, v26, s12
	v_add_co_ci_u32_e64 v15, null, s16, v27, vcc_lo
	s_mov_b32 s12, exec_lo
	global_store_dwordx2 v[14:15], v[18:19], off
	s_waitcnt_vscnt null, 0x0
	global_atomic_cmpswap_x2 v[8:9], v11, v[16:19], s[6:7] offset:32 glc
	s_waitcnt vmcnt(0)
	v_cmpx_ne_u64_e64 v[8:9], v[18:19]
	s_cbranch_execz .LBB71_71
; %bb.69:                               ;   in Loop: Header=BB71_3 Depth=1
	s_mov_b32 s13, 0
.LBB71_70:                              ;   Parent Loop BB71_3 Depth=1
                                        ; =>  This Inner Loop Header: Depth=2
	v_mov_b32_e32 v6, s10
	v_mov_b32_e32 v7, s11
	s_sleep 1
	global_store_dwordx2 v[14:15], v[8:9], off
	s_waitcnt_vscnt null, 0x0
	global_atomic_cmpswap_x2 v[6:7], v11, v[6:9], s[6:7] offset:32 glc
	s_waitcnt vmcnt(0)
	v_cmp_eq_u64_e32 vcc_lo, v[6:7], v[8:9]
	v_mov_b32_e32 v9, v7
	v_mov_b32_e32 v8, v6
	s_or_b32 s13, vcc_lo, s13
	s_andn2_b32 exec_lo, exec_lo, s13
	s_cbranch_execnz .LBB71_70
.LBB71_71:                              ;   in Loop: Header=BB71_3 Depth=1
	s_or_b32 exec_lo, exec_lo, s12
	global_load_dwordx2 v[6:7], v11, s[6:7] offset:16
	s_mov_b32 s13, exec_lo
	s_mov_b32 s12, exec_lo
	v_mbcnt_lo_u32_b32 v8, s13, 0
	v_cmpx_eq_u32_e32 0, v8
	s_cbranch_execz .LBB71_73
; %bb.72:                               ;   in Loop: Header=BB71_3 Depth=1
	s_bcnt1_i32_b32 s13, s13
	v_mov_b32_e32 v10, s13
	s_waitcnt vmcnt(0)
	global_atomic_add_x2 v[6:7], v[10:11], off offset:8
.LBB71_73:                              ;   in Loop: Header=BB71_3 Depth=1
	s_or_b32 exec_lo, exec_lo, s12
	s_waitcnt vmcnt(0)
	global_load_dwordx2 v[8:9], v[6:7], off offset:16
	s_waitcnt vmcnt(0)
	v_cmp_eq_u64_e32 vcc_lo, 0, v[8:9]
	s_cbranch_vccnz .LBB71_75
; %bb.74:                               ;   in Loop: Header=BB71_3 Depth=1
	global_load_dword v10, v[6:7], off offset:24
	s_waitcnt vmcnt(0)
	v_readfirstlane_b32 s12, v10
	s_waitcnt_vscnt null, 0x0
	global_store_dwordx2 v[8:9], v[10:11], off
	s_and_b32 m0, s12, 0x7fffff
	s_sendmsg sendmsg(MSG_INTERRUPT)
.LBB71_75:                              ;   in Loop: Header=BB71_3 Depth=1
	s_or_b32 exec_lo, exec_lo, s5
	v_add_co_u32 v6, vcc_lo, v0, v29
	v_add_co_ci_u32_e64 v7, null, 0, v28, vcc_lo
	s_branch .LBB71_79
	.p2align	6
.LBB71_76:                              ;   in Loop: Header=BB71_79 Depth=2
	s_or_b32 exec_lo, exec_lo, s5
	v_readfirstlane_b32 s5, v0
	s_cmp_eq_u32 s5, 0
	s_cbranch_scc1 .LBB71_78
; %bb.77:                               ;   in Loop: Header=BB71_79 Depth=2
	s_sleep 1
	s_cbranch_execnz .LBB71_79
	s_branch .LBB71_81
	.p2align	6
.LBB71_78:                              ;   in Loop: Header=BB71_3 Depth=1
	s_branch .LBB71_81
.LBB71_79:                              ;   Parent Loop BB71_3 Depth=1
                                        ; =>  This Inner Loop Header: Depth=2
	v_mov_b32_e32 v0, 1
	s_and_saveexec_b32 s5, s4
	s_cbranch_execz .LBB71_76
; %bb.80:                               ;   in Loop: Header=BB71_79 Depth=2
	global_load_dword v0, v[34:35], off offset:20 glc dlc
	s_waitcnt vmcnt(0)
	buffer_gl1_inv
	buffer_gl0_inv
	v_and_b32_e32 v0, 1, v0
	s_branch .LBB71_76
.LBB71_81:                              ;   in Loop: Header=BB71_3 Depth=1
	global_load_dwordx2 v[6:7], v[6:7], off
	s_and_saveexec_b32 s12, s4
	s_cbranch_execz .LBB71_2
; %bb.82:                               ;   in Loop: Header=BB71_3 Depth=1
	s_clause 0x2
	global_load_dwordx2 v[8:9], v11, s[6:7] offset:40
	global_load_dwordx2 v[18:19], v11, s[6:7] offset:24 glc dlc
	global_load_dwordx2 v[14:15], v11, s[6:7]
	s_waitcnt vmcnt(2)
	v_readfirstlane_b32 s16, v8
	v_readfirstlane_b32 s17, v9
	s_add_u32 s13, s16, 1
	s_addc_u32 s18, s17, 0
	s_add_u32 s4, s13, s10
	s_addc_u32 s5, s18, s11
	s_cmp_eq_u64 s[4:5], 0
	s_cselect_b32 s5, s18, s5
	s_cselect_b32 s4, s13, s4
	v_mov_b32_e32 v17, s5
	s_and_b64 s[10:11], s[4:5], s[16:17]
	v_mov_b32_e32 v16, s4
	s_mul_i32 s11, s11, 24
	s_mul_hi_u32 s13, s10, 24
	s_mul_i32 s10, s10, 24
	s_add_i32 s13, s13, s11
	s_waitcnt vmcnt(0)
	v_add_co_u32 v8, vcc_lo, v14, s10
	v_add_co_ci_u32_e64 v9, null, s13, v15, vcc_lo
	global_store_dwordx2 v[8:9], v[18:19], off
	s_waitcnt_vscnt null, 0x0
	global_atomic_cmpswap_x2 v[16:17], v11, v[16:19], s[6:7] offset:24 glc
	s_waitcnt vmcnt(0)
	v_cmp_ne_u64_e32 vcc_lo, v[16:17], v[18:19]
	s_and_b32 exec_lo, exec_lo, vcc_lo
	s_cbranch_execz .LBB71_2
; %bb.83:                               ;   in Loop: Header=BB71_3 Depth=1
	s_mov_b32 s10, 0
.LBB71_84:                              ;   Parent Loop BB71_3 Depth=1
                                        ; =>  This Inner Loop Header: Depth=2
	v_mov_b32_e32 v14, s4
	v_mov_b32_e32 v15, s5
	s_sleep 1
	global_store_dwordx2 v[8:9], v[16:17], off
	s_waitcnt_vscnt null, 0x0
	global_atomic_cmpswap_x2 v[14:15], v11, v[14:17], s[6:7] offset:24 glc
	s_waitcnt vmcnt(0)
	v_cmp_eq_u64_e32 vcc_lo, v[14:15], v[16:17]
	v_mov_b32_e32 v17, v15
	v_mov_b32_e32 v16, v14
	s_or_b32 s10, vcc_lo, s10
	s_andn2_b32 exec_lo, exec_lo, s10
	s_cbranch_execnz .LBB71_84
	s_branch .LBB71_2
.LBB71_85:
	s_or_b32 exec_lo, exec_lo, s14
.LBB71_86:
	s_waitcnt vmcnt(0)
	v_mov_b32_e32 v0, v6
	v_mov_b32_e32 v1, v7
	s_waitcnt lgkmcnt(0)
	s_setpc_b64 s[30:31]
.LBB71_87:
                                        ; implicit-def: $vgpr6_vgpr7
	s_cbranch_execz .LBB71_86
; %bb.88:
	s_load_dwordx2 s[6:7], s[8:9], 0x50
	v_readfirstlane_b32 s4, v36
	v_mov_b32_e32 v8, 0
	v_mov_b32_e32 v9, 0
	v_cmp_eq_u32_e64 s4, s4, v36
	s_and_saveexec_b32 s5, s4
	s_cbranch_execz .LBB71_94
; %bb.89:
	v_mov_b32_e32 v0, 0
	s_mov_b32 s8, exec_lo
	s_waitcnt lgkmcnt(0)
	global_load_dwordx2 v[6:7], v0, s[6:7] offset:24 glc dlc
	s_waitcnt vmcnt(0)
	buffer_gl1_inv
	buffer_gl0_inv
	s_clause 0x1
	global_load_dwordx2 v[4:5], v0, s[6:7] offset:40
	global_load_dwordx2 v[8:9], v0, s[6:7]
	s_waitcnt vmcnt(1)
	v_and_b32_e32 v2, v5, v7
	v_and_b32_e32 v4, v4, v6
	v_mul_lo_u32 v2, v2, 24
	v_mul_hi_u32 v5, v4, 24
	v_mul_lo_u32 v4, v4, 24
	v_add_nc_u32_e32 v2, v5, v2
	s_waitcnt vmcnt(0)
	v_add_co_u32 v4, vcc_lo, v8, v4
	v_add_co_ci_u32_e64 v5, null, v9, v2, vcc_lo
	global_load_dwordx2 v[4:5], v[4:5], off glc dlc
	s_waitcnt vmcnt(0)
	global_atomic_cmpswap_x2 v[8:9], v0, v[4:7], s[6:7] offset:24 glc
	s_waitcnt vmcnt(0)
	buffer_gl1_inv
	buffer_gl0_inv
	v_cmpx_ne_u64_e64 v[8:9], v[6:7]
	s_cbranch_execz .LBB71_93
; %bb.90:
	s_mov_b32 s9, 0
	.p2align	6
.LBB71_91:                              ; =>This Inner Loop Header: Depth=1
	s_sleep 1
	s_clause 0x1
	global_load_dwordx2 v[4:5], v0, s[6:7] offset:40
	global_load_dwordx2 v[10:11], v0, s[6:7]
	v_mov_b32_e32 v6, v8
	v_mov_b32_e32 v7, v9
	s_waitcnt vmcnt(1)
	v_and_b32_e32 v2, v4, v6
	v_and_b32_e32 v4, v5, v7
	s_waitcnt vmcnt(0)
	v_mad_u64_u32 v[8:9], null, v2, 24, v[10:11]
	v_mov_b32_e32 v2, v9
	v_mad_u64_u32 v[4:5], null, v4, 24, v[2:3]
	v_mov_b32_e32 v9, v4
	global_load_dwordx2 v[4:5], v[8:9], off glc dlc
	s_waitcnt vmcnt(0)
	global_atomic_cmpswap_x2 v[8:9], v0, v[4:7], s[6:7] offset:24 glc
	s_waitcnt vmcnt(0)
	buffer_gl1_inv
	buffer_gl0_inv
	v_cmp_eq_u64_e32 vcc_lo, v[8:9], v[6:7]
	s_or_b32 s9, vcc_lo, s9
	s_andn2_b32 exec_lo, exec_lo, s9
	s_cbranch_execnz .LBB71_91
; %bb.92:
	s_or_b32 exec_lo, exec_lo, s9
.LBB71_93:
	s_or_b32 exec_lo, exec_lo, s8
.LBB71_94:
	s_or_b32 exec_lo, exec_lo, s5
	v_mov_b32_e32 v2, 0
	v_readfirstlane_b32 s9, v9
	v_readfirstlane_b32 s8, v8
	s_mov_b32 s5, exec_lo
	s_waitcnt lgkmcnt(0)
	s_clause 0x1
	global_load_dwordx2 v[10:11], v2, s[6:7] offset:40
	global_load_dwordx4 v[4:7], v2, s[6:7]
	s_waitcnt vmcnt(1)
	v_readfirstlane_b32 s10, v10
	v_readfirstlane_b32 s11, v11
	s_and_b64 s[10:11], s[10:11], s[8:9]
	s_mul_i32 s12, s11, 24
	s_mul_hi_u32 s13, s10, 24
	s_mul_i32 s14, s10, 24
	s_add_i32 s13, s13, s12
	s_waitcnt vmcnt(0)
	v_add_co_u32 v8, vcc_lo, v4, s14
	v_add_co_ci_u32_e64 v9, null, s13, v5, vcc_lo
	s_and_saveexec_b32 s12, s4
	s_cbranch_execz .LBB71_96
; %bb.95:
	v_mov_b32_e32 v10, s5
	v_mov_b32_e32 v11, v2
	;; [unrolled: 1-line block ×4, first 2 shown]
	global_store_dwordx4 v[8:9], v[10:13], off offset:8
.LBB71_96:
	s_or_b32 exec_lo, exec_lo, s12
	s_lshl_b64 s[10:11], s[10:11], 12
	v_lshlrev_b32_e32 v14, 6, v36
	v_add_co_u32 v6, vcc_lo, v6, s10
	v_add_co_ci_u32_e64 v7, null, s11, v7, vcc_lo
	s_mov_b32 s12, 0
	v_readfirstlane_b32 s10, v6
	v_add_co_u32 v6, vcc_lo, v6, v14
	s_mov_b32 s13, s12
	s_mov_b32 s14, s12
	;; [unrolled: 1-line block ×3, first 2 shown]
	v_and_or_b32 v0, 0xffffff1f, v3, 32
	v_mov_b32_e32 v3, v2
	v_readfirstlane_b32 s11, v7
	v_mov_b32_e32 v10, s12
	v_add_co_ci_u32_e64 v7, null, 0, v7, vcc_lo
	v_mov_b32_e32 v11, s13
	v_mov_b32_e32 v12, s14
	;; [unrolled: 1-line block ×3, first 2 shown]
	global_store_dwordx4 v14, v[0:3], s[10:11]
	global_store_dwordx4 v14, v[10:13], s[10:11] offset:16
	global_store_dwordx4 v14, v[10:13], s[10:11] offset:32
	global_store_dwordx4 v14, v[10:13], s[10:11] offset:48
	s_and_saveexec_b32 s5, s4
	s_cbranch_execz .LBB71_104
; %bb.97:
	v_mov_b32_e32 v10, 0
	v_mov_b32_e32 v11, s8
	;; [unrolled: 1-line block ×3, first 2 shown]
	s_mov_b32 s10, exec_lo
	s_clause 0x1
	global_load_dwordx2 v[13:14], v10, s[6:7] offset:32 glc dlc
	global_load_dwordx2 v[0:1], v10, s[6:7] offset:40
	s_waitcnt vmcnt(0)
	v_and_b32_e32 v1, s9, v1
	v_and_b32_e32 v0, s8, v0
	v_mul_lo_u32 v1, v1, 24
	v_mul_hi_u32 v2, v0, 24
	v_mul_lo_u32 v0, v0, 24
	v_add_nc_u32_e32 v1, v2, v1
	v_add_co_u32 v4, vcc_lo, v4, v0
	v_add_co_ci_u32_e64 v5, null, v5, v1, vcc_lo
	global_store_dwordx2 v[4:5], v[13:14], off
	s_waitcnt_vscnt null, 0x0
	global_atomic_cmpswap_x2 v[2:3], v10, v[11:14], s[6:7] offset:32 glc
	s_waitcnt vmcnt(0)
	v_cmpx_ne_u64_e64 v[2:3], v[13:14]
	s_cbranch_execz .LBB71_100
; %bb.98:
	s_mov_b32 s11, 0
.LBB71_99:                              ; =>This Inner Loop Header: Depth=1
	v_mov_b32_e32 v0, s8
	v_mov_b32_e32 v1, s9
	s_sleep 1
	global_store_dwordx2 v[4:5], v[2:3], off
	s_waitcnt_vscnt null, 0x0
	global_atomic_cmpswap_x2 v[0:1], v10, v[0:3], s[6:7] offset:32 glc
	s_waitcnt vmcnt(0)
	v_cmp_eq_u64_e32 vcc_lo, v[0:1], v[2:3]
	v_mov_b32_e32 v3, v1
	v_mov_b32_e32 v2, v0
	s_or_b32 s11, vcc_lo, s11
	s_andn2_b32 exec_lo, exec_lo, s11
	s_cbranch_execnz .LBB71_99
.LBB71_100:
	s_or_b32 exec_lo, exec_lo, s10
	v_mov_b32_e32 v3, 0
	s_mov_b32 s11, exec_lo
	s_mov_b32 s10, exec_lo
	v_mbcnt_lo_u32_b32 v2, s11, 0
	global_load_dwordx2 v[0:1], v3, s[6:7] offset:16
	v_cmpx_eq_u32_e32 0, v2
	s_cbranch_execz .LBB71_102
; %bb.101:
	s_bcnt1_i32_b32 s11, s11
	v_mov_b32_e32 v2, s11
	s_waitcnt vmcnt(0)
	global_atomic_add_x2 v[0:1], v[2:3], off offset:8
.LBB71_102:
	s_or_b32 exec_lo, exec_lo, s10
	s_waitcnt vmcnt(0)
	global_load_dwordx2 v[2:3], v[0:1], off offset:16
	s_waitcnt vmcnt(0)
	v_cmp_eq_u64_e32 vcc_lo, 0, v[2:3]
	s_cbranch_vccnz .LBB71_104
; %bb.103:
	global_load_dword v0, v[0:1], off offset:24
	v_mov_b32_e32 v1, 0
	s_waitcnt vmcnt(0)
	v_readfirstlane_b32 s10, v0
	s_waitcnt_vscnt null, 0x0
	global_store_dwordx2 v[2:3], v[0:1], off
	s_and_b32 m0, s10, 0x7fffff
	s_sendmsg sendmsg(MSG_INTERRUPT)
.LBB71_104:
	s_or_b32 exec_lo, exec_lo, s5
	s_branch .LBB71_108
	.p2align	6
.LBB71_105:                             ;   in Loop: Header=BB71_108 Depth=1
	s_or_b32 exec_lo, exec_lo, s5
	v_readfirstlane_b32 s5, v0
	s_cmp_eq_u32 s5, 0
	s_cbranch_scc1 .LBB71_107
; %bb.106:                              ;   in Loop: Header=BB71_108 Depth=1
	s_sleep 1
	s_cbranch_execnz .LBB71_108
	s_branch .LBB71_110
	.p2align	6
.LBB71_107:
	s_branch .LBB71_110
.LBB71_108:                             ; =>This Inner Loop Header: Depth=1
	v_mov_b32_e32 v0, 1
	s_and_saveexec_b32 s5, s4
	s_cbranch_execz .LBB71_105
; %bb.109:                              ;   in Loop: Header=BB71_108 Depth=1
	global_load_dword v0, v[8:9], off offset:20 glc dlc
	s_waitcnt vmcnt(0)
	buffer_gl1_inv
	buffer_gl0_inv
	v_and_b32_e32 v0, 1, v0
	s_branch .LBB71_105
.LBB71_110:
	global_load_dwordx2 v[6:7], v[6:7], off
	s_and_saveexec_b32 s10, s4
	s_cbranch_execz .LBB71_114
; %bb.111:
	v_mov_b32_e32 v8, 0
	s_clause 0x2
	global_load_dwordx2 v[0:1], v8, s[6:7] offset:40
	global_load_dwordx2 v[11:12], v8, s[6:7] offset:24 glc dlc
	global_load_dwordx2 v[2:3], v8, s[6:7]
	s_waitcnt vmcnt(2)
	v_readfirstlane_b32 s12, v0
	v_readfirstlane_b32 s13, v1
	s_add_u32 s11, s12, 1
	s_addc_u32 s14, s13, 0
	s_add_u32 s4, s11, s8
	s_addc_u32 s5, s14, s9
	s_cmp_eq_u64 s[4:5], 0
	s_cselect_b32 s5, s14, s5
	s_cselect_b32 s4, s11, s4
	v_mov_b32_e32 v10, s5
	s_and_b64 s[8:9], s[4:5], s[12:13]
	v_mov_b32_e32 v9, s4
	s_mul_i32 s9, s9, 24
	s_mul_hi_u32 s11, s8, 24
	s_mul_i32 s8, s8, 24
	s_add_i32 s11, s11, s9
	s_waitcnt vmcnt(0)
	v_add_co_u32 v4, vcc_lo, v2, s8
	v_add_co_ci_u32_e64 v5, null, s11, v3, vcc_lo
	global_store_dwordx2 v[4:5], v[11:12], off
	s_waitcnt_vscnt null, 0x0
	global_atomic_cmpswap_x2 v[2:3], v8, v[9:12], s[6:7] offset:24 glc
	s_waitcnt vmcnt(0)
	v_cmp_ne_u64_e32 vcc_lo, v[2:3], v[11:12]
	s_and_b32 exec_lo, exec_lo, vcc_lo
	s_cbranch_execz .LBB71_114
; %bb.112:
	s_mov_b32 s8, 0
.LBB71_113:                             ; =>This Inner Loop Header: Depth=1
	v_mov_b32_e32 v0, s4
	v_mov_b32_e32 v1, s5
	s_sleep 1
	global_store_dwordx2 v[4:5], v[2:3], off
	s_waitcnt_vscnt null, 0x0
	global_atomic_cmpswap_x2 v[0:1], v8, v[0:3], s[6:7] offset:24 glc
	s_waitcnt vmcnt(0)
	v_cmp_eq_u64_e32 vcc_lo, v[0:1], v[2:3]
	v_mov_b32_e32 v3, v1
	v_mov_b32_e32 v2, v0
	s_or_b32 s8, vcc_lo, s8
	s_andn2_b32 exec_lo, exec_lo, s8
	s_cbranch_execnz .LBB71_113
.LBB71_114:
	s_or_b32 exec_lo, exec_lo, s10
	s_waitcnt vmcnt(0)
	v_mov_b32_e32 v0, v6
	v_mov_b32_e32 v1, v7
	s_waitcnt lgkmcnt(0)
	s_setpc_b64 s[30:31]
.Lfunc_end71:
	.size	__ockl_printf_append_string_n, .Lfunc_end71-__ockl_printf_append_string_n
                                        ; -- End function
	.set .L__ockl_printf_append_string_n.num_vgpr, 39
	.set .L__ockl_printf_append_string_n.num_agpr, 0
	.set .L__ockl_printf_append_string_n.numbered_sgpr, 32
	.set .L__ockl_printf_append_string_n.num_named_barrier, 0
	.set .L__ockl_printf_append_string_n.private_seg_size, 0
	.set .L__ockl_printf_append_string_n.uses_vcc, 1
	.set .L__ockl_printf_append_string_n.uses_flat_scratch, 0
	.set .L__ockl_printf_append_string_n.has_dyn_sized_stack, 0
	.set .L__ockl_printf_append_string_n.has_recursion, 0
	.set .L__ockl_printf_append_string_n.has_indirect_call, 0
	.section	.AMDGPU.csdata,"",@progbits
; Function info:
; codeLenInByte = 4600
; TotalNumSgprs: 34
; NumVgprs: 39
; ScratchSize: 0
; MemoryBound: 0
	.text
	.p2align	2                               ; -- Begin function __ockl_printf_append_args
	.type	__ockl_printf_append_args,@function
__ockl_printf_append_args:              ; @__ockl_printf_append_args
; %bb.0:
	s_waitcnt vmcnt(0) expcnt(0) lgkmcnt(0)
	s_load_dwordx2 s[6:7], s[8:9], 0x50
	v_mbcnt_lo_u32_b32 v15, -1, 0
	v_mov_b32_e32 v11, 0
	v_mov_b32_e32 v12, 0
	v_readfirstlane_b32 s4, v15
	v_cmp_eq_u32_e64 s4, s4, v15
	s_and_saveexec_b32 s5, s4
	s_cbranch_execz .LBB72_6
; %bb.1:
	v_mov_b32_e32 v5, 0
	s_mov_b32 s8, exec_lo
	s_waitcnt lgkmcnt(0)
	global_load_dwordx2 v[8:9], v5, s[6:7] offset:24 glc dlc
	s_waitcnt vmcnt(0)
	buffer_gl1_inv
	buffer_gl0_inv
	s_clause 0x1
	global_load_dwordx2 v[6:7], v5, s[6:7] offset:40
	global_load_dwordx2 v[10:11], v5, s[6:7]
	s_waitcnt vmcnt(1)
	v_and_b32_e32 v7, v7, v9
	v_and_b32_e32 v6, v6, v8
	v_mul_lo_u32 v7, v7, 24
	v_mul_hi_u32 v12, v6, 24
	v_mul_lo_u32 v6, v6, 24
	v_add_nc_u32_e32 v7, v12, v7
	s_waitcnt vmcnt(0)
	v_add_co_u32 v6, vcc_lo, v10, v6
	v_add_co_ci_u32_e64 v7, null, v11, v7, vcc_lo
	global_load_dwordx2 v[6:7], v[6:7], off glc dlc
	s_waitcnt vmcnt(0)
	global_atomic_cmpswap_x2 v[11:12], v5, v[6:9], s[6:7] offset:24 glc
	s_waitcnt vmcnt(0)
	buffer_gl1_inv
	buffer_gl0_inv
	v_cmpx_ne_u64_e64 v[11:12], v[8:9]
	s_cbranch_execz .LBB72_5
; %bb.2:
	s_mov_b32 s9, 0
	.p2align	6
.LBB72_3:                               ; =>This Inner Loop Header: Depth=1
	s_sleep 1
	s_clause 0x1
	global_load_dwordx2 v[6:7], v5, s[6:7] offset:40
	global_load_dwordx2 v[13:14], v5, s[6:7]
	v_mov_b32_e32 v8, v11
	v_mov_b32_e32 v9, v12
	s_waitcnt vmcnt(1)
	v_and_b32_e32 v6, v6, v8
	v_and_b32_e32 v7, v7, v9
	s_waitcnt vmcnt(0)
	v_mad_u64_u32 v[10:11], null, v6, 24, v[13:14]
	v_mov_b32_e32 v6, v11
	v_mad_u64_u32 v[6:7], null, v7, 24, v[6:7]
	v_mov_b32_e32 v11, v6
	global_load_dwordx2 v[6:7], v[10:11], off glc dlc
	s_waitcnt vmcnt(0)
	global_atomic_cmpswap_x2 v[11:12], v5, v[6:9], s[6:7] offset:24 glc
	s_waitcnt vmcnt(0)
	buffer_gl1_inv
	buffer_gl0_inv
	v_cmp_eq_u64_e32 vcc_lo, v[11:12], v[8:9]
	s_or_b32 s9, vcc_lo, s9
	s_andn2_b32 exec_lo, exec_lo, s9
	s_cbranch_execnz .LBB72_3
; %bb.4:
	s_or_b32 exec_lo, exec_lo, s9
.LBB72_5:
	s_or_b32 exec_lo, exec_lo, s8
.LBB72_6:
	s_or_b32 exec_lo, exec_lo, s5
	v_mov_b32_e32 v10, 0
	v_readfirstlane_b32 s9, v12
	v_readfirstlane_b32 s8, v11
	s_mov_b32 s5, exec_lo
	s_waitcnt lgkmcnt(0)
	s_clause 0x1
	global_load_dwordx2 v[13:14], v10, s[6:7] offset:40
	global_load_dwordx4 v[5:8], v10, s[6:7]
	s_waitcnt vmcnt(1)
	v_readfirstlane_b32 s10, v13
	v_readfirstlane_b32 s11, v14
	s_and_b64 s[10:11], s[10:11], s[8:9]
	s_mul_i32 s12, s11, 24
	s_mul_hi_u32 s13, s10, 24
	s_mul_i32 s14, s10, 24
	s_add_i32 s13, s13, s12
	s_waitcnt vmcnt(0)
	v_add_co_u32 v13, vcc_lo, v5, s14
	v_add_co_ci_u32_e64 v14, null, s13, v6, vcc_lo
	s_and_saveexec_b32 s12, s4
	s_cbranch_execz .LBB72_8
; %bb.7:
	v_mov_b32_e32 v9, s5
	v_mov_b32_e32 v11, 2
	;; [unrolled: 1-line block ×3, first 2 shown]
	global_store_dwordx4 v[13:14], v[9:12], off offset:8
.LBB72_8:
	s_or_b32 exec_lo, exec_lo, s12
	v_or_b32_e32 v9, 2, v0
	v_cmp_eq_u32_e32 vcc_lo, 0, v4
	s_lshl_b64 s[10:11], s[10:11], 12
	s_mov_b32 s12, 0
	v_lshlrev_b32_e32 v11, 6, v15
	s_mov_b32 s13, s12
	v_cndmask_b32_e32 v0, v9, v0, vcc_lo
	v_add_co_u32 v4, vcc_lo, v7, s10
	v_add_co_ci_u32_e64 v7, null, s11, v8, vcc_lo
	s_mov_b32 s14, s12
	s_mov_b32 s15, s12
	v_and_or_b32 v0, 0xffffff1f, v0, 32
	v_readfirstlane_b32 s10, v4
	v_readfirstlane_b32 s11, v7
	v_mov_b32_e32 v7, s12
	v_mov_b32_e32 v8, s13
	;; [unrolled: 1-line block ×4, first 2 shown]
	global_store_dwordx4 v11, v[0:3], s[10:11]
	global_store_dwordx4 v11, v[7:10], s[10:11] offset:16
	global_store_dwordx4 v11, v[7:10], s[10:11] offset:32
	;; [unrolled: 1-line block ×3, first 2 shown]
	s_and_saveexec_b32 s5, s4
	s_cbranch_execz .LBB72_16
; %bb.9:
	v_mov_b32_e32 v7, 0
	v_mov_b32_e32 v8, s8
	;; [unrolled: 1-line block ×3, first 2 shown]
	s_mov_b32 s10, exec_lo
	s_clause 0x1
	global_load_dwordx2 v[10:11], v7, s[6:7] offset:32 glc dlc
	global_load_dwordx2 v[0:1], v7, s[6:7] offset:40
	s_waitcnt vmcnt(0)
	v_and_b32_e32 v1, s9, v1
	v_and_b32_e32 v0, s8, v0
	v_mul_lo_u32 v1, v1, 24
	v_mul_hi_u32 v2, v0, 24
	v_mul_lo_u32 v0, v0, 24
	v_add_nc_u32_e32 v1, v2, v1
	v_add_co_u32 v4, vcc_lo, v5, v0
	v_add_co_ci_u32_e64 v5, null, v6, v1, vcc_lo
	global_store_dwordx2 v[4:5], v[10:11], off
	s_waitcnt_vscnt null, 0x0
	global_atomic_cmpswap_x2 v[2:3], v7, v[8:11], s[6:7] offset:32 glc
	s_waitcnt vmcnt(0)
	v_cmpx_ne_u64_e64 v[2:3], v[10:11]
	s_cbranch_execz .LBB72_12
; %bb.10:
	s_mov_b32 s11, 0
.LBB72_11:                              ; =>This Inner Loop Header: Depth=1
	v_mov_b32_e32 v0, s8
	v_mov_b32_e32 v1, s9
	s_sleep 1
	global_store_dwordx2 v[4:5], v[2:3], off
	s_waitcnt_vscnt null, 0x0
	global_atomic_cmpswap_x2 v[0:1], v7, v[0:3], s[6:7] offset:32 glc
	s_waitcnt vmcnt(0)
	v_cmp_eq_u64_e32 vcc_lo, v[0:1], v[2:3]
	v_mov_b32_e32 v3, v1
	v_mov_b32_e32 v2, v0
	s_or_b32 s11, vcc_lo, s11
	s_andn2_b32 exec_lo, exec_lo, s11
	s_cbranch_execnz .LBB72_11
.LBB72_12:
	s_or_b32 exec_lo, exec_lo, s10
	v_mov_b32_e32 v3, 0
	s_mov_b32 s11, exec_lo
	s_mov_b32 s10, exec_lo
	v_mbcnt_lo_u32_b32 v2, s11, 0
	global_load_dwordx2 v[0:1], v3, s[6:7] offset:16
	v_cmpx_eq_u32_e32 0, v2
	s_cbranch_execz .LBB72_14
; %bb.13:
	s_bcnt1_i32_b32 s11, s11
	v_mov_b32_e32 v2, s11
	s_waitcnt vmcnt(0)
	global_atomic_add_x2 v[0:1], v[2:3], off offset:8
.LBB72_14:
	s_or_b32 exec_lo, exec_lo, s10
	s_waitcnt vmcnt(0)
	global_load_dwordx2 v[2:3], v[0:1], off offset:16
	s_waitcnt vmcnt(0)
	v_cmp_eq_u64_e32 vcc_lo, 0, v[2:3]
	s_cbranch_vccnz .LBB72_16
; %bb.15:
	global_load_dword v0, v[0:1], off offset:24
	v_mov_b32_e32 v1, 0
	s_waitcnt vmcnt(0)
	v_readfirstlane_b32 s10, v0
	s_waitcnt_vscnt null, 0x0
	global_store_dwordx2 v[2:3], v[0:1], off
	s_and_b32 m0, s10, 0x7fffff
	s_sendmsg sendmsg(MSG_INTERRUPT)
.LBB72_16:
	s_or_b32 exec_lo, exec_lo, s5
	s_branch .LBB72_20
	.p2align	6
.LBB72_17:                              ;   in Loop: Header=BB72_20 Depth=1
	s_or_b32 exec_lo, exec_lo, s5
	v_readfirstlane_b32 s5, v0
	s_cmp_eq_u32 s5, 0
	s_cbranch_scc1 .LBB72_19
; %bb.18:                               ;   in Loop: Header=BB72_20 Depth=1
	s_sleep 1
	s_cbranch_execnz .LBB72_20
	s_branch .LBB72_22
	.p2align	6
.LBB72_19:
	s_branch .LBB72_22
.LBB72_20:                              ; =>This Inner Loop Header: Depth=1
	v_mov_b32_e32 v0, 1
	s_and_saveexec_b32 s5, s4
	s_cbranch_execz .LBB72_17
; %bb.21:                               ;   in Loop: Header=BB72_20 Depth=1
	global_load_dword v0, v[13:14], off offset:20 glc dlc
	s_waitcnt vmcnt(0)
	buffer_gl1_inv
	buffer_gl0_inv
	v_and_b32_e32 v0, 1, v0
	s_branch .LBB72_17
.LBB72_22:
	s_and_saveexec_b32 s10, s4
	s_cbranch_execz .LBB72_26
; %bb.23:
	v_mov_b32_e32 v6, 0
	s_clause 0x2
	global_load_dwordx2 v[0:1], v6, s[6:7] offset:40
	global_load_dwordx2 v[9:10], v6, s[6:7] offset:24 glc dlc
	global_load_dwordx2 v[2:3], v6, s[6:7]
	s_waitcnt vmcnt(2)
	v_readfirstlane_b32 s12, v0
	v_readfirstlane_b32 s13, v1
	s_add_u32 s11, s12, 1
	s_addc_u32 s14, s13, 0
	s_add_u32 s4, s11, s8
	s_addc_u32 s5, s14, s9
	s_cmp_eq_u64 s[4:5], 0
	s_cselect_b32 s5, s14, s5
	s_cselect_b32 s4, s11, s4
	v_mov_b32_e32 v8, s5
	s_and_b64 s[8:9], s[4:5], s[12:13]
	v_mov_b32_e32 v7, s4
	s_mul_i32 s9, s9, 24
	s_mul_hi_u32 s11, s8, 24
	s_mul_i32 s8, s8, 24
	s_add_i32 s11, s11, s9
	s_waitcnt vmcnt(0)
	v_add_co_u32 v4, vcc_lo, v2, s8
	v_add_co_ci_u32_e64 v5, null, s11, v3, vcc_lo
	global_store_dwordx2 v[4:5], v[9:10], off
	s_waitcnt_vscnt null, 0x0
	global_atomic_cmpswap_x2 v[2:3], v6, v[7:10], s[6:7] offset:24 glc
	s_waitcnt vmcnt(0)
	v_cmp_ne_u64_e32 vcc_lo, v[2:3], v[9:10]
	s_and_b32 exec_lo, exec_lo, vcc_lo
	s_cbranch_execz .LBB72_26
; %bb.24:
	s_mov_b32 s8, 0
.LBB72_25:                              ; =>This Inner Loop Header: Depth=1
	v_mov_b32_e32 v0, s4
	v_mov_b32_e32 v1, s5
	s_sleep 1
	global_store_dwordx2 v[4:5], v[2:3], off
	s_waitcnt_vscnt null, 0x0
	global_atomic_cmpswap_x2 v[0:1], v6, v[0:3], s[6:7] offset:24 glc
	s_waitcnt vmcnt(0)
	v_cmp_eq_u64_e32 vcc_lo, v[0:1], v[2:3]
	v_mov_b32_e32 v3, v1
	v_mov_b32_e32 v2, v0
	s_or_b32 s8, vcc_lo, s8
	s_andn2_b32 exec_lo, exec_lo, s8
	s_cbranch_execnz .LBB72_25
.LBB72_26:
	s_or_b32 exec_lo, exec_lo, s10
	s_waitcnt lgkmcnt(0)
	s_setpc_b64 s[30:31]
.Lfunc_end72:
	.size	__ockl_printf_append_args, .Lfunc_end72-__ockl_printf_append_args
                                        ; -- End function
	.set .L__ockl_printf_append_args.num_vgpr, 16
	.set .L__ockl_printf_append_args.num_agpr, 0
	.set .L__ockl_printf_append_args.numbered_sgpr, 32
	.set .L__ockl_printf_append_args.num_named_barrier, 0
	.set .L__ockl_printf_append_args.private_seg_size, 0
	.set .L__ockl_printf_append_args.uses_vcc, 1
	.set .L__ockl_printf_append_args.uses_flat_scratch, 0
	.set .L__ockl_printf_append_args.has_dyn_sized_stack, 0
	.set .L__ockl_printf_append_args.has_recursion, 0
	.set .L__ockl_printf_append_args.has_indirect_call, 0
	.section	.AMDGPU.csdata,"",@progbits
; Function info:
; codeLenInByte = 1380
; TotalNumSgprs: 34
; NumVgprs: 16
; ScratchSize: 0
; MemoryBound: 0
	.text
	.p2align	2                               ; -- Begin function _ZL14no_device_codePKciS0_iS0_
	.type	_ZL14no_device_codePKciS0_iS0_,@function
_ZL14no_device_codePKciS0_iS0_:         ; @_ZL14no_device_codePKciS0_iS0_
; %bb.0:
	s_waitcnt vmcnt(0) expcnt(0) lgkmcnt(0)
	s_mov_b32 s24, s33
	s_mov_b32 s33, s32
	s_xor_saveexec_b32 s4, -1
	buffer_store_dword v39, off, s[0:3], s33 ; 4-byte Folded Spill
	s_mov_b32 exec_lo, s4
	v_writelane_b32 v39, s30, 0
	s_addk_i32 s32, 0x200
	v_writelane_b32 v39, s31, 1
	s_load_dwordx2 s[6:7], s[8:9], 0x50
	v_mbcnt_lo_u32_b32 v29, -1, 0
	v_mov_b32_e32 v6, 0
	v_mov_b32_e32 v7, 0
	v_readfirstlane_b32 s4, v29
	v_cmp_eq_u32_e64 s4, s4, v29
	s_and_saveexec_b32 s5, s4
	s_cbranch_execz .LBB73_6
; %bb.1:
	v_mov_b32_e32 v0, 0
	s_mov_b32 s10, exec_lo
	s_waitcnt lgkmcnt(0)
	global_load_dwordx2 v[3:4], v0, s[6:7] offset:24 glc dlc
	s_waitcnt vmcnt(0)
	buffer_gl1_inv
	buffer_gl0_inv
	s_clause 0x1
	global_load_dwordx2 v[1:2], v0, s[6:7] offset:40
	global_load_dwordx2 v[5:6], v0, s[6:7]
	s_waitcnt vmcnt(1)
	v_and_b32_e32 v2, v2, v4
	v_and_b32_e32 v1, v1, v3
	v_mul_lo_u32 v2, v2, 24
	v_mul_hi_u32 v7, v1, 24
	v_mul_lo_u32 v1, v1, 24
	v_add_nc_u32_e32 v2, v7, v2
	s_waitcnt vmcnt(0)
	v_add_co_u32 v1, vcc_lo, v5, v1
	v_add_co_ci_u32_e64 v2, null, v6, v2, vcc_lo
	global_load_dwordx2 v[1:2], v[1:2], off glc dlc
	s_waitcnt vmcnt(0)
	global_atomic_cmpswap_x2 v[6:7], v0, v[1:4], s[6:7] offset:24 glc
	s_waitcnt vmcnt(0)
	buffer_gl1_inv
	buffer_gl0_inv
	v_cmpx_ne_u64_e64 v[6:7], v[3:4]
	s_cbranch_execz .LBB73_5
; %bb.2:
	s_mov_b32 s11, 0
	.p2align	6
.LBB73_3:                               ; =>This Inner Loop Header: Depth=1
	s_sleep 1
	s_clause 0x1
	global_load_dwordx2 v[1:2], v0, s[6:7] offset:40
	global_load_dwordx2 v[8:9], v0, s[6:7]
	v_mov_b32_e32 v3, v6
	v_mov_b32_e32 v4, v7
	s_waitcnt vmcnt(1)
	v_and_b32_e32 v1, v1, v3
	v_and_b32_e32 v2, v2, v4
	s_waitcnt vmcnt(0)
	v_mad_u64_u32 v[5:6], null, v1, 24, v[8:9]
	v_mov_b32_e32 v1, v6
	v_mad_u64_u32 v[1:2], null, v2, 24, v[1:2]
	v_mov_b32_e32 v6, v1
	global_load_dwordx2 v[1:2], v[5:6], off glc dlc
	s_waitcnt vmcnt(0)
	global_atomic_cmpswap_x2 v[6:7], v0, v[1:4], s[6:7] offset:24 glc
	s_waitcnt vmcnt(0)
	buffer_gl1_inv
	buffer_gl0_inv
	v_cmp_eq_u64_e32 vcc_lo, v[6:7], v[3:4]
	s_or_b32 s11, vcc_lo, s11
	s_andn2_b32 exec_lo, exec_lo, s11
	s_cbranch_execnz .LBB73_3
; %bb.4:
	s_or_b32 exec_lo, exec_lo, s11
.LBB73_5:
	s_or_b32 exec_lo, exec_lo, s10
.LBB73_6:
	s_or_b32 exec_lo, exec_lo, s5
	v_mov_b32_e32 v5, 0
	v_readfirstlane_b32 s11, v7
	v_readfirstlane_b32 s10, v6
	s_mov_b32 s5, exec_lo
	s_waitcnt lgkmcnt(0)
	s_clause 0x1
	global_load_dwordx2 v[8:9], v5, s[6:7] offset:40
	global_load_dwordx4 v[0:3], v5, s[6:7]
	s_waitcnt vmcnt(1)
	v_readfirstlane_b32 s12, v8
	v_readfirstlane_b32 s13, v9
	s_and_b64 s[12:13], s[12:13], s[10:11]
	s_mul_i32 s14, s13, 24
	s_mul_hi_u32 s15, s12, 24
	s_mul_i32 s16, s12, 24
	s_add_i32 s15, s15, s14
	s_waitcnt vmcnt(0)
	v_add_co_u32 v8, vcc_lo, v0, s16
	v_add_co_ci_u32_e64 v9, null, s15, v1, vcc_lo
	s_and_saveexec_b32 s14, s4
	s_cbranch_execz .LBB73_8
; %bb.7:
	v_mov_b32_e32 v4, s5
	v_mov_b32_e32 v6, 2
	;; [unrolled: 1-line block ×3, first 2 shown]
	global_store_dwordx4 v[8:9], v[4:7], off offset:8
.LBB73_8:
	s_or_b32 exec_lo, exec_lo, s14
	s_lshl_b64 s[12:13], s[12:13], 12
	v_lshlrev_b32_e32 v28, 6, v29
	v_add_co_u32 v2, vcc_lo, v2, s12
	v_add_co_ci_u32_e64 v3, null, s13, v3, vcc_lo
	s_mov_b32 s12, 0
	v_add_co_u32 v10, vcc_lo, v2, v28
	s_mov_b32 s13, s12
	s_mov_b32 s14, s12
	;; [unrolled: 1-line block ×3, first 2 shown]
	v_mov_b32_e32 v4, 33
	v_mov_b32_e32 v6, v5
	;; [unrolled: 1-line block ×3, first 2 shown]
	v_readfirstlane_b32 s16, v2
	v_readfirstlane_b32 s17, v3
	v_mov_b32_e32 v12, s12
	v_add_co_ci_u32_e64 v11, null, 0, v3, vcc_lo
	v_mov_b32_e32 v13, s13
	v_mov_b32_e32 v14, s14
	;; [unrolled: 1-line block ×3, first 2 shown]
	global_store_dwordx4 v28, v[4:7], s[16:17]
	global_store_dwordx4 v28, v[12:15], s[16:17] offset:16
	global_store_dwordx4 v28, v[12:15], s[16:17] offset:32
	;; [unrolled: 1-line block ×3, first 2 shown]
	s_and_saveexec_b32 s5, s4
	s_cbranch_execz .LBB73_16
; %bb.9:
	v_mov_b32_e32 v6, 0
	v_mov_b32_e32 v12, s10
	;; [unrolled: 1-line block ×3, first 2 shown]
	s_mov_b32 s12, exec_lo
	s_clause 0x1
	global_load_dwordx2 v[14:15], v6, s[6:7] offset:32 glc dlc
	global_load_dwordx2 v[2:3], v6, s[6:7] offset:40
	s_waitcnt vmcnt(0)
	v_and_b32_e32 v3, s11, v3
	v_and_b32_e32 v2, s10, v2
	v_mul_lo_u32 v3, v3, 24
	v_mul_hi_u32 v4, v2, 24
	v_mul_lo_u32 v2, v2, 24
	v_add_nc_u32_e32 v3, v4, v3
	v_add_co_u32 v4, vcc_lo, v0, v2
	v_add_co_ci_u32_e64 v5, null, v1, v3, vcc_lo
	global_store_dwordx2 v[4:5], v[14:15], off
	s_waitcnt_vscnt null, 0x0
	global_atomic_cmpswap_x2 v[2:3], v6, v[12:15], s[6:7] offset:32 glc
	s_waitcnt vmcnt(0)
	v_cmpx_ne_u64_e64 v[2:3], v[14:15]
	s_cbranch_execz .LBB73_12
; %bb.10:
	s_mov_b32 s13, 0
.LBB73_11:                              ; =>This Inner Loop Header: Depth=1
	v_mov_b32_e32 v0, s10
	v_mov_b32_e32 v1, s11
	s_sleep 1
	global_store_dwordx2 v[4:5], v[2:3], off
	s_waitcnt_vscnt null, 0x0
	global_atomic_cmpswap_x2 v[0:1], v6, v[0:3], s[6:7] offset:32 glc
	s_waitcnt vmcnt(0)
	v_cmp_eq_u64_e32 vcc_lo, v[0:1], v[2:3]
	v_mov_b32_e32 v3, v1
	v_mov_b32_e32 v2, v0
	s_or_b32 s13, vcc_lo, s13
	s_andn2_b32 exec_lo, exec_lo, s13
	s_cbranch_execnz .LBB73_11
.LBB73_12:
	s_or_b32 exec_lo, exec_lo, s12
	v_mov_b32_e32 v3, 0
	s_mov_b32 s13, exec_lo
	s_mov_b32 s12, exec_lo
	v_mbcnt_lo_u32_b32 v2, s13, 0
	global_load_dwordx2 v[0:1], v3, s[6:7] offset:16
	v_cmpx_eq_u32_e32 0, v2
	s_cbranch_execz .LBB73_14
; %bb.13:
	s_bcnt1_i32_b32 s13, s13
	v_mov_b32_e32 v2, s13
	s_waitcnt vmcnt(0)
	global_atomic_add_x2 v[0:1], v[2:3], off offset:8
.LBB73_14:
	s_or_b32 exec_lo, exec_lo, s12
	s_waitcnt vmcnt(0)
	global_load_dwordx2 v[2:3], v[0:1], off offset:16
	s_waitcnt vmcnt(0)
	v_cmp_eq_u64_e32 vcc_lo, 0, v[2:3]
	s_cbranch_vccnz .LBB73_16
; %bb.15:
	global_load_dword v0, v[0:1], off offset:24
	v_mov_b32_e32 v1, 0
	s_waitcnt vmcnt(0)
	v_readfirstlane_b32 s12, v0
	s_waitcnt_vscnt null, 0x0
	global_store_dwordx2 v[2:3], v[0:1], off
	s_and_b32 m0, s12, 0x7fffff
	s_sendmsg sendmsg(MSG_INTERRUPT)
.LBB73_16:
	s_or_b32 exec_lo, exec_lo, s5
	s_branch .LBB73_20
	.p2align	6
.LBB73_17:                              ;   in Loop: Header=BB73_20 Depth=1
	s_or_b32 exec_lo, exec_lo, s5
	v_readfirstlane_b32 s5, v0
	s_cmp_eq_u32 s5, 0
	s_cbranch_scc1 .LBB73_19
; %bb.18:                               ;   in Loop: Header=BB73_20 Depth=1
	s_sleep 1
	s_cbranch_execnz .LBB73_20
	s_branch .LBB73_22
	.p2align	6
.LBB73_19:
	s_branch .LBB73_22
.LBB73_20:                              ; =>This Inner Loop Header: Depth=1
	v_mov_b32_e32 v0, 1
	s_and_saveexec_b32 s5, s4
	s_cbranch_execz .LBB73_17
; %bb.21:                               ;   in Loop: Header=BB73_20 Depth=1
	global_load_dword v0, v[8:9], off offset:20 glc dlc
	s_waitcnt vmcnt(0)
	buffer_gl1_inv
	buffer_gl0_inv
	v_and_b32_e32 v0, 1, v0
	s_branch .LBB73_17
.LBB73_22:
	global_load_dwordx2 v[4:5], v[10:11], off
	s_and_saveexec_b32 s12, s4
	s_cbranch_execz .LBB73_26
; %bb.23:
	v_mov_b32_e32 v8, 0
	s_clause 0x2
	global_load_dwordx2 v[0:1], v8, s[6:7] offset:40
	global_load_dwordx2 v[11:12], v8, s[6:7] offset:24 glc dlc
	global_load_dwordx2 v[2:3], v8, s[6:7]
	s_waitcnt vmcnt(2)
	v_readfirstlane_b32 s14, v0
	v_readfirstlane_b32 s15, v1
	s_add_u32 s13, s14, 1
	s_addc_u32 s16, s15, 0
	s_add_u32 s4, s13, s10
	s_addc_u32 s5, s16, s11
	s_cmp_eq_u64 s[4:5], 0
	s_cselect_b32 s5, s16, s5
	s_cselect_b32 s4, s13, s4
	v_mov_b32_e32 v10, s5
	s_and_b64 s[10:11], s[4:5], s[14:15]
	v_mov_b32_e32 v9, s4
	s_mul_i32 s11, s11, 24
	s_mul_hi_u32 s13, s10, 24
	s_mul_i32 s10, s10, 24
	s_add_i32 s13, s13, s11
	s_waitcnt vmcnt(0)
	v_add_co_u32 v6, vcc_lo, v2, s10
	v_add_co_ci_u32_e64 v7, null, s13, v3, vcc_lo
	global_store_dwordx2 v[6:7], v[11:12], off
	s_waitcnt_vscnt null, 0x0
	global_atomic_cmpswap_x2 v[2:3], v8, v[9:12], s[6:7] offset:24 glc
	s_waitcnt vmcnt(0)
	v_cmp_ne_u64_e32 vcc_lo, v[2:3], v[11:12]
	s_and_b32 exec_lo, exec_lo, vcc_lo
	s_cbranch_execz .LBB73_26
; %bb.24:
	s_mov_b32 s10, 0
.LBB73_25:                              ; =>This Inner Loop Header: Depth=1
	v_mov_b32_e32 v0, s4
	v_mov_b32_e32 v1, s5
	s_sleep 1
	global_store_dwordx2 v[6:7], v[2:3], off
	s_waitcnt_vscnt null, 0x0
	global_atomic_cmpswap_x2 v[0:1], v8, v[0:3], s[6:7] offset:24 glc
	s_waitcnt vmcnt(0)
	v_cmp_eq_u64_e32 vcc_lo, v[0:1], v[2:3]
	v_mov_b32_e32 v3, v1
	v_mov_b32_e32 v2, v0
	s_or_b32 s10, vcc_lo, s10
	s_andn2_b32 exec_lo, exec_lo, s10
	s_cbranch_execnz .LBB73_25
.LBB73_26:
	s_or_b32 exec_lo, exec_lo, s12
	s_getpc_b64 s[10:11]
	s_add_u32 s10, s10, .str.5@rel32@lo+4
	s_addc_u32 s11, s11, .str.5@rel32@hi+12
	s_cmp_lg_u64 s[10:11], 0
	s_cbranch_scc0 .LBB73_104
; %bb.27:
	s_waitcnt vmcnt(0)
	v_and_b32_e32 v30, 2, v4
	v_mov_b32_e32 v7, 0
	v_and_b32_e32 v0, -3, v4
	v_mov_b32_e32 v1, v5
	v_mov_b32_e32 v8, 2
	;; [unrolled: 1-line block ×3, first 2 shown]
	s_mov_b64 s[12:13], 0x4d
	s_branch .LBB73_29
.LBB73_28:                              ;   in Loop: Header=BB73_29 Depth=1
	s_or_b32 exec_lo, exec_lo, s18
	s_sub_u32 s12, s12, s14
	s_subb_u32 s13, s13, s15
	s_add_u32 s10, s10, s14
	s_addc_u32 s11, s11, s15
	s_cmp_lg_u64 s[12:13], 0
	s_cbranch_scc0 .LBB73_105
.LBB73_29:                              ; =>This Loop Header: Depth=1
                                        ;     Child Loop BB73_32 Depth 2
                                        ;     Child Loop BB73_39 Depth 2
	;; [unrolled: 1-line block ×11, first 2 shown]
	v_cmp_lt_u64_e64 s4, s[12:13], 56
	v_cmp_gt_u64_e64 s16, s[12:13], 7
	s_and_b32 s4, s4, exec_lo
	s_cselect_b32 s15, s13, 0
	s_cselect_b32 s14, s12, 56
	s_add_u32 s4, s10, 8
	s_addc_u32 s5, s11, 0
	s_and_b32 vcc_lo, exec_lo, s16
	s_cbranch_vccnz .LBB73_34
; %bb.30:                               ;   in Loop: Header=BB73_29 Depth=1
	v_mov_b32_e32 v2, 0
	v_mov_b32_e32 v3, 0
	s_cmp_eq_u64 s[12:13], 0
	s_cbranch_scc1 .LBB73_33
; %bb.31:                               ;   in Loop: Header=BB73_29 Depth=1
	s_lshl_b64 s[4:5], s[14:15], 3
	s_mov_b64 s[16:17], 0
	s_mov_b64 s[18:19], s[10:11]
.LBB73_32:                              ;   Parent Loop BB73_29 Depth=1
                                        ; =>  This Inner Loop Header: Depth=2
	global_load_ubyte v6, v7, s[18:19]
	s_waitcnt vmcnt(0)
	v_and_b32_e32 v6, 0xffff, v6
	v_lshlrev_b64 v[10:11], s16, v[6:7]
	s_add_u32 s16, s16, 8
	s_addc_u32 s17, s17, 0
	s_add_u32 s18, s18, 1
	s_addc_u32 s19, s19, 0
	s_cmp_lg_u32 s4, s16
	v_or_b32_e32 v2, v10, v2
	v_or_b32_e32 v3, v11, v3
	s_cbranch_scc1 .LBB73_32
.LBB73_33:                              ;   in Loop: Header=BB73_29 Depth=1
	s_mov_b64 s[4:5], s[10:11]
	s_mov_b32 s20, 0
	s_cbranch_execz .LBB73_35
	s_branch .LBB73_36
.LBB73_34:                              ;   in Loop: Header=BB73_29 Depth=1
	s_mov_b32 s20, 0
.LBB73_35:                              ;   in Loop: Header=BB73_29 Depth=1
	global_load_dwordx2 v[2:3], v7, s[10:11]
	s_add_i32 s20, s14, -8
.LBB73_36:                              ;   in Loop: Header=BB73_29 Depth=1
	s_add_u32 s16, s4, 8
	s_addc_u32 s17, s5, 0
	s_cmp_gt_u32 s20, 7
	s_cbranch_scc1 .LBB73_41
; %bb.37:                               ;   in Loop: Header=BB73_29 Depth=1
	v_mov_b32_e32 v10, 0
	v_mov_b32_e32 v11, 0
	s_cmp_eq_u32 s20, 0
	s_cbranch_scc1 .LBB73_40
; %bb.38:                               ;   in Loop: Header=BB73_29 Depth=1
	s_mov_b64 s[16:17], 0
	s_mov_b64 s[18:19], 0
.LBB73_39:                              ;   Parent Loop BB73_29 Depth=1
                                        ; =>  This Inner Loop Header: Depth=2
	s_add_u32 s22, s4, s18
	s_addc_u32 s23, s5, s19
	s_add_u32 s18, s18, 1
	global_load_ubyte v6, v7, s[22:23]
	s_addc_u32 s19, s19, 0
	s_waitcnt vmcnt(0)
	v_and_b32_e32 v6, 0xffff, v6
	v_lshlrev_b64 v[12:13], s16, v[6:7]
	s_add_u32 s16, s16, 8
	s_addc_u32 s17, s17, 0
	s_cmp_lg_u32 s20, s18
	v_or_b32_e32 v10, v12, v10
	v_or_b32_e32 v11, v13, v11
	s_cbranch_scc1 .LBB73_39
.LBB73_40:                              ;   in Loop: Header=BB73_29 Depth=1
	s_mov_b64 s[16:17], s[4:5]
	s_mov_b32 s21, 0
	s_cbranch_execz .LBB73_42
	s_branch .LBB73_43
.LBB73_41:                              ;   in Loop: Header=BB73_29 Depth=1
                                        ; implicit-def: $vgpr10_vgpr11
	s_mov_b32 s21, 0
.LBB73_42:                              ;   in Loop: Header=BB73_29 Depth=1
	global_load_dwordx2 v[10:11], v7, s[4:5]
	s_add_i32 s21, s20, -8
.LBB73_43:                              ;   in Loop: Header=BB73_29 Depth=1
	s_add_u32 s4, s16, 8
	s_addc_u32 s5, s17, 0
	s_cmp_gt_u32 s21, 7
	s_cbranch_scc1 .LBB73_48
; %bb.44:                               ;   in Loop: Header=BB73_29 Depth=1
	v_mov_b32_e32 v12, 0
	v_mov_b32_e32 v13, 0
	s_cmp_eq_u32 s21, 0
	s_cbranch_scc1 .LBB73_47
; %bb.45:                               ;   in Loop: Header=BB73_29 Depth=1
	s_mov_b64 s[4:5], 0
	s_mov_b64 s[18:19], 0
.LBB73_46:                              ;   Parent Loop BB73_29 Depth=1
                                        ; =>  This Inner Loop Header: Depth=2
	s_add_u32 s22, s16, s18
	s_addc_u32 s23, s17, s19
	s_add_u32 s18, s18, 1
	global_load_ubyte v6, v7, s[22:23]
	s_addc_u32 s19, s19, 0
	s_waitcnt vmcnt(0)
	v_and_b32_e32 v6, 0xffff, v6
	v_lshlrev_b64 v[14:15], s4, v[6:7]
	s_add_u32 s4, s4, 8
	s_addc_u32 s5, s5, 0
	s_cmp_lg_u32 s21, s18
	v_or_b32_e32 v12, v14, v12
	v_or_b32_e32 v13, v15, v13
	s_cbranch_scc1 .LBB73_46
.LBB73_47:                              ;   in Loop: Header=BB73_29 Depth=1
	s_mov_b64 s[4:5], s[16:17]
	s_mov_b32 s20, 0
	s_cbranch_execz .LBB73_49
	s_branch .LBB73_50
.LBB73_48:                              ;   in Loop: Header=BB73_29 Depth=1
	s_mov_b32 s20, 0
.LBB73_49:                              ;   in Loop: Header=BB73_29 Depth=1
	global_load_dwordx2 v[12:13], v7, s[16:17]
	s_add_i32 s20, s21, -8
.LBB73_50:                              ;   in Loop: Header=BB73_29 Depth=1
	s_add_u32 s16, s4, 8
	s_addc_u32 s17, s5, 0
	s_cmp_gt_u32 s20, 7
	s_cbranch_scc1 .LBB73_55
; %bb.51:                               ;   in Loop: Header=BB73_29 Depth=1
	v_mov_b32_e32 v14, 0
	v_mov_b32_e32 v15, 0
	s_cmp_eq_u32 s20, 0
	s_cbranch_scc1 .LBB73_54
; %bb.52:                               ;   in Loop: Header=BB73_29 Depth=1
	s_mov_b64 s[16:17], 0
	s_mov_b64 s[18:19], 0
.LBB73_53:                              ;   Parent Loop BB73_29 Depth=1
                                        ; =>  This Inner Loop Header: Depth=2
	s_add_u32 s22, s4, s18
	s_addc_u32 s23, s5, s19
	s_add_u32 s18, s18, 1
	global_load_ubyte v6, v7, s[22:23]
	s_addc_u32 s19, s19, 0
	s_waitcnt vmcnt(0)
	v_and_b32_e32 v6, 0xffff, v6
	v_lshlrev_b64 v[16:17], s16, v[6:7]
	s_add_u32 s16, s16, 8
	s_addc_u32 s17, s17, 0
	s_cmp_lg_u32 s20, s18
	v_or_b32_e32 v14, v16, v14
	v_or_b32_e32 v15, v17, v15
	s_cbranch_scc1 .LBB73_53
.LBB73_54:                              ;   in Loop: Header=BB73_29 Depth=1
	s_mov_b64 s[16:17], s[4:5]
	s_mov_b32 s21, 0
	s_cbranch_execz .LBB73_56
	s_branch .LBB73_57
.LBB73_55:                              ;   in Loop: Header=BB73_29 Depth=1
                                        ; implicit-def: $vgpr14_vgpr15
	s_mov_b32 s21, 0
.LBB73_56:                              ;   in Loop: Header=BB73_29 Depth=1
	global_load_dwordx2 v[14:15], v7, s[4:5]
	s_add_i32 s21, s20, -8
.LBB73_57:                              ;   in Loop: Header=BB73_29 Depth=1
	s_add_u32 s4, s16, 8
	s_addc_u32 s5, s17, 0
	s_cmp_gt_u32 s21, 7
	s_cbranch_scc1 .LBB73_62
; %bb.58:                               ;   in Loop: Header=BB73_29 Depth=1
	v_mov_b32_e32 v16, 0
	v_mov_b32_e32 v17, 0
	s_cmp_eq_u32 s21, 0
	s_cbranch_scc1 .LBB73_61
; %bb.59:                               ;   in Loop: Header=BB73_29 Depth=1
	s_mov_b64 s[4:5], 0
	s_mov_b64 s[18:19], 0
.LBB73_60:                              ;   Parent Loop BB73_29 Depth=1
                                        ; =>  This Inner Loop Header: Depth=2
	s_add_u32 s22, s16, s18
	s_addc_u32 s23, s17, s19
	s_add_u32 s18, s18, 1
	global_load_ubyte v6, v7, s[22:23]
	s_addc_u32 s19, s19, 0
	s_waitcnt vmcnt(0)
	v_and_b32_e32 v6, 0xffff, v6
	v_lshlrev_b64 v[18:19], s4, v[6:7]
	s_add_u32 s4, s4, 8
	s_addc_u32 s5, s5, 0
	s_cmp_lg_u32 s21, s18
	v_or_b32_e32 v16, v18, v16
	v_or_b32_e32 v17, v19, v17
	s_cbranch_scc1 .LBB73_60
.LBB73_61:                              ;   in Loop: Header=BB73_29 Depth=1
	s_mov_b64 s[4:5], s[16:17]
	s_mov_b32 s20, 0
	s_cbranch_execz .LBB73_63
	s_branch .LBB73_64
.LBB73_62:                              ;   in Loop: Header=BB73_29 Depth=1
	s_mov_b32 s20, 0
.LBB73_63:                              ;   in Loop: Header=BB73_29 Depth=1
	global_load_dwordx2 v[16:17], v7, s[16:17]
	s_add_i32 s20, s21, -8
.LBB73_64:                              ;   in Loop: Header=BB73_29 Depth=1
	s_add_u32 s16, s4, 8
	s_addc_u32 s17, s5, 0
	s_cmp_gt_u32 s20, 7
	s_cbranch_scc1 .LBB73_69
; %bb.65:                               ;   in Loop: Header=BB73_29 Depth=1
	v_mov_b32_e32 v18, 0
	v_mov_b32_e32 v19, 0
	s_cmp_eq_u32 s20, 0
	s_cbranch_scc1 .LBB73_68
; %bb.66:                               ;   in Loop: Header=BB73_29 Depth=1
	s_mov_b64 s[16:17], 0
	s_mov_b64 s[18:19], 0
.LBB73_67:                              ;   Parent Loop BB73_29 Depth=1
                                        ; =>  This Inner Loop Header: Depth=2
	s_add_u32 s22, s4, s18
	s_addc_u32 s23, s5, s19
	s_add_u32 s18, s18, 1
	global_load_ubyte v6, v7, s[22:23]
	s_addc_u32 s19, s19, 0
	s_waitcnt vmcnt(0)
	v_and_b32_e32 v6, 0xffff, v6
	v_lshlrev_b64 v[20:21], s16, v[6:7]
	s_add_u32 s16, s16, 8
	s_addc_u32 s17, s17, 0
	s_cmp_lg_u32 s20, s18
	v_or_b32_e32 v18, v20, v18
	v_or_b32_e32 v19, v21, v19
	s_cbranch_scc1 .LBB73_67
.LBB73_68:                              ;   in Loop: Header=BB73_29 Depth=1
	s_mov_b64 s[16:17], s[4:5]
	s_mov_b32 s21, 0
	s_cbranch_execz .LBB73_70
	s_branch .LBB73_71
.LBB73_69:                              ;   in Loop: Header=BB73_29 Depth=1
                                        ; implicit-def: $vgpr18_vgpr19
	s_mov_b32 s21, 0
.LBB73_70:                              ;   in Loop: Header=BB73_29 Depth=1
	global_load_dwordx2 v[18:19], v7, s[4:5]
	s_add_i32 s21, s20, -8
.LBB73_71:                              ;   in Loop: Header=BB73_29 Depth=1
	s_cmp_gt_u32 s21, 7
	s_cbranch_scc1 .LBB73_76
; %bb.72:                               ;   in Loop: Header=BB73_29 Depth=1
	v_mov_b32_e32 v20, 0
	v_mov_b32_e32 v21, 0
	s_cmp_eq_u32 s21, 0
	s_cbranch_scc1 .LBB73_75
; %bb.73:                               ;   in Loop: Header=BB73_29 Depth=1
	s_mov_b64 s[4:5], 0
	s_mov_b64 s[18:19], s[16:17]
.LBB73_74:                              ;   Parent Loop BB73_29 Depth=1
                                        ; =>  This Inner Loop Header: Depth=2
	global_load_ubyte v6, v7, s[18:19]
	s_add_i32 s21, s21, -1
	s_waitcnt vmcnt(0)
	v_and_b32_e32 v6, 0xffff, v6
	v_lshlrev_b64 v[22:23], s4, v[6:7]
	s_add_u32 s4, s4, 8
	s_addc_u32 s5, s5, 0
	s_add_u32 s18, s18, 1
	s_addc_u32 s19, s19, 0
	s_cmp_lg_u32 s21, 0
	v_or_b32_e32 v20, v22, v20
	v_or_b32_e32 v21, v23, v21
	s_cbranch_scc1 .LBB73_74
.LBB73_75:                              ;   in Loop: Header=BB73_29 Depth=1
	s_cbranch_execz .LBB73_77
	s_branch .LBB73_78
.LBB73_76:                              ;   in Loop: Header=BB73_29 Depth=1
.LBB73_77:                              ;   in Loop: Header=BB73_29 Depth=1
	global_load_dwordx2 v[20:21], v7, s[16:17]
.LBB73_78:                              ;   in Loop: Header=BB73_29 Depth=1
	v_readfirstlane_b32 s4, v29
	v_mov_b32_e32 v26, 0
	v_mov_b32_e32 v27, 0
	v_cmp_eq_u32_e64 s4, s4, v29
	s_and_saveexec_b32 s5, s4
	s_cbranch_execz .LBB73_84
; %bb.79:                               ;   in Loop: Header=BB73_29 Depth=1
	global_load_dwordx2 v[24:25], v7, s[6:7] offset:24 glc dlc
	s_waitcnt vmcnt(0)
	buffer_gl1_inv
	buffer_gl0_inv
	s_clause 0x1
	global_load_dwordx2 v[22:23], v7, s[6:7] offset:40
	global_load_dwordx2 v[26:27], v7, s[6:7]
	s_mov_b32 s16, exec_lo
	s_waitcnt vmcnt(1)
	v_and_b32_e32 v6, v23, v25
	v_and_b32_e32 v22, v22, v24
	v_mul_lo_u32 v6, v6, 24
	v_mul_hi_u32 v23, v22, 24
	v_mul_lo_u32 v22, v22, 24
	v_add_nc_u32_e32 v6, v23, v6
	s_waitcnt vmcnt(0)
	v_add_co_u32 v22, vcc_lo, v26, v22
	v_add_co_ci_u32_e64 v23, null, v27, v6, vcc_lo
	global_load_dwordx2 v[22:23], v[22:23], off glc dlc
	s_waitcnt vmcnt(0)
	global_atomic_cmpswap_x2 v[26:27], v7, v[22:25], s[6:7] offset:24 glc
	s_waitcnt vmcnt(0)
	buffer_gl1_inv
	buffer_gl0_inv
	v_cmpx_ne_u64_e64 v[26:27], v[24:25]
	s_cbranch_execz .LBB73_83
; %bb.80:                               ;   in Loop: Header=BB73_29 Depth=1
	s_mov_b32 s17, 0
	.p2align	6
.LBB73_81:                              ;   Parent Loop BB73_29 Depth=1
                                        ; =>  This Inner Loop Header: Depth=2
	s_sleep 1
	s_clause 0x1
	global_load_dwordx2 v[22:23], v7, s[6:7] offset:40
	global_load_dwordx2 v[31:32], v7, s[6:7]
	v_mov_b32_e32 v24, v26
	v_mov_b32_e32 v25, v27
	s_waitcnt vmcnt(1)
	v_and_b32_e32 v6, v22, v24
	v_and_b32_e32 v22, v23, v25
	s_waitcnt vmcnt(0)
	v_mad_u64_u32 v[26:27], null, v6, 24, v[31:32]
	v_mov_b32_e32 v6, v27
	v_mad_u64_u32 v[22:23], null, v22, 24, v[6:7]
	v_mov_b32_e32 v27, v22
	global_load_dwordx2 v[22:23], v[26:27], off glc dlc
	s_waitcnt vmcnt(0)
	global_atomic_cmpswap_x2 v[26:27], v7, v[22:25], s[6:7] offset:24 glc
	s_waitcnt vmcnt(0)
	buffer_gl1_inv
	buffer_gl0_inv
	v_cmp_eq_u64_e32 vcc_lo, v[26:27], v[24:25]
	s_or_b32 s17, vcc_lo, s17
	s_andn2_b32 exec_lo, exec_lo, s17
	s_cbranch_execnz .LBB73_81
; %bb.82:                               ;   in Loop: Header=BB73_29 Depth=1
	s_or_b32 exec_lo, exec_lo, s17
.LBB73_83:                              ;   in Loop: Header=BB73_29 Depth=1
	s_or_b32 exec_lo, exec_lo, s16
.LBB73_84:                              ;   in Loop: Header=BB73_29 Depth=1
	s_or_b32 exec_lo, exec_lo, s5
	s_clause 0x1
	global_load_dwordx2 v[31:32], v7, s[6:7] offset:40
	global_load_dwordx4 v[22:25], v7, s[6:7]
	v_readfirstlane_b32 s17, v27
	v_readfirstlane_b32 s16, v26
	s_mov_b32 s5, exec_lo
	s_waitcnt vmcnt(1)
	v_readfirstlane_b32 s18, v31
	v_readfirstlane_b32 s19, v32
	s_and_b64 s[18:19], s[18:19], s[16:17]
	s_mul_i32 s20, s19, 24
	s_mul_hi_u32 s21, s18, 24
	s_mul_i32 s22, s18, 24
	s_add_i32 s21, s21, s20
	s_waitcnt vmcnt(0)
	v_add_co_u32 v26, vcc_lo, v22, s22
	v_add_co_ci_u32_e64 v27, null, s21, v23, vcc_lo
	s_and_saveexec_b32 s20, s4
	s_cbranch_execz .LBB73_86
; %bb.85:                               ;   in Loop: Header=BB73_29 Depth=1
	v_mov_b32_e32 v6, s5
	global_store_dwordx4 v[26:27], v[6:9], off offset:8
.LBB73_86:                              ;   in Loop: Header=BB73_29 Depth=1
	s_or_b32 exec_lo, exec_lo, s20
	v_cmp_lt_u64_e64 vcc_lo, s[12:13], 57
	s_lshl_b64 s[18:19], s[18:19], 12
	v_and_b32_e32 v0, 0xffffff1f, v0
	s_lshl_b32 s5, s14, 2
	s_add_i32 s5, s5, 28
	v_cndmask_b32_e32 v6, 0, v30, vcc_lo
	v_add_co_u32 v24, vcc_lo, v24, s18
	v_add_co_ci_u32_e64 v25, null, s19, v25, vcc_lo
	v_or_b32_e32 v0, v0, v6
	v_readfirstlane_b32 s18, v24
	v_readfirstlane_b32 s19, v25
	v_and_or_b32 v0, 0x1e0, s5, v0
	global_store_dwordx4 v28, v[10:13], s[18:19] offset:16
	global_store_dwordx4 v28, v[0:3], s[18:19]
	global_store_dwordx4 v28, v[14:17], s[18:19] offset:32
	global_store_dwordx4 v28, v[18:21], s[18:19] offset:48
	s_and_saveexec_b32 s5, s4
	s_cbranch_execz .LBB73_94
; %bb.87:                               ;   in Loop: Header=BB73_29 Depth=1
	s_clause 0x1
	global_load_dwordx2 v[14:15], v7, s[6:7] offset:32 glc dlc
	global_load_dwordx2 v[0:1], v7, s[6:7] offset:40
	v_mov_b32_e32 v12, s16
	v_mov_b32_e32 v13, s17
	s_waitcnt vmcnt(0)
	v_readfirstlane_b32 s18, v0
	v_readfirstlane_b32 s19, v1
	s_and_b64 s[18:19], s[18:19], s[16:17]
	s_mul_i32 s19, s19, 24
	s_mul_hi_u32 s20, s18, 24
	s_mul_i32 s18, s18, 24
	s_add_i32 s20, s20, s19
	v_add_co_u32 v10, vcc_lo, v22, s18
	v_add_co_ci_u32_e64 v11, null, s20, v23, vcc_lo
	s_mov_b32 s18, exec_lo
	global_store_dwordx2 v[10:11], v[14:15], off
	s_waitcnt_vscnt null, 0x0
	global_atomic_cmpswap_x2 v[2:3], v7, v[12:15], s[6:7] offset:32 glc
	s_waitcnt vmcnt(0)
	v_cmpx_ne_u64_e64 v[2:3], v[14:15]
	s_cbranch_execz .LBB73_90
; %bb.88:                               ;   in Loop: Header=BB73_29 Depth=1
	s_mov_b32 s19, 0
.LBB73_89:                              ;   Parent Loop BB73_29 Depth=1
                                        ; =>  This Inner Loop Header: Depth=2
	v_mov_b32_e32 v0, s16
	v_mov_b32_e32 v1, s17
	s_sleep 1
	global_store_dwordx2 v[10:11], v[2:3], off
	s_waitcnt_vscnt null, 0x0
	global_atomic_cmpswap_x2 v[0:1], v7, v[0:3], s[6:7] offset:32 glc
	s_waitcnt vmcnt(0)
	v_cmp_eq_u64_e32 vcc_lo, v[0:1], v[2:3]
	v_mov_b32_e32 v3, v1
	v_mov_b32_e32 v2, v0
	s_or_b32 s19, vcc_lo, s19
	s_andn2_b32 exec_lo, exec_lo, s19
	s_cbranch_execnz .LBB73_89
.LBB73_90:                              ;   in Loop: Header=BB73_29 Depth=1
	s_or_b32 exec_lo, exec_lo, s18
	global_load_dwordx2 v[0:1], v7, s[6:7] offset:16
	s_mov_b32 s19, exec_lo
	s_mov_b32 s18, exec_lo
	v_mbcnt_lo_u32_b32 v2, s19, 0
	v_cmpx_eq_u32_e32 0, v2
	s_cbranch_execz .LBB73_92
; %bb.91:                               ;   in Loop: Header=BB73_29 Depth=1
	s_bcnt1_i32_b32 s19, s19
	v_mov_b32_e32 v6, s19
	s_waitcnt vmcnt(0)
	global_atomic_add_x2 v[0:1], v[6:7], off offset:8
.LBB73_92:                              ;   in Loop: Header=BB73_29 Depth=1
	s_or_b32 exec_lo, exec_lo, s18
	s_waitcnt vmcnt(0)
	global_load_dwordx2 v[2:3], v[0:1], off offset:16
	s_waitcnt vmcnt(0)
	v_cmp_eq_u64_e32 vcc_lo, 0, v[2:3]
	s_cbranch_vccnz .LBB73_94
; %bb.93:                               ;   in Loop: Header=BB73_29 Depth=1
	global_load_dword v6, v[0:1], off offset:24
	s_waitcnt vmcnt(0)
	v_readfirstlane_b32 s18, v6
	s_waitcnt_vscnt null, 0x0
	global_store_dwordx2 v[2:3], v[6:7], off
	s_and_b32 m0, s18, 0x7fffff
	s_sendmsg sendmsg(MSG_INTERRUPT)
.LBB73_94:                              ;   in Loop: Header=BB73_29 Depth=1
	s_or_b32 exec_lo, exec_lo, s5
	v_add_co_u32 v0, vcc_lo, v24, v28
	v_add_co_ci_u32_e64 v1, null, 0, v25, vcc_lo
	s_branch .LBB73_98
	.p2align	6
.LBB73_95:                              ;   in Loop: Header=BB73_98 Depth=2
	s_or_b32 exec_lo, exec_lo, s5
	v_readfirstlane_b32 s5, v2
	s_cmp_eq_u32 s5, 0
	s_cbranch_scc1 .LBB73_97
; %bb.96:                               ;   in Loop: Header=BB73_98 Depth=2
	s_sleep 1
	s_cbranch_execnz .LBB73_98
	s_branch .LBB73_100
	.p2align	6
.LBB73_97:                              ;   in Loop: Header=BB73_29 Depth=1
	s_branch .LBB73_100
.LBB73_98:                              ;   Parent Loop BB73_29 Depth=1
                                        ; =>  This Inner Loop Header: Depth=2
	v_mov_b32_e32 v2, 1
	s_and_saveexec_b32 s5, s4
	s_cbranch_execz .LBB73_95
; %bb.99:                               ;   in Loop: Header=BB73_98 Depth=2
	global_load_dword v2, v[26:27], off offset:20 glc dlc
	s_waitcnt vmcnt(0)
	buffer_gl1_inv
	buffer_gl0_inv
	v_and_b32_e32 v2, 1, v2
	s_branch .LBB73_95
.LBB73_100:                             ;   in Loop: Header=BB73_29 Depth=1
	global_load_dwordx2 v[0:1], v[0:1], off
	s_and_saveexec_b32 s18, s4
	s_cbranch_execz .LBB73_28
; %bb.101:                              ;   in Loop: Header=BB73_29 Depth=1
	s_clause 0x2
	global_load_dwordx2 v[2:3], v7, s[6:7] offset:40
	global_load_dwordx2 v[14:15], v7, s[6:7] offset:24 glc dlc
	global_load_dwordx2 v[10:11], v7, s[6:7]
	s_waitcnt vmcnt(2)
	v_readfirstlane_b32 s20, v2
	v_readfirstlane_b32 s21, v3
	s_add_u32 s19, s20, 1
	s_addc_u32 s22, s21, 0
	s_add_u32 s4, s19, s16
	s_addc_u32 s5, s22, s17
	s_cmp_eq_u64 s[4:5], 0
	s_cselect_b32 s5, s22, s5
	s_cselect_b32 s4, s19, s4
	v_mov_b32_e32 v13, s5
	s_and_b64 s[16:17], s[4:5], s[20:21]
	v_mov_b32_e32 v12, s4
	s_mul_i32 s17, s17, 24
	s_mul_hi_u32 s19, s16, 24
	s_mul_i32 s16, s16, 24
	s_add_i32 s19, s19, s17
	s_waitcnt vmcnt(0)
	v_add_co_u32 v2, vcc_lo, v10, s16
	v_add_co_ci_u32_e64 v3, null, s19, v11, vcc_lo
	global_store_dwordx2 v[2:3], v[14:15], off
	s_waitcnt_vscnt null, 0x0
	global_atomic_cmpswap_x2 v[12:13], v7, v[12:15], s[6:7] offset:24 glc
	s_waitcnt vmcnt(0)
	v_cmp_ne_u64_e32 vcc_lo, v[12:13], v[14:15]
	s_and_b32 exec_lo, exec_lo, vcc_lo
	s_cbranch_execz .LBB73_28
; %bb.102:                              ;   in Loop: Header=BB73_29 Depth=1
	s_mov_b32 s16, 0
.LBB73_103:                             ;   Parent Loop BB73_29 Depth=1
                                        ; =>  This Inner Loop Header: Depth=2
	v_mov_b32_e32 v10, s4
	v_mov_b32_e32 v11, s5
	s_sleep 1
	global_store_dwordx2 v[2:3], v[12:13], off
	s_waitcnt_vscnt null, 0x0
	global_atomic_cmpswap_x2 v[10:11], v7, v[10:13], s[6:7] offset:24 glc
	s_waitcnt vmcnt(0)
	v_cmp_eq_u64_e32 vcc_lo, v[10:11], v[12:13]
	v_mov_b32_e32 v13, v11
	v_mov_b32_e32 v12, v10
	s_or_b32 s16, vcc_lo, s16
	s_andn2_b32 exec_lo, exec_lo, s16
	s_cbranch_execnz .LBB73_103
	s_branch .LBB73_28
.LBB73_104:
                                        ; implicit-def: $vgpr0_vgpr1
	s_cbranch_execnz .LBB73_106
	s_branch .LBB73_133
.LBB73_105:
	s_branch .LBB73_133
.LBB73_106:
	v_readfirstlane_b32 s4, v29
	v_mov_b32_e32 v7, 0
	v_mov_b32_e32 v8, 0
	v_cmp_eq_u32_e64 s4, s4, v29
	s_and_saveexec_b32 s5, s4
	s_cbranch_execz .LBB73_112
; %bb.107:
	s_waitcnt vmcnt(0)
	v_mov_b32_e32 v0, 0
	s_mov_b32 s10, exec_lo
	global_load_dwordx2 v[9:10], v0, s[6:7] offset:24 glc dlc
	s_waitcnt vmcnt(0)
	buffer_gl1_inv
	buffer_gl0_inv
	s_clause 0x1
	global_load_dwordx2 v[1:2], v0, s[6:7] offset:40
	global_load_dwordx2 v[6:7], v0, s[6:7]
	s_waitcnt vmcnt(1)
	v_and_b32_e32 v2, v2, v10
	v_and_b32_e32 v1, v1, v9
	v_mul_lo_u32 v2, v2, 24
	v_mul_hi_u32 v3, v1, 24
	v_mul_lo_u32 v1, v1, 24
	v_add_nc_u32_e32 v2, v3, v2
	s_waitcnt vmcnt(0)
	v_add_co_u32 v1, vcc_lo, v6, v1
	v_add_co_ci_u32_e64 v2, null, v7, v2, vcc_lo
	global_load_dwordx2 v[7:8], v[1:2], off glc dlc
	s_waitcnt vmcnt(0)
	global_atomic_cmpswap_x2 v[7:8], v0, v[7:10], s[6:7] offset:24 glc
	s_waitcnt vmcnt(0)
	buffer_gl1_inv
	buffer_gl0_inv
	v_cmpx_ne_u64_e64 v[7:8], v[9:10]
	s_cbranch_execz .LBB73_111
; %bb.108:
	s_mov_b32 s11, 0
	.p2align	6
.LBB73_109:                             ; =>This Inner Loop Header: Depth=1
	s_sleep 1
	s_clause 0x1
	global_load_dwordx2 v[1:2], v0, s[6:7] offset:40
	global_load_dwordx2 v[11:12], v0, s[6:7]
	v_mov_b32_e32 v10, v8
	v_mov_b32_e32 v9, v7
	s_waitcnt vmcnt(1)
	v_and_b32_e32 v1, v1, v9
	v_and_b32_e32 v2, v2, v10
	s_waitcnt vmcnt(0)
	v_mad_u64_u32 v[6:7], null, v1, 24, v[11:12]
	v_mov_b32_e32 v1, v7
	v_mad_u64_u32 v[1:2], null, v2, 24, v[1:2]
	v_mov_b32_e32 v7, v1
	global_load_dwordx2 v[7:8], v[6:7], off glc dlc
	s_waitcnt vmcnt(0)
	global_atomic_cmpswap_x2 v[7:8], v0, v[7:10], s[6:7] offset:24 glc
	s_waitcnt vmcnt(0)
	buffer_gl1_inv
	buffer_gl0_inv
	v_cmp_eq_u64_e32 vcc_lo, v[7:8], v[9:10]
	s_or_b32 s11, vcc_lo, s11
	s_andn2_b32 exec_lo, exec_lo, s11
	s_cbranch_execnz .LBB73_109
; %bb.110:
	s_or_b32 exec_lo, exec_lo, s11
.LBB73_111:
	s_or_b32 exec_lo, exec_lo, s10
.LBB73_112:
	s_or_b32 exec_lo, exec_lo, s5
	v_mov_b32_e32 v6, 0
	v_readfirstlane_b32 s11, v8
	v_readfirstlane_b32 s10, v7
	s_mov_b32 s5, exec_lo
	s_clause 0x1
	global_load_dwordx2 v[9:10], v6, s[6:7] offset:40
	global_load_dwordx4 v[0:3], v6, s[6:7]
	s_waitcnt vmcnt(1)
	v_readfirstlane_b32 s12, v9
	v_readfirstlane_b32 s13, v10
	s_and_b64 s[12:13], s[12:13], s[10:11]
	s_mul_i32 s14, s13, 24
	s_mul_hi_u32 s15, s12, 24
	s_mul_i32 s16, s12, 24
	s_add_i32 s15, s15, s14
	s_waitcnt vmcnt(0)
	v_add_co_u32 v8, vcc_lo, v0, s16
	v_add_co_ci_u32_e64 v9, null, s15, v1, vcc_lo
	s_and_saveexec_b32 s14, s4
	s_cbranch_execz .LBB73_114
; %bb.113:
	v_mov_b32_e32 v10, s5
	v_mov_b32_e32 v11, v6
	;; [unrolled: 1-line block ×4, first 2 shown]
	global_store_dwordx4 v[8:9], v[10:13], off offset:8
.LBB73_114:
	s_or_b32 exec_lo, exec_lo, s14
	s_lshl_b64 s[12:13], s[12:13], 12
	v_and_or_b32 v4, 0xffffff1f, v4, 32
	v_add_co_u32 v2, vcc_lo, v2, s12
	v_add_co_ci_u32_e64 v3, null, s13, v3, vcc_lo
	s_mov_b32 s12, 0
	v_add_co_u32 v10, vcc_lo, v2, v28
	s_mov_b32 s13, s12
	s_mov_b32 s14, s12
	;; [unrolled: 1-line block ×3, first 2 shown]
	v_mov_b32_e32 v7, v6
	v_readfirstlane_b32 s16, v2
	v_readfirstlane_b32 s17, v3
	v_mov_b32_e32 v12, s12
	v_add_co_ci_u32_e64 v11, null, 0, v3, vcc_lo
	v_mov_b32_e32 v13, s13
	v_mov_b32_e32 v14, s14
	;; [unrolled: 1-line block ×3, first 2 shown]
	global_store_dwordx4 v28, v[4:7], s[16:17]
	global_store_dwordx4 v28, v[12:15], s[16:17] offset:16
	global_store_dwordx4 v28, v[12:15], s[16:17] offset:32
	;; [unrolled: 1-line block ×3, first 2 shown]
	s_and_saveexec_b32 s5, s4
	s_cbranch_execz .LBB73_122
; %bb.115:
	v_mov_b32_e32 v6, 0
	v_mov_b32_e32 v12, s10
	v_mov_b32_e32 v13, s11
	s_clause 0x1
	global_load_dwordx2 v[14:15], v6, s[6:7] offset:32 glc dlc
	global_load_dwordx2 v[2:3], v6, s[6:7] offset:40
	s_waitcnt vmcnt(0)
	v_readfirstlane_b32 s12, v2
	v_readfirstlane_b32 s13, v3
	s_and_b64 s[12:13], s[12:13], s[10:11]
	s_mul_i32 s13, s13, 24
	s_mul_hi_u32 s14, s12, 24
	s_mul_i32 s12, s12, 24
	s_add_i32 s14, s14, s13
	v_add_co_u32 v4, vcc_lo, v0, s12
	v_add_co_ci_u32_e64 v5, null, s14, v1, vcc_lo
	s_mov_b32 s12, exec_lo
	global_store_dwordx2 v[4:5], v[14:15], off
	s_waitcnt_vscnt null, 0x0
	global_atomic_cmpswap_x2 v[2:3], v6, v[12:15], s[6:7] offset:32 glc
	s_waitcnt vmcnt(0)
	v_cmpx_ne_u64_e64 v[2:3], v[14:15]
	s_cbranch_execz .LBB73_118
; %bb.116:
	s_mov_b32 s13, 0
.LBB73_117:                             ; =>This Inner Loop Header: Depth=1
	v_mov_b32_e32 v0, s10
	v_mov_b32_e32 v1, s11
	s_sleep 1
	global_store_dwordx2 v[4:5], v[2:3], off
	s_waitcnt_vscnt null, 0x0
	global_atomic_cmpswap_x2 v[0:1], v6, v[0:3], s[6:7] offset:32 glc
	s_waitcnt vmcnt(0)
	v_cmp_eq_u64_e32 vcc_lo, v[0:1], v[2:3]
	v_mov_b32_e32 v3, v1
	v_mov_b32_e32 v2, v0
	s_or_b32 s13, vcc_lo, s13
	s_andn2_b32 exec_lo, exec_lo, s13
	s_cbranch_execnz .LBB73_117
.LBB73_118:
	s_or_b32 exec_lo, exec_lo, s12
	v_mov_b32_e32 v3, 0
	s_mov_b32 s13, exec_lo
	s_mov_b32 s12, exec_lo
	v_mbcnt_lo_u32_b32 v2, s13, 0
	global_load_dwordx2 v[0:1], v3, s[6:7] offset:16
	v_cmpx_eq_u32_e32 0, v2
	s_cbranch_execz .LBB73_120
; %bb.119:
	s_bcnt1_i32_b32 s13, s13
	v_mov_b32_e32 v2, s13
	s_waitcnt vmcnt(0)
	global_atomic_add_x2 v[0:1], v[2:3], off offset:8
.LBB73_120:
	s_or_b32 exec_lo, exec_lo, s12
	s_waitcnt vmcnt(0)
	global_load_dwordx2 v[2:3], v[0:1], off offset:16
	s_waitcnt vmcnt(0)
	v_cmp_eq_u64_e32 vcc_lo, 0, v[2:3]
	s_cbranch_vccnz .LBB73_122
; %bb.121:
	global_load_dword v0, v[0:1], off offset:24
	v_mov_b32_e32 v1, 0
	s_waitcnt vmcnt(0)
	v_readfirstlane_b32 s12, v0
	s_waitcnt_vscnt null, 0x0
	global_store_dwordx2 v[2:3], v[0:1], off
	s_and_b32 m0, s12, 0x7fffff
	s_sendmsg sendmsg(MSG_INTERRUPT)
.LBB73_122:
	s_or_b32 exec_lo, exec_lo, s5
	s_branch .LBB73_126
	.p2align	6
.LBB73_123:                             ;   in Loop: Header=BB73_126 Depth=1
	s_or_b32 exec_lo, exec_lo, s5
	v_readfirstlane_b32 s5, v0
	s_cmp_eq_u32 s5, 0
	s_cbranch_scc1 .LBB73_125
; %bb.124:                              ;   in Loop: Header=BB73_126 Depth=1
	s_sleep 1
	s_cbranch_execnz .LBB73_126
	s_branch .LBB73_128
	.p2align	6
.LBB73_125:
	s_branch .LBB73_128
.LBB73_126:                             ; =>This Inner Loop Header: Depth=1
	v_mov_b32_e32 v0, 1
	s_and_saveexec_b32 s5, s4
	s_cbranch_execz .LBB73_123
; %bb.127:                              ;   in Loop: Header=BB73_126 Depth=1
	global_load_dword v0, v[8:9], off offset:20 glc dlc
	s_waitcnt vmcnt(0)
	buffer_gl1_inv
	buffer_gl0_inv
	v_and_b32_e32 v0, 1, v0
	s_branch .LBB73_123
.LBB73_128:
	global_load_dwordx2 v[0:1], v[10:11], off
	s_and_saveexec_b32 s12, s4
	s_cbranch_execz .LBB73_132
; %bb.129:
	v_mov_b32_e32 v8, 0
	s_clause 0x2
	global_load_dwordx2 v[2:3], v8, s[6:7] offset:40
	global_load_dwordx2 v[11:12], v8, s[6:7] offset:24 glc dlc
	global_load_dwordx2 v[4:5], v8, s[6:7]
	s_waitcnt vmcnt(2)
	v_readfirstlane_b32 s14, v2
	v_readfirstlane_b32 s15, v3
	s_add_u32 s13, s14, 1
	s_addc_u32 s16, s15, 0
	s_add_u32 s4, s13, s10
	s_addc_u32 s5, s16, s11
	s_cmp_eq_u64 s[4:5], 0
	s_cselect_b32 s5, s16, s5
	s_cselect_b32 s4, s13, s4
	v_mov_b32_e32 v10, s5
	s_and_b64 s[10:11], s[4:5], s[14:15]
	v_mov_b32_e32 v9, s4
	s_mul_i32 s11, s11, 24
	s_mul_hi_u32 s13, s10, 24
	s_mul_i32 s10, s10, 24
	s_add_i32 s13, s13, s11
	s_waitcnt vmcnt(0)
	v_add_co_u32 v6, vcc_lo, v4, s10
	v_add_co_ci_u32_e64 v7, null, s13, v5, vcc_lo
	global_store_dwordx2 v[6:7], v[11:12], off
	s_waitcnt_vscnt null, 0x0
	global_atomic_cmpswap_x2 v[4:5], v8, v[9:12], s[6:7] offset:24 glc
	s_waitcnt vmcnt(0)
	v_cmp_ne_u64_e32 vcc_lo, v[4:5], v[11:12]
	s_and_b32 exec_lo, exec_lo, vcc_lo
	s_cbranch_execz .LBB73_132
; %bb.130:
	s_mov_b32 s10, 0
.LBB73_131:                             ; =>This Inner Loop Header: Depth=1
	v_mov_b32_e32 v2, s4
	v_mov_b32_e32 v3, s5
	s_sleep 1
	global_store_dwordx2 v[6:7], v[4:5], off
	s_waitcnt_vscnt null, 0x0
	global_atomic_cmpswap_x2 v[2:3], v8, v[2:5], s[6:7] offset:24 glc
	s_waitcnt vmcnt(0)
	v_cmp_eq_u64_e32 vcc_lo, v[2:3], v[4:5]
	v_mov_b32_e32 v5, v3
	v_mov_b32_e32 v4, v2
	s_or_b32 s10, vcc_lo, s10
	s_andn2_b32 exec_lo, exec_lo, s10
	s_cbranch_execnz .LBB73_131
.LBB73_132:
	s_or_b32 exec_lo, exec_lo, s12
.LBB73_133:
	s_getpc_b64 s[4:5]
	s_add_u32 s4, s4, .str.3@rel32@lo+4
	s_addc_u32 s5, s5, .str.3@rel32@hi+12
	s_mov_b64 s[10:11], 0
	s_cmp_lg_u64 s[4:5], 0
	s_cselect_b32 s12, -1, 0
	s_cmp_eq_u64 s[4:5], 0
	s_cbranch_scc1 .LBB73_137
; %bb.134:
	v_mov_b32_e32 v2, 0
	s_getpc_b64 s[4:5]
	s_add_u32 s4, s4, .str.3@rel32@lo+3
	s_addc_u32 s5, s5, .str.3@rel32@hi+11
.LBB73_135:                             ; =>This Inner Loop Header: Depth=1
	global_load_ubyte v3, v2, s[4:5] offset:1
	s_add_u32 s10, s4, 1
	s_addc_u32 s11, s5, 0
	s_mov_b64 s[4:5], s[10:11]
	s_waitcnt vmcnt(0)
	v_cmp_ne_u32_e32 vcc_lo, 0, v3
	s_cbranch_vccnz .LBB73_135
; %bb.136:
	s_getpc_b64 s[4:5]
	s_add_u32 s4, s4, .str.3@rel32@lo+4
	s_addc_u32 s5, s5, .str.3@rel32@hi+12
	s_sub_u32 s4, s10, s4
	s_subb_u32 s5, s11, s5
	s_add_u32 s10, s4, 1
	s_addc_u32 s11, s5, 0
.LBB73_137:
	s_and_b32 vcc_lo, exec_lo, s12
	s_cbranch_vccz .LBB73_215
; %bb.138:
	s_waitcnt vmcnt(0)
	v_and_b32_e32 v30, 2, v0
	v_mov_b32_e32 v7, 0
	v_and_b32_e32 v2, -3, v0
	v_mov_b32_e32 v3, v1
	v_mov_b32_e32 v8, 2
	;; [unrolled: 1-line block ×3, first 2 shown]
	s_getpc_b64 s[12:13]
	s_add_u32 s12, s12, .str.3@rel32@lo+4
	s_addc_u32 s13, s13, .str.3@rel32@hi+12
	s_branch .LBB73_140
.LBB73_139:                             ;   in Loop: Header=BB73_140 Depth=1
	s_or_b32 exec_lo, exec_lo, s18
	s_sub_u32 s10, s10, s14
	s_subb_u32 s11, s11, s15
	s_add_u32 s12, s12, s14
	s_addc_u32 s13, s13, s15
	s_cmp_lg_u64 s[10:11], 0
	s_cbranch_scc0 .LBB73_216
.LBB73_140:                             ; =>This Loop Header: Depth=1
                                        ;     Child Loop BB73_143 Depth 2
                                        ;     Child Loop BB73_150 Depth 2
	;; [unrolled: 1-line block ×11, first 2 shown]
	v_cmp_lt_u64_e64 s4, s[10:11], 56
	v_cmp_gt_u64_e64 s16, s[10:11], 7
	s_and_b32 s4, s4, exec_lo
	s_cselect_b32 s15, s11, 0
	s_cselect_b32 s14, s10, 56
	s_add_u32 s4, s12, 8
	s_addc_u32 s5, s13, 0
	s_and_b32 vcc_lo, exec_lo, s16
	s_cbranch_vccnz .LBB73_145
; %bb.141:                              ;   in Loop: Header=BB73_140 Depth=1
	v_mov_b32_e32 v4, 0
	v_mov_b32_e32 v5, 0
	s_cmp_eq_u64 s[10:11], 0
	s_cbranch_scc1 .LBB73_144
; %bb.142:                              ;   in Loop: Header=BB73_140 Depth=1
	s_lshl_b64 s[4:5], s[14:15], 3
	s_mov_b64 s[16:17], 0
	s_mov_b64 s[18:19], s[12:13]
.LBB73_143:                             ;   Parent Loop BB73_140 Depth=1
                                        ; =>  This Inner Loop Header: Depth=2
	global_load_ubyte v6, v7, s[18:19]
	s_waitcnt vmcnt(0)
	v_and_b32_e32 v6, 0xffff, v6
	v_lshlrev_b64 v[10:11], s16, v[6:7]
	s_add_u32 s16, s16, 8
	s_addc_u32 s17, s17, 0
	s_add_u32 s18, s18, 1
	s_addc_u32 s19, s19, 0
	s_cmp_lg_u32 s4, s16
	v_or_b32_e32 v4, v10, v4
	v_or_b32_e32 v5, v11, v5
	s_cbranch_scc1 .LBB73_143
.LBB73_144:                             ;   in Loop: Header=BB73_140 Depth=1
	s_mov_b64 s[4:5], s[12:13]
	s_mov_b32 s20, 0
	s_cbranch_execz .LBB73_146
	s_branch .LBB73_147
.LBB73_145:                             ;   in Loop: Header=BB73_140 Depth=1
	s_mov_b32 s20, 0
.LBB73_146:                             ;   in Loop: Header=BB73_140 Depth=1
	global_load_dwordx2 v[4:5], v7, s[12:13]
	s_add_i32 s20, s14, -8
.LBB73_147:                             ;   in Loop: Header=BB73_140 Depth=1
	s_add_u32 s16, s4, 8
	s_addc_u32 s17, s5, 0
	s_cmp_gt_u32 s20, 7
	s_cbranch_scc1 .LBB73_152
; %bb.148:                              ;   in Loop: Header=BB73_140 Depth=1
	v_mov_b32_e32 v10, 0
	v_mov_b32_e32 v11, 0
	s_cmp_eq_u32 s20, 0
	s_cbranch_scc1 .LBB73_151
; %bb.149:                              ;   in Loop: Header=BB73_140 Depth=1
	s_mov_b64 s[16:17], 0
	s_mov_b64 s[18:19], 0
.LBB73_150:                             ;   Parent Loop BB73_140 Depth=1
                                        ; =>  This Inner Loop Header: Depth=2
	s_add_u32 s22, s4, s18
	s_addc_u32 s23, s5, s19
	s_add_u32 s18, s18, 1
	global_load_ubyte v6, v7, s[22:23]
	s_addc_u32 s19, s19, 0
	s_waitcnt vmcnt(0)
	v_and_b32_e32 v6, 0xffff, v6
	v_lshlrev_b64 v[12:13], s16, v[6:7]
	s_add_u32 s16, s16, 8
	s_addc_u32 s17, s17, 0
	s_cmp_lg_u32 s20, s18
	v_or_b32_e32 v10, v12, v10
	v_or_b32_e32 v11, v13, v11
	s_cbranch_scc1 .LBB73_150
.LBB73_151:                             ;   in Loop: Header=BB73_140 Depth=1
	s_mov_b64 s[16:17], s[4:5]
	s_mov_b32 s21, 0
	s_cbranch_execz .LBB73_153
	s_branch .LBB73_154
.LBB73_152:                             ;   in Loop: Header=BB73_140 Depth=1
                                        ; implicit-def: $vgpr10_vgpr11
	s_mov_b32 s21, 0
.LBB73_153:                             ;   in Loop: Header=BB73_140 Depth=1
	global_load_dwordx2 v[10:11], v7, s[4:5]
	s_add_i32 s21, s20, -8
.LBB73_154:                             ;   in Loop: Header=BB73_140 Depth=1
	s_add_u32 s4, s16, 8
	s_addc_u32 s5, s17, 0
	s_cmp_gt_u32 s21, 7
	s_cbranch_scc1 .LBB73_159
; %bb.155:                              ;   in Loop: Header=BB73_140 Depth=1
	v_mov_b32_e32 v12, 0
	v_mov_b32_e32 v13, 0
	s_cmp_eq_u32 s21, 0
	s_cbranch_scc1 .LBB73_158
; %bb.156:                              ;   in Loop: Header=BB73_140 Depth=1
	s_mov_b64 s[4:5], 0
	s_mov_b64 s[18:19], 0
.LBB73_157:                             ;   Parent Loop BB73_140 Depth=1
                                        ; =>  This Inner Loop Header: Depth=2
	s_add_u32 s22, s16, s18
	s_addc_u32 s23, s17, s19
	s_add_u32 s18, s18, 1
	global_load_ubyte v6, v7, s[22:23]
	s_addc_u32 s19, s19, 0
	s_waitcnt vmcnt(0)
	v_and_b32_e32 v6, 0xffff, v6
	v_lshlrev_b64 v[14:15], s4, v[6:7]
	s_add_u32 s4, s4, 8
	s_addc_u32 s5, s5, 0
	s_cmp_lg_u32 s21, s18
	v_or_b32_e32 v12, v14, v12
	v_or_b32_e32 v13, v15, v13
	s_cbranch_scc1 .LBB73_157
.LBB73_158:                             ;   in Loop: Header=BB73_140 Depth=1
	s_mov_b64 s[4:5], s[16:17]
	s_mov_b32 s20, 0
	s_cbranch_execz .LBB73_160
	s_branch .LBB73_161
.LBB73_159:                             ;   in Loop: Header=BB73_140 Depth=1
	s_mov_b32 s20, 0
.LBB73_160:                             ;   in Loop: Header=BB73_140 Depth=1
	global_load_dwordx2 v[12:13], v7, s[16:17]
	s_add_i32 s20, s21, -8
.LBB73_161:                             ;   in Loop: Header=BB73_140 Depth=1
	s_add_u32 s16, s4, 8
	s_addc_u32 s17, s5, 0
	s_cmp_gt_u32 s20, 7
	s_cbranch_scc1 .LBB73_166
; %bb.162:                              ;   in Loop: Header=BB73_140 Depth=1
	v_mov_b32_e32 v14, 0
	v_mov_b32_e32 v15, 0
	s_cmp_eq_u32 s20, 0
	s_cbranch_scc1 .LBB73_165
; %bb.163:                              ;   in Loop: Header=BB73_140 Depth=1
	s_mov_b64 s[16:17], 0
	s_mov_b64 s[18:19], 0
.LBB73_164:                             ;   Parent Loop BB73_140 Depth=1
                                        ; =>  This Inner Loop Header: Depth=2
	s_add_u32 s22, s4, s18
	s_addc_u32 s23, s5, s19
	s_add_u32 s18, s18, 1
	global_load_ubyte v6, v7, s[22:23]
	s_addc_u32 s19, s19, 0
	s_waitcnt vmcnt(0)
	v_and_b32_e32 v6, 0xffff, v6
	v_lshlrev_b64 v[16:17], s16, v[6:7]
	s_add_u32 s16, s16, 8
	s_addc_u32 s17, s17, 0
	s_cmp_lg_u32 s20, s18
	v_or_b32_e32 v14, v16, v14
	v_or_b32_e32 v15, v17, v15
	s_cbranch_scc1 .LBB73_164
.LBB73_165:                             ;   in Loop: Header=BB73_140 Depth=1
	s_mov_b64 s[16:17], s[4:5]
	s_mov_b32 s21, 0
	s_cbranch_execz .LBB73_167
	s_branch .LBB73_168
.LBB73_166:                             ;   in Loop: Header=BB73_140 Depth=1
                                        ; implicit-def: $vgpr14_vgpr15
	s_mov_b32 s21, 0
.LBB73_167:                             ;   in Loop: Header=BB73_140 Depth=1
	global_load_dwordx2 v[14:15], v7, s[4:5]
	s_add_i32 s21, s20, -8
.LBB73_168:                             ;   in Loop: Header=BB73_140 Depth=1
	s_add_u32 s4, s16, 8
	s_addc_u32 s5, s17, 0
	s_cmp_gt_u32 s21, 7
	s_cbranch_scc1 .LBB73_173
; %bb.169:                              ;   in Loop: Header=BB73_140 Depth=1
	v_mov_b32_e32 v16, 0
	v_mov_b32_e32 v17, 0
	s_cmp_eq_u32 s21, 0
	s_cbranch_scc1 .LBB73_172
; %bb.170:                              ;   in Loop: Header=BB73_140 Depth=1
	s_mov_b64 s[4:5], 0
	s_mov_b64 s[18:19], 0
.LBB73_171:                             ;   Parent Loop BB73_140 Depth=1
                                        ; =>  This Inner Loop Header: Depth=2
	s_add_u32 s22, s16, s18
	s_addc_u32 s23, s17, s19
	s_add_u32 s18, s18, 1
	global_load_ubyte v6, v7, s[22:23]
	s_addc_u32 s19, s19, 0
	s_waitcnt vmcnt(0)
	v_and_b32_e32 v6, 0xffff, v6
	v_lshlrev_b64 v[18:19], s4, v[6:7]
	s_add_u32 s4, s4, 8
	s_addc_u32 s5, s5, 0
	s_cmp_lg_u32 s21, s18
	v_or_b32_e32 v16, v18, v16
	v_or_b32_e32 v17, v19, v17
	s_cbranch_scc1 .LBB73_171
.LBB73_172:                             ;   in Loop: Header=BB73_140 Depth=1
	s_mov_b64 s[4:5], s[16:17]
	s_mov_b32 s20, 0
	s_cbranch_execz .LBB73_174
	s_branch .LBB73_175
.LBB73_173:                             ;   in Loop: Header=BB73_140 Depth=1
	s_mov_b32 s20, 0
.LBB73_174:                             ;   in Loop: Header=BB73_140 Depth=1
	global_load_dwordx2 v[16:17], v7, s[16:17]
	s_add_i32 s20, s21, -8
.LBB73_175:                             ;   in Loop: Header=BB73_140 Depth=1
	s_add_u32 s16, s4, 8
	s_addc_u32 s17, s5, 0
	s_cmp_gt_u32 s20, 7
	s_cbranch_scc1 .LBB73_180
; %bb.176:                              ;   in Loop: Header=BB73_140 Depth=1
	v_mov_b32_e32 v18, 0
	v_mov_b32_e32 v19, 0
	s_cmp_eq_u32 s20, 0
	s_cbranch_scc1 .LBB73_179
; %bb.177:                              ;   in Loop: Header=BB73_140 Depth=1
	s_mov_b64 s[16:17], 0
	s_mov_b64 s[18:19], 0
.LBB73_178:                             ;   Parent Loop BB73_140 Depth=1
                                        ; =>  This Inner Loop Header: Depth=2
	s_add_u32 s22, s4, s18
	s_addc_u32 s23, s5, s19
	s_add_u32 s18, s18, 1
	global_load_ubyte v6, v7, s[22:23]
	s_addc_u32 s19, s19, 0
	s_waitcnt vmcnt(0)
	v_and_b32_e32 v6, 0xffff, v6
	v_lshlrev_b64 v[20:21], s16, v[6:7]
	s_add_u32 s16, s16, 8
	s_addc_u32 s17, s17, 0
	s_cmp_lg_u32 s20, s18
	v_or_b32_e32 v18, v20, v18
	v_or_b32_e32 v19, v21, v19
	s_cbranch_scc1 .LBB73_178
.LBB73_179:                             ;   in Loop: Header=BB73_140 Depth=1
	s_mov_b64 s[16:17], s[4:5]
	s_mov_b32 s21, 0
	s_cbranch_execz .LBB73_181
	s_branch .LBB73_182
.LBB73_180:                             ;   in Loop: Header=BB73_140 Depth=1
                                        ; implicit-def: $vgpr18_vgpr19
	s_mov_b32 s21, 0
.LBB73_181:                             ;   in Loop: Header=BB73_140 Depth=1
	global_load_dwordx2 v[18:19], v7, s[4:5]
	s_add_i32 s21, s20, -8
.LBB73_182:                             ;   in Loop: Header=BB73_140 Depth=1
	s_cmp_gt_u32 s21, 7
	s_cbranch_scc1 .LBB73_187
; %bb.183:                              ;   in Loop: Header=BB73_140 Depth=1
	v_mov_b32_e32 v20, 0
	v_mov_b32_e32 v21, 0
	s_cmp_eq_u32 s21, 0
	s_cbranch_scc1 .LBB73_186
; %bb.184:                              ;   in Loop: Header=BB73_140 Depth=1
	s_mov_b64 s[4:5], 0
	s_mov_b64 s[18:19], s[16:17]
.LBB73_185:                             ;   Parent Loop BB73_140 Depth=1
                                        ; =>  This Inner Loop Header: Depth=2
	global_load_ubyte v6, v7, s[18:19]
	s_add_i32 s21, s21, -1
	s_waitcnt vmcnt(0)
	v_and_b32_e32 v6, 0xffff, v6
	v_lshlrev_b64 v[22:23], s4, v[6:7]
	s_add_u32 s4, s4, 8
	s_addc_u32 s5, s5, 0
	s_add_u32 s18, s18, 1
	s_addc_u32 s19, s19, 0
	s_cmp_lg_u32 s21, 0
	v_or_b32_e32 v20, v22, v20
	v_or_b32_e32 v21, v23, v21
	s_cbranch_scc1 .LBB73_185
.LBB73_186:                             ;   in Loop: Header=BB73_140 Depth=1
	s_cbranch_execz .LBB73_188
	s_branch .LBB73_189
.LBB73_187:                             ;   in Loop: Header=BB73_140 Depth=1
.LBB73_188:                             ;   in Loop: Header=BB73_140 Depth=1
	global_load_dwordx2 v[20:21], v7, s[16:17]
.LBB73_189:                             ;   in Loop: Header=BB73_140 Depth=1
	v_readfirstlane_b32 s4, v29
	v_mov_b32_e32 v26, 0
	v_mov_b32_e32 v27, 0
	v_cmp_eq_u32_e64 s4, s4, v29
	s_and_saveexec_b32 s5, s4
	s_cbranch_execz .LBB73_195
; %bb.190:                              ;   in Loop: Header=BB73_140 Depth=1
	global_load_dwordx2 v[24:25], v7, s[6:7] offset:24 glc dlc
	s_waitcnt vmcnt(0)
	buffer_gl1_inv
	buffer_gl0_inv
	s_clause 0x1
	global_load_dwordx2 v[22:23], v7, s[6:7] offset:40
	global_load_dwordx2 v[26:27], v7, s[6:7]
	s_mov_b32 s16, exec_lo
	s_waitcnt vmcnt(1)
	v_and_b32_e32 v6, v23, v25
	v_and_b32_e32 v22, v22, v24
	v_mul_lo_u32 v6, v6, 24
	v_mul_hi_u32 v23, v22, 24
	v_mul_lo_u32 v22, v22, 24
	v_add_nc_u32_e32 v6, v23, v6
	s_waitcnt vmcnt(0)
	v_add_co_u32 v22, vcc_lo, v26, v22
	v_add_co_ci_u32_e64 v23, null, v27, v6, vcc_lo
	global_load_dwordx2 v[22:23], v[22:23], off glc dlc
	s_waitcnt vmcnt(0)
	global_atomic_cmpswap_x2 v[26:27], v7, v[22:25], s[6:7] offset:24 glc
	s_waitcnt vmcnt(0)
	buffer_gl1_inv
	buffer_gl0_inv
	v_cmpx_ne_u64_e64 v[26:27], v[24:25]
	s_cbranch_execz .LBB73_194
; %bb.191:                              ;   in Loop: Header=BB73_140 Depth=1
	s_mov_b32 s17, 0
	.p2align	6
.LBB73_192:                             ;   Parent Loop BB73_140 Depth=1
                                        ; =>  This Inner Loop Header: Depth=2
	s_sleep 1
	s_clause 0x1
	global_load_dwordx2 v[22:23], v7, s[6:7] offset:40
	global_load_dwordx2 v[31:32], v7, s[6:7]
	v_mov_b32_e32 v24, v26
	v_mov_b32_e32 v25, v27
	s_waitcnt vmcnt(1)
	v_and_b32_e32 v6, v22, v24
	v_and_b32_e32 v22, v23, v25
	s_waitcnt vmcnt(0)
	v_mad_u64_u32 v[26:27], null, v6, 24, v[31:32]
	v_mov_b32_e32 v6, v27
	v_mad_u64_u32 v[22:23], null, v22, 24, v[6:7]
	v_mov_b32_e32 v27, v22
	global_load_dwordx2 v[22:23], v[26:27], off glc dlc
	s_waitcnt vmcnt(0)
	global_atomic_cmpswap_x2 v[26:27], v7, v[22:25], s[6:7] offset:24 glc
	s_waitcnt vmcnt(0)
	buffer_gl1_inv
	buffer_gl0_inv
	v_cmp_eq_u64_e32 vcc_lo, v[26:27], v[24:25]
	s_or_b32 s17, vcc_lo, s17
	s_andn2_b32 exec_lo, exec_lo, s17
	s_cbranch_execnz .LBB73_192
; %bb.193:                              ;   in Loop: Header=BB73_140 Depth=1
	s_or_b32 exec_lo, exec_lo, s17
.LBB73_194:                             ;   in Loop: Header=BB73_140 Depth=1
	s_or_b32 exec_lo, exec_lo, s16
.LBB73_195:                             ;   in Loop: Header=BB73_140 Depth=1
	s_or_b32 exec_lo, exec_lo, s5
	s_clause 0x1
	global_load_dwordx2 v[31:32], v7, s[6:7] offset:40
	global_load_dwordx4 v[22:25], v7, s[6:7]
	v_readfirstlane_b32 s17, v27
	v_readfirstlane_b32 s16, v26
	s_mov_b32 s5, exec_lo
	s_waitcnt vmcnt(1)
	v_readfirstlane_b32 s18, v31
	v_readfirstlane_b32 s19, v32
	s_and_b64 s[18:19], s[18:19], s[16:17]
	s_mul_i32 s20, s19, 24
	s_mul_hi_u32 s21, s18, 24
	s_mul_i32 s22, s18, 24
	s_add_i32 s21, s21, s20
	s_waitcnt vmcnt(0)
	v_add_co_u32 v26, vcc_lo, v22, s22
	v_add_co_ci_u32_e64 v27, null, s21, v23, vcc_lo
	s_and_saveexec_b32 s20, s4
	s_cbranch_execz .LBB73_197
; %bb.196:                              ;   in Loop: Header=BB73_140 Depth=1
	v_mov_b32_e32 v6, s5
	global_store_dwordx4 v[26:27], v[6:9], off offset:8
.LBB73_197:                             ;   in Loop: Header=BB73_140 Depth=1
	s_or_b32 exec_lo, exec_lo, s20
	v_cmp_lt_u64_e64 vcc_lo, s[10:11], 57
	s_lshl_b64 s[18:19], s[18:19], 12
	v_and_b32_e32 v2, 0xffffff1f, v2
	s_lshl_b32 s5, s14, 2
	s_add_i32 s5, s5, 28
	v_cndmask_b32_e32 v6, 0, v30, vcc_lo
	v_add_co_u32 v24, vcc_lo, v24, s18
	v_add_co_ci_u32_e64 v25, null, s19, v25, vcc_lo
	v_or_b32_e32 v2, v2, v6
	v_readfirstlane_b32 s18, v24
	v_readfirstlane_b32 s19, v25
	v_and_or_b32 v2, 0x1e0, s5, v2
	global_store_dwordx4 v28, v[10:13], s[18:19] offset:16
	global_store_dwordx4 v28, v[2:5], s[18:19]
	global_store_dwordx4 v28, v[14:17], s[18:19] offset:32
	global_store_dwordx4 v28, v[18:21], s[18:19] offset:48
	s_and_saveexec_b32 s5, s4
	s_cbranch_execz .LBB73_205
; %bb.198:                              ;   in Loop: Header=BB73_140 Depth=1
	s_clause 0x1
	global_load_dwordx2 v[14:15], v7, s[6:7] offset:32 glc dlc
	global_load_dwordx2 v[2:3], v7, s[6:7] offset:40
	v_mov_b32_e32 v12, s16
	v_mov_b32_e32 v13, s17
	s_waitcnt vmcnt(0)
	v_readfirstlane_b32 s18, v2
	v_readfirstlane_b32 s19, v3
	s_and_b64 s[18:19], s[18:19], s[16:17]
	s_mul_i32 s19, s19, 24
	s_mul_hi_u32 s20, s18, 24
	s_mul_i32 s18, s18, 24
	s_add_i32 s20, s20, s19
	v_add_co_u32 v10, vcc_lo, v22, s18
	v_add_co_ci_u32_e64 v11, null, s20, v23, vcc_lo
	s_mov_b32 s18, exec_lo
	global_store_dwordx2 v[10:11], v[14:15], off
	s_waitcnt_vscnt null, 0x0
	global_atomic_cmpswap_x2 v[4:5], v7, v[12:15], s[6:7] offset:32 glc
	s_waitcnt vmcnt(0)
	v_cmpx_ne_u64_e64 v[4:5], v[14:15]
	s_cbranch_execz .LBB73_201
; %bb.199:                              ;   in Loop: Header=BB73_140 Depth=1
	s_mov_b32 s19, 0
.LBB73_200:                             ;   Parent Loop BB73_140 Depth=1
                                        ; =>  This Inner Loop Header: Depth=2
	v_mov_b32_e32 v2, s16
	v_mov_b32_e32 v3, s17
	s_sleep 1
	global_store_dwordx2 v[10:11], v[4:5], off
	s_waitcnt_vscnt null, 0x0
	global_atomic_cmpswap_x2 v[2:3], v7, v[2:5], s[6:7] offset:32 glc
	s_waitcnt vmcnt(0)
	v_cmp_eq_u64_e32 vcc_lo, v[2:3], v[4:5]
	v_mov_b32_e32 v5, v3
	v_mov_b32_e32 v4, v2
	s_or_b32 s19, vcc_lo, s19
	s_andn2_b32 exec_lo, exec_lo, s19
	s_cbranch_execnz .LBB73_200
.LBB73_201:                             ;   in Loop: Header=BB73_140 Depth=1
	s_or_b32 exec_lo, exec_lo, s18
	global_load_dwordx2 v[2:3], v7, s[6:7] offset:16
	s_mov_b32 s19, exec_lo
	s_mov_b32 s18, exec_lo
	v_mbcnt_lo_u32_b32 v4, s19, 0
	v_cmpx_eq_u32_e32 0, v4
	s_cbranch_execz .LBB73_203
; %bb.202:                              ;   in Loop: Header=BB73_140 Depth=1
	s_bcnt1_i32_b32 s19, s19
	v_mov_b32_e32 v6, s19
	s_waitcnt vmcnt(0)
	global_atomic_add_x2 v[2:3], v[6:7], off offset:8
.LBB73_203:                             ;   in Loop: Header=BB73_140 Depth=1
	s_or_b32 exec_lo, exec_lo, s18
	s_waitcnt vmcnt(0)
	global_load_dwordx2 v[4:5], v[2:3], off offset:16
	s_waitcnt vmcnt(0)
	v_cmp_eq_u64_e32 vcc_lo, 0, v[4:5]
	s_cbranch_vccnz .LBB73_205
; %bb.204:                              ;   in Loop: Header=BB73_140 Depth=1
	global_load_dword v6, v[2:3], off offset:24
	s_waitcnt vmcnt(0)
	v_readfirstlane_b32 s18, v6
	s_waitcnt_vscnt null, 0x0
	global_store_dwordx2 v[4:5], v[6:7], off
	s_and_b32 m0, s18, 0x7fffff
	s_sendmsg sendmsg(MSG_INTERRUPT)
.LBB73_205:                             ;   in Loop: Header=BB73_140 Depth=1
	s_or_b32 exec_lo, exec_lo, s5
	v_add_co_u32 v2, vcc_lo, v24, v28
	v_add_co_ci_u32_e64 v3, null, 0, v25, vcc_lo
	s_branch .LBB73_209
	.p2align	6
.LBB73_206:                             ;   in Loop: Header=BB73_209 Depth=2
	s_or_b32 exec_lo, exec_lo, s5
	v_readfirstlane_b32 s5, v4
	s_cmp_eq_u32 s5, 0
	s_cbranch_scc1 .LBB73_208
; %bb.207:                              ;   in Loop: Header=BB73_209 Depth=2
	s_sleep 1
	s_cbranch_execnz .LBB73_209
	s_branch .LBB73_211
	.p2align	6
.LBB73_208:                             ;   in Loop: Header=BB73_140 Depth=1
	s_branch .LBB73_211
.LBB73_209:                             ;   Parent Loop BB73_140 Depth=1
                                        ; =>  This Inner Loop Header: Depth=2
	v_mov_b32_e32 v4, 1
	s_and_saveexec_b32 s5, s4
	s_cbranch_execz .LBB73_206
; %bb.210:                              ;   in Loop: Header=BB73_209 Depth=2
	global_load_dword v4, v[26:27], off offset:20 glc dlc
	s_waitcnt vmcnt(0)
	buffer_gl1_inv
	buffer_gl0_inv
	v_and_b32_e32 v4, 1, v4
	s_branch .LBB73_206
.LBB73_211:                             ;   in Loop: Header=BB73_140 Depth=1
	global_load_dwordx2 v[2:3], v[2:3], off
	s_and_saveexec_b32 s18, s4
	s_cbranch_execz .LBB73_139
; %bb.212:                              ;   in Loop: Header=BB73_140 Depth=1
	s_clause 0x2
	global_load_dwordx2 v[4:5], v7, s[6:7] offset:40
	global_load_dwordx2 v[14:15], v7, s[6:7] offset:24 glc dlc
	global_load_dwordx2 v[10:11], v7, s[6:7]
	s_waitcnt vmcnt(2)
	v_readfirstlane_b32 s20, v4
	v_readfirstlane_b32 s21, v5
	s_add_u32 s19, s20, 1
	s_addc_u32 s22, s21, 0
	s_add_u32 s4, s19, s16
	s_addc_u32 s5, s22, s17
	s_cmp_eq_u64 s[4:5], 0
	s_cselect_b32 s5, s22, s5
	s_cselect_b32 s4, s19, s4
	v_mov_b32_e32 v13, s5
	s_and_b64 s[16:17], s[4:5], s[20:21]
	v_mov_b32_e32 v12, s4
	s_mul_i32 s17, s17, 24
	s_mul_hi_u32 s19, s16, 24
	s_mul_i32 s16, s16, 24
	s_add_i32 s19, s19, s17
	s_waitcnt vmcnt(0)
	v_add_co_u32 v4, vcc_lo, v10, s16
	v_add_co_ci_u32_e64 v5, null, s19, v11, vcc_lo
	global_store_dwordx2 v[4:5], v[14:15], off
	s_waitcnt_vscnt null, 0x0
	global_atomic_cmpswap_x2 v[12:13], v7, v[12:15], s[6:7] offset:24 glc
	s_waitcnt vmcnt(0)
	v_cmp_ne_u64_e32 vcc_lo, v[12:13], v[14:15]
	s_and_b32 exec_lo, exec_lo, vcc_lo
	s_cbranch_execz .LBB73_139
; %bb.213:                              ;   in Loop: Header=BB73_140 Depth=1
	s_mov_b32 s16, 0
.LBB73_214:                             ;   Parent Loop BB73_140 Depth=1
                                        ; =>  This Inner Loop Header: Depth=2
	v_mov_b32_e32 v10, s4
	v_mov_b32_e32 v11, s5
	s_sleep 1
	global_store_dwordx2 v[4:5], v[12:13], off
	s_waitcnt_vscnt null, 0x0
	global_atomic_cmpswap_x2 v[10:11], v7, v[10:13], s[6:7] offset:24 glc
	s_waitcnt vmcnt(0)
	v_cmp_eq_u64_e32 vcc_lo, v[10:11], v[12:13]
	v_mov_b32_e32 v13, v11
	v_mov_b32_e32 v12, v10
	s_or_b32 s16, vcc_lo, s16
	s_andn2_b32 exec_lo, exec_lo, s16
	s_cbranch_execnz .LBB73_214
	s_branch .LBB73_139
.LBB73_215:
                                        ; implicit-def: $vgpr2_vgpr3
	s_cbranch_execnz .LBB73_217
	s_branch .LBB73_244
.LBB73_216:
	s_branch .LBB73_244
.LBB73_217:
	v_readfirstlane_b32 s4, v29
	v_mov_b32_e32 v8, 0
	v_mov_b32_e32 v9, 0
	v_cmp_eq_u32_e64 s4, s4, v29
	s_and_saveexec_b32 s5, s4
	s_cbranch_execz .LBB73_223
; %bb.218:
	s_waitcnt vmcnt(0)
	v_mov_b32_e32 v2, 0
	s_mov_b32 s10, exec_lo
	global_load_dwordx2 v[5:6], v2, s[6:7] offset:24 glc dlc
	s_waitcnt vmcnt(0)
	buffer_gl1_inv
	buffer_gl0_inv
	s_clause 0x1
	global_load_dwordx2 v[3:4], v2, s[6:7] offset:40
	global_load_dwordx2 v[7:8], v2, s[6:7]
	s_waitcnt vmcnt(1)
	v_and_b32_e32 v4, v4, v6
	v_and_b32_e32 v3, v3, v5
	v_mul_lo_u32 v4, v4, 24
	v_mul_hi_u32 v9, v3, 24
	v_mul_lo_u32 v3, v3, 24
	v_add_nc_u32_e32 v4, v9, v4
	s_waitcnt vmcnt(0)
	v_add_co_u32 v3, vcc_lo, v7, v3
	v_add_co_ci_u32_e64 v4, null, v8, v4, vcc_lo
	global_load_dwordx2 v[3:4], v[3:4], off glc dlc
	s_waitcnt vmcnt(0)
	global_atomic_cmpswap_x2 v[8:9], v2, v[3:6], s[6:7] offset:24 glc
	s_waitcnt vmcnt(0)
	buffer_gl1_inv
	buffer_gl0_inv
	v_cmpx_ne_u64_e64 v[8:9], v[5:6]
	s_cbranch_execz .LBB73_222
; %bb.219:
	s_mov_b32 s11, 0
	.p2align	6
.LBB73_220:                             ; =>This Inner Loop Header: Depth=1
	s_sleep 1
	s_clause 0x1
	global_load_dwordx2 v[3:4], v2, s[6:7] offset:40
	global_load_dwordx2 v[10:11], v2, s[6:7]
	v_mov_b32_e32 v5, v8
	v_mov_b32_e32 v6, v9
	s_waitcnt vmcnt(1)
	v_and_b32_e32 v3, v3, v5
	v_and_b32_e32 v4, v4, v6
	s_waitcnt vmcnt(0)
	v_mad_u64_u32 v[7:8], null, v3, 24, v[10:11]
	v_mov_b32_e32 v3, v8
	v_mad_u64_u32 v[3:4], null, v4, 24, v[3:4]
	v_mov_b32_e32 v8, v3
	global_load_dwordx2 v[3:4], v[7:8], off glc dlc
	s_waitcnt vmcnt(0)
	global_atomic_cmpswap_x2 v[8:9], v2, v[3:6], s[6:7] offset:24 glc
	s_waitcnt vmcnt(0)
	buffer_gl1_inv
	buffer_gl0_inv
	v_cmp_eq_u64_e32 vcc_lo, v[8:9], v[5:6]
	s_or_b32 s11, vcc_lo, s11
	s_andn2_b32 exec_lo, exec_lo, s11
	s_cbranch_execnz .LBB73_220
; %bb.221:
	s_or_b32 exec_lo, exec_lo, s11
.LBB73_222:
	s_or_b32 exec_lo, exec_lo, s10
.LBB73_223:
	s_or_b32 exec_lo, exec_lo, s5
	s_waitcnt vmcnt(0)
	v_mov_b32_e32 v2, 0
	v_readfirstlane_b32 s11, v9
	v_readfirstlane_b32 s10, v8
	s_mov_b32 s5, exec_lo
	s_clause 0x1
	global_load_dwordx2 v[10:11], v2, s[6:7] offset:40
	global_load_dwordx4 v[4:7], v2, s[6:7]
	s_waitcnt vmcnt(1)
	v_readfirstlane_b32 s12, v10
	v_readfirstlane_b32 s13, v11
	s_and_b64 s[12:13], s[12:13], s[10:11]
	s_mul_i32 s14, s13, 24
	s_mul_hi_u32 s15, s12, 24
	s_mul_i32 s16, s12, 24
	s_add_i32 s15, s15, s14
	s_waitcnt vmcnt(0)
	v_add_co_u32 v8, vcc_lo, v4, s16
	v_add_co_ci_u32_e64 v9, null, s15, v5, vcc_lo
	s_and_saveexec_b32 s14, s4
	s_cbranch_execz .LBB73_225
; %bb.224:
	v_mov_b32_e32 v10, s5
	v_mov_b32_e32 v11, v2
	;; [unrolled: 1-line block ×4, first 2 shown]
	global_store_dwordx4 v[8:9], v[10:13], off offset:8
.LBB73_225:
	s_or_b32 exec_lo, exec_lo, s14
	s_lshl_b64 s[12:13], s[12:13], 12
	v_and_or_b32 v0, 0xffffff1f, v0, 32
	v_add_co_u32 v6, vcc_lo, v6, s12
	v_add_co_ci_u32_e64 v7, null, s13, v7, vcc_lo
	s_mov_b32 s12, 0
	v_readfirstlane_b32 s16, v6
	v_add_co_u32 v6, vcc_lo, v6, v28
	s_mov_b32 s13, s12
	s_mov_b32 s14, s12
	;; [unrolled: 1-line block ×3, first 2 shown]
	v_mov_b32_e32 v3, v2
	v_readfirstlane_b32 s17, v7
	v_mov_b32_e32 v10, s12
	v_add_co_ci_u32_e64 v7, null, 0, v7, vcc_lo
	v_mov_b32_e32 v11, s13
	v_mov_b32_e32 v12, s14
	;; [unrolled: 1-line block ×3, first 2 shown]
	global_store_dwordx4 v28, v[0:3], s[16:17]
	global_store_dwordx4 v28, v[10:13], s[16:17] offset:16
	global_store_dwordx4 v28, v[10:13], s[16:17] offset:32
	;; [unrolled: 1-line block ×3, first 2 shown]
	s_and_saveexec_b32 s5, s4
	s_cbranch_execz .LBB73_233
; %bb.226:
	v_mov_b32_e32 v10, 0
	v_mov_b32_e32 v11, s10
	;; [unrolled: 1-line block ×3, first 2 shown]
	s_clause 0x1
	global_load_dwordx2 v[13:14], v10, s[6:7] offset:32 glc dlc
	global_load_dwordx2 v[0:1], v10, s[6:7] offset:40
	s_waitcnt vmcnt(0)
	v_readfirstlane_b32 s12, v0
	v_readfirstlane_b32 s13, v1
	s_and_b64 s[12:13], s[12:13], s[10:11]
	s_mul_i32 s13, s13, 24
	s_mul_hi_u32 s14, s12, 24
	s_mul_i32 s12, s12, 24
	s_add_i32 s14, s14, s13
	v_add_co_u32 v4, vcc_lo, v4, s12
	v_add_co_ci_u32_e64 v5, null, s14, v5, vcc_lo
	s_mov_b32 s12, exec_lo
	global_store_dwordx2 v[4:5], v[13:14], off
	s_waitcnt_vscnt null, 0x0
	global_atomic_cmpswap_x2 v[2:3], v10, v[11:14], s[6:7] offset:32 glc
	s_waitcnt vmcnt(0)
	v_cmpx_ne_u64_e64 v[2:3], v[13:14]
	s_cbranch_execz .LBB73_229
; %bb.227:
	s_mov_b32 s13, 0
.LBB73_228:                             ; =>This Inner Loop Header: Depth=1
	v_mov_b32_e32 v0, s10
	v_mov_b32_e32 v1, s11
	s_sleep 1
	global_store_dwordx2 v[4:5], v[2:3], off
	s_waitcnt_vscnt null, 0x0
	global_atomic_cmpswap_x2 v[0:1], v10, v[0:3], s[6:7] offset:32 glc
	s_waitcnt vmcnt(0)
	v_cmp_eq_u64_e32 vcc_lo, v[0:1], v[2:3]
	v_mov_b32_e32 v3, v1
	v_mov_b32_e32 v2, v0
	s_or_b32 s13, vcc_lo, s13
	s_andn2_b32 exec_lo, exec_lo, s13
	s_cbranch_execnz .LBB73_228
.LBB73_229:
	s_or_b32 exec_lo, exec_lo, s12
	v_mov_b32_e32 v3, 0
	s_mov_b32 s13, exec_lo
	s_mov_b32 s12, exec_lo
	v_mbcnt_lo_u32_b32 v2, s13, 0
	global_load_dwordx2 v[0:1], v3, s[6:7] offset:16
	v_cmpx_eq_u32_e32 0, v2
	s_cbranch_execz .LBB73_231
; %bb.230:
	s_bcnt1_i32_b32 s13, s13
	v_mov_b32_e32 v2, s13
	s_waitcnt vmcnt(0)
	global_atomic_add_x2 v[0:1], v[2:3], off offset:8
.LBB73_231:
	s_or_b32 exec_lo, exec_lo, s12
	s_waitcnt vmcnt(0)
	global_load_dwordx2 v[2:3], v[0:1], off offset:16
	s_waitcnt vmcnt(0)
	v_cmp_eq_u64_e32 vcc_lo, 0, v[2:3]
	s_cbranch_vccnz .LBB73_233
; %bb.232:
	global_load_dword v0, v[0:1], off offset:24
	v_mov_b32_e32 v1, 0
	s_waitcnt vmcnt(0)
	v_readfirstlane_b32 s12, v0
	s_waitcnt_vscnt null, 0x0
	global_store_dwordx2 v[2:3], v[0:1], off
	s_and_b32 m0, s12, 0x7fffff
	s_sendmsg sendmsg(MSG_INTERRUPT)
.LBB73_233:
	s_or_b32 exec_lo, exec_lo, s5
	s_branch .LBB73_237
	.p2align	6
.LBB73_234:                             ;   in Loop: Header=BB73_237 Depth=1
	s_or_b32 exec_lo, exec_lo, s5
	v_readfirstlane_b32 s5, v0
	s_cmp_eq_u32 s5, 0
	s_cbranch_scc1 .LBB73_236
; %bb.235:                              ;   in Loop: Header=BB73_237 Depth=1
	s_sleep 1
	s_cbranch_execnz .LBB73_237
	s_branch .LBB73_239
	.p2align	6
.LBB73_236:
	s_branch .LBB73_239
.LBB73_237:                             ; =>This Inner Loop Header: Depth=1
	v_mov_b32_e32 v0, 1
	s_and_saveexec_b32 s5, s4
	s_cbranch_execz .LBB73_234
; %bb.238:                              ;   in Loop: Header=BB73_237 Depth=1
	global_load_dword v0, v[8:9], off offset:20 glc dlc
	s_waitcnt vmcnt(0)
	buffer_gl1_inv
	buffer_gl0_inv
	v_and_b32_e32 v0, 1, v0
	s_branch .LBB73_234
.LBB73_239:
	global_load_dwordx2 v[2:3], v[6:7], off
	s_and_saveexec_b32 s12, s4
	s_cbranch_execz .LBB73_243
; %bb.240:
	v_mov_b32_e32 v8, 0
	s_clause 0x2
	global_load_dwordx2 v[0:1], v8, s[6:7] offset:40
	global_load_dwordx2 v[11:12], v8, s[6:7] offset:24 glc dlc
	global_load_dwordx2 v[4:5], v8, s[6:7]
	s_waitcnt vmcnt(2)
	v_readfirstlane_b32 s14, v0
	v_readfirstlane_b32 s15, v1
	s_add_u32 s13, s14, 1
	s_addc_u32 s16, s15, 0
	s_add_u32 s4, s13, s10
	s_addc_u32 s5, s16, s11
	s_cmp_eq_u64 s[4:5], 0
	s_cselect_b32 s5, s16, s5
	s_cselect_b32 s4, s13, s4
	v_mov_b32_e32 v10, s5
	s_and_b64 s[10:11], s[4:5], s[14:15]
	v_mov_b32_e32 v9, s4
	s_mul_i32 s11, s11, 24
	s_mul_hi_u32 s13, s10, 24
	s_mul_i32 s10, s10, 24
	s_add_i32 s13, s13, s11
	s_waitcnt vmcnt(0)
	v_add_co_u32 v0, vcc_lo, v4, s10
	v_add_co_ci_u32_e64 v1, null, s13, v5, vcc_lo
	global_store_dwordx2 v[0:1], v[11:12], off
	s_waitcnt_vscnt null, 0x0
	global_atomic_cmpswap_x2 v[6:7], v8, v[9:12], s[6:7] offset:24 glc
	s_waitcnt vmcnt(0)
	v_cmp_ne_u64_e32 vcc_lo, v[6:7], v[11:12]
	s_and_b32 exec_lo, exec_lo, vcc_lo
	s_cbranch_execz .LBB73_243
; %bb.241:
	s_mov_b32 s10, 0
.LBB73_242:                             ; =>This Inner Loop Header: Depth=1
	v_mov_b32_e32 v4, s4
	v_mov_b32_e32 v5, s5
	s_sleep 1
	global_store_dwordx2 v[0:1], v[6:7], off
	s_waitcnt_vscnt null, 0x0
	global_atomic_cmpswap_x2 v[4:5], v8, v[4:7], s[6:7] offset:24 glc
	s_waitcnt vmcnt(0)
	v_cmp_eq_u64_e32 vcc_lo, v[4:5], v[6:7]
	v_mov_b32_e32 v7, v5
	v_mov_b32_e32 v6, v4
	s_or_b32 s10, vcc_lo, s10
	s_andn2_b32 exec_lo, exec_lo, s10
	s_cbranch_execnz .LBB73_242
.LBB73_243:
	s_or_b32 exec_lo, exec_lo, s12
.LBB73_244:
	v_readfirstlane_b32 s4, v29
	s_waitcnt vmcnt(0)
	v_mov_b32_e32 v0, 0
	v_mov_b32_e32 v1, 0
	v_cmp_eq_u32_e64 s4, s4, v29
	s_and_saveexec_b32 s5, s4
	s_cbranch_execz .LBB73_250
; %bb.245:
	v_mov_b32_e32 v4, 0
	s_mov_b32 s10, exec_lo
	global_load_dwordx2 v[7:8], v4, s[6:7] offset:24 glc dlc
	s_waitcnt vmcnt(0)
	buffer_gl1_inv
	buffer_gl0_inv
	s_clause 0x1
	global_load_dwordx2 v[0:1], v4, s[6:7] offset:40
	global_load_dwordx2 v[5:6], v4, s[6:7]
	s_waitcnt vmcnt(1)
	v_and_b32_e32 v1, v1, v8
	v_and_b32_e32 v0, v0, v7
	v_mul_lo_u32 v1, v1, 24
	v_mul_hi_u32 v9, v0, 24
	v_mul_lo_u32 v0, v0, 24
	v_add_nc_u32_e32 v1, v9, v1
	s_waitcnt vmcnt(0)
	v_add_co_u32 v0, vcc_lo, v5, v0
	v_add_co_ci_u32_e64 v1, null, v6, v1, vcc_lo
	global_load_dwordx2 v[5:6], v[0:1], off glc dlc
	s_waitcnt vmcnt(0)
	global_atomic_cmpswap_x2 v[0:1], v4, v[5:8], s[6:7] offset:24 glc
	s_waitcnt vmcnt(0)
	buffer_gl1_inv
	buffer_gl0_inv
	v_cmpx_ne_u64_e64 v[0:1], v[7:8]
	s_cbranch_execz .LBB73_249
; %bb.246:
	s_mov_b32 s11, 0
	.p2align	6
.LBB73_247:                             ; =>This Inner Loop Header: Depth=1
	s_sleep 1
	s_clause 0x1
	global_load_dwordx2 v[5:6], v4, s[6:7] offset:40
	global_load_dwordx2 v[9:10], v4, s[6:7]
	v_mov_b32_e32 v8, v1
	v_mov_b32_e32 v7, v0
	s_waitcnt vmcnt(1)
	v_and_b32_e32 v0, v5, v7
	v_and_b32_e32 v5, v6, v8
	s_waitcnt vmcnt(0)
	v_mad_u64_u32 v[0:1], null, v0, 24, v[9:10]
	v_mad_u64_u32 v[5:6], null, v5, 24, v[1:2]
	v_mov_b32_e32 v1, v5
	global_load_dwordx2 v[5:6], v[0:1], off glc dlc
	s_waitcnt vmcnt(0)
	global_atomic_cmpswap_x2 v[0:1], v4, v[5:8], s[6:7] offset:24 glc
	s_waitcnt vmcnt(0)
	buffer_gl1_inv
	buffer_gl0_inv
	v_cmp_eq_u64_e32 vcc_lo, v[0:1], v[7:8]
	s_or_b32 s11, vcc_lo, s11
	s_andn2_b32 exec_lo, exec_lo, s11
	s_cbranch_execnz .LBB73_247
; %bb.248:
	s_or_b32 exec_lo, exec_lo, s11
.LBB73_249:
	s_or_b32 exec_lo, exec_lo, s10
.LBB73_250:
	s_or_b32 exec_lo, exec_lo, s5
	v_mov_b32_e32 v5, 0
	v_readfirstlane_b32 s11, v1
	v_readfirstlane_b32 s10, v0
	s_mov_b32 s5, exec_lo
	s_clause 0x1
	global_load_dwordx2 v[10:11], v5, s[6:7] offset:40
	global_load_dwordx4 v[6:9], v5, s[6:7]
	s_waitcnt vmcnt(1)
	v_readfirstlane_b32 s12, v10
	v_readfirstlane_b32 s13, v11
	s_and_b64 s[12:13], s[12:13], s[10:11]
	s_mul_i32 s14, s13, 24
	s_mul_hi_u32 s15, s12, 24
	s_mul_i32 s16, s12, 24
	s_add_i32 s15, s15, s14
	s_waitcnt vmcnt(0)
	v_add_co_u32 v10, vcc_lo, v6, s16
	v_add_co_ci_u32_e64 v11, null, s15, v7, vcc_lo
	s_and_saveexec_b32 s14, s4
	s_cbranch_execz .LBB73_252
; %bb.251:
	v_mov_b32_e32 v4, s5
	v_mov_b32_e32 v13, v5
	;; [unrolled: 1-line block ×5, first 2 shown]
	global_store_dwordx4 v[10:11], v[12:15], off offset:8
.LBB73_252:
	s_or_b32 exec_lo, exec_lo, s14
	s_lshl_b64 s[12:13], s[12:13], 12
	v_and_or_b32 v2, 0xffffff1f, v2, 32
	v_add_co_u32 v0, vcc_lo, v8, s12
	v_add_co_ci_u32_e64 v1, null, s13, v9, vcc_lo
	s_mov_b32 s12, 0
	v_add_co_u32 v8, vcc_lo, v0, v28
	s_mov_b32 s13, s12
	s_mov_b32 s14, s12
	s_mov_b32 s15, s12
	v_mov_b32_e32 v4, 0x347
	v_readfirstlane_b32 s16, v0
	v_readfirstlane_b32 s17, v1
	v_mov_b32_e32 v12, s12
	v_add_co_ci_u32_e64 v9, null, 0, v1, vcc_lo
	v_mov_b32_e32 v13, s13
	v_mov_b32_e32 v14, s14
	;; [unrolled: 1-line block ×3, first 2 shown]
	global_store_dwordx4 v28, v[2:5], s[16:17]
	global_store_dwordx4 v28, v[12:15], s[16:17] offset:16
	global_store_dwordx4 v28, v[12:15], s[16:17] offset:32
	;; [unrolled: 1-line block ×3, first 2 shown]
	s_and_saveexec_b32 s5, s4
	s_cbranch_execz .LBB73_260
; %bb.253:
	v_mov_b32_e32 v12, 0
	v_mov_b32_e32 v13, s10
	;; [unrolled: 1-line block ×3, first 2 shown]
	s_clause 0x1
	global_load_dwordx2 v[15:16], v12, s[6:7] offset:32 glc dlc
	global_load_dwordx2 v[0:1], v12, s[6:7] offset:40
	s_waitcnt vmcnt(0)
	v_readfirstlane_b32 s12, v0
	v_readfirstlane_b32 s13, v1
	s_and_b64 s[12:13], s[12:13], s[10:11]
	s_mul_i32 s13, s13, 24
	s_mul_hi_u32 s14, s12, 24
	s_mul_i32 s12, s12, 24
	s_add_i32 s14, s14, s13
	v_add_co_u32 v4, vcc_lo, v6, s12
	v_add_co_ci_u32_e64 v5, null, s14, v7, vcc_lo
	s_mov_b32 s12, exec_lo
	global_store_dwordx2 v[4:5], v[15:16], off
	s_waitcnt_vscnt null, 0x0
	global_atomic_cmpswap_x2 v[2:3], v12, v[13:16], s[6:7] offset:32 glc
	s_waitcnt vmcnt(0)
	v_cmpx_ne_u64_e64 v[2:3], v[15:16]
	s_cbranch_execz .LBB73_256
; %bb.254:
	s_mov_b32 s13, 0
.LBB73_255:                             ; =>This Inner Loop Header: Depth=1
	v_mov_b32_e32 v0, s10
	v_mov_b32_e32 v1, s11
	s_sleep 1
	global_store_dwordx2 v[4:5], v[2:3], off
	s_waitcnt_vscnt null, 0x0
	global_atomic_cmpswap_x2 v[0:1], v12, v[0:3], s[6:7] offset:32 glc
	s_waitcnt vmcnt(0)
	v_cmp_eq_u64_e32 vcc_lo, v[0:1], v[2:3]
	v_mov_b32_e32 v3, v1
	v_mov_b32_e32 v2, v0
	s_or_b32 s13, vcc_lo, s13
	s_andn2_b32 exec_lo, exec_lo, s13
	s_cbranch_execnz .LBB73_255
.LBB73_256:
	s_or_b32 exec_lo, exec_lo, s12
	v_mov_b32_e32 v3, 0
	s_mov_b32 s13, exec_lo
	s_mov_b32 s12, exec_lo
	v_mbcnt_lo_u32_b32 v2, s13, 0
	global_load_dwordx2 v[0:1], v3, s[6:7] offset:16
	v_cmpx_eq_u32_e32 0, v2
	s_cbranch_execz .LBB73_258
; %bb.257:
	s_bcnt1_i32_b32 s13, s13
	v_mov_b32_e32 v2, s13
	s_waitcnt vmcnt(0)
	global_atomic_add_x2 v[0:1], v[2:3], off offset:8
.LBB73_258:
	s_or_b32 exec_lo, exec_lo, s12
	s_waitcnt vmcnt(0)
	global_load_dwordx2 v[2:3], v[0:1], off offset:16
	s_waitcnt vmcnt(0)
	v_cmp_eq_u64_e32 vcc_lo, 0, v[2:3]
	s_cbranch_vccnz .LBB73_260
; %bb.259:
	global_load_dword v0, v[0:1], off offset:24
	v_mov_b32_e32 v1, 0
	s_waitcnt vmcnt(0)
	v_readfirstlane_b32 s12, v0
	s_waitcnt_vscnt null, 0x0
	global_store_dwordx2 v[2:3], v[0:1], off
	s_and_b32 m0, s12, 0x7fffff
	s_sendmsg sendmsg(MSG_INTERRUPT)
.LBB73_260:
	s_or_b32 exec_lo, exec_lo, s5
	s_branch .LBB73_264
	.p2align	6
.LBB73_261:                             ;   in Loop: Header=BB73_264 Depth=1
	s_or_b32 exec_lo, exec_lo, s5
	v_readfirstlane_b32 s5, v0
	s_cmp_eq_u32 s5, 0
	s_cbranch_scc1 .LBB73_263
; %bb.262:                              ;   in Loop: Header=BB73_264 Depth=1
	s_sleep 1
	s_cbranch_execnz .LBB73_264
	s_branch .LBB73_266
	.p2align	6
.LBB73_263:
	s_branch .LBB73_266
.LBB73_264:                             ; =>This Inner Loop Header: Depth=1
	v_mov_b32_e32 v0, 1
	s_and_saveexec_b32 s5, s4
	s_cbranch_execz .LBB73_261
; %bb.265:                              ;   in Loop: Header=BB73_264 Depth=1
	global_load_dword v0, v[10:11], off offset:20 glc dlc
	s_waitcnt vmcnt(0)
	buffer_gl1_inv
	buffer_gl0_inv
	v_and_b32_e32 v0, 1, v0
	s_branch .LBB73_261
.LBB73_266:
	global_load_dwordx2 v[0:1], v[8:9], off
	s_and_saveexec_b32 s12, s4
	s_cbranch_execz .LBB73_270
; %bb.267:
	v_mov_b32_e32 v8, 0
	s_clause 0x2
	global_load_dwordx2 v[2:3], v8, s[6:7] offset:40
	global_load_dwordx2 v[11:12], v8, s[6:7] offset:24 glc dlc
	global_load_dwordx2 v[4:5], v8, s[6:7]
	s_waitcnt vmcnt(2)
	v_readfirstlane_b32 s14, v2
	v_readfirstlane_b32 s15, v3
	s_add_u32 s13, s14, 1
	s_addc_u32 s16, s15, 0
	s_add_u32 s4, s13, s10
	s_addc_u32 s5, s16, s11
	s_cmp_eq_u64 s[4:5], 0
	s_cselect_b32 s5, s16, s5
	s_cselect_b32 s4, s13, s4
	v_mov_b32_e32 v10, s5
	s_and_b64 s[10:11], s[4:5], s[14:15]
	v_mov_b32_e32 v9, s4
	s_mul_i32 s11, s11, 24
	s_mul_hi_u32 s13, s10, 24
	s_mul_i32 s10, s10, 24
	s_add_i32 s13, s13, s11
	s_waitcnt vmcnt(0)
	v_add_co_u32 v6, vcc_lo, v4, s10
	v_add_co_ci_u32_e64 v7, null, s13, v5, vcc_lo
	global_store_dwordx2 v[6:7], v[11:12], off
	s_waitcnt_vscnt null, 0x0
	global_atomic_cmpswap_x2 v[4:5], v8, v[9:12], s[6:7] offset:24 glc
	s_waitcnt vmcnt(0)
	v_cmp_ne_u64_e32 vcc_lo, v[4:5], v[11:12]
	s_and_b32 exec_lo, exec_lo, vcc_lo
	s_cbranch_execz .LBB73_270
; %bb.268:
	s_mov_b32 s10, 0
.LBB73_269:                             ; =>This Inner Loop Header: Depth=1
	v_mov_b32_e32 v2, s4
	v_mov_b32_e32 v3, s5
	s_sleep 1
	global_store_dwordx2 v[6:7], v[4:5], off
	s_waitcnt_vscnt null, 0x0
	global_atomic_cmpswap_x2 v[2:3], v8, v[2:5], s[6:7] offset:24 glc
	s_waitcnt vmcnt(0)
	v_cmp_eq_u64_e32 vcc_lo, v[2:3], v[4:5]
	v_mov_b32_e32 v5, v3
	v_mov_b32_e32 v4, v2
	s_or_b32 s10, vcc_lo, s10
	s_andn2_b32 exec_lo, exec_lo, s10
	s_cbranch_execnz .LBB73_269
.LBB73_270:
	s_or_b32 exec_lo, exec_lo, s12
	s_getpc_b64 s[4:5]
	s_add_u32 s4, s4, __FUNCTION__._ZL15flash_attn_tileILi72ELi72ELi8ELi8ELb1EEvPKcS1_S1_S1_S1_PKiPfP15HIP_vector_typeIfLj2EEffffjfiS5_IjLj3EEiiiiiiiiiiiliiliiiiil@rel32@lo+4
	s_addc_u32 s5, s5, __FUNCTION__._ZL15flash_attn_tileILi72ELi72ELi8ELi8ELb1EEvPKcS1_S1_S1_S1_PKiPfP15HIP_vector_typeIfLj2EEffffjfiS5_IjLj3EEiiiiiiiiiiiliiliiiiil@rel32@hi+12
	v_mov_b32_e32 v2, s4
	s_cmp_lg_u64 s[4:5], 0
	v_mov_b32_e32 v3, s5
	s_cselect_b32 s10, 16, 0
	v_mov_b32_e32 v5, 0
	v_mov_b32_e32 v4, s10
	s_getpc_b64 s[6:7]
	s_add_u32 s6, s6, __ockl_printf_append_string_n@rel32@lo+4
	s_addc_u32 s7, s7, __ockl_printf_append_string_n@rel32@hi+12
	s_mov_b64 s[20:21], s[8:9]
	s_swappc_b64 s[30:31], s[6:7]
	v_mov_b32_e32 v2, 0x514
	v_mov_b32_e32 v3, 0
	;; [unrolled: 1-line block ×3, first 2 shown]
	s_getpc_b64 s[4:5]
	s_add_u32 s4, s4, __ockl_printf_append_args@rel32@lo+4
	s_addc_u32 s5, s5, __ockl_printf_append_args@rel32@hi+12
	s_mov_b64 s[8:9], s[20:21]
	s_swappc_b64 s[30:31], s[4:5]
	s_trap 2
.Lfunc_end73:
	.size	_ZL14no_device_codePKciS0_iS0_, .Lfunc_end73-_ZL14no_device_codePKciS0_iS0_
                                        ; -- End function
	.set .L_ZL14no_device_codePKciS0_iS0_.num_vgpr, max(40, .L__ockl_printf_append_string_n.num_vgpr, .L__ockl_printf_append_args.num_vgpr)
	.set .L_ZL14no_device_codePKciS0_iS0_.num_agpr, max(0, .L__ockl_printf_append_string_n.num_agpr, .L__ockl_printf_append_args.num_agpr)
	.set .L_ZL14no_device_codePKciS0_iS0_.numbered_sgpr, max(34, .L__ockl_printf_append_string_n.numbered_sgpr, .L__ockl_printf_append_args.numbered_sgpr)
	.set .L_ZL14no_device_codePKciS0_iS0_.num_named_barrier, max(0, .L__ockl_printf_append_string_n.num_named_barrier, .L__ockl_printf_append_args.num_named_barrier)
	.set .L_ZL14no_device_codePKciS0_iS0_.private_seg_size, 16+max(.L__ockl_printf_append_string_n.private_seg_size, .L__ockl_printf_append_args.private_seg_size)
	.set .L_ZL14no_device_codePKciS0_iS0_.uses_vcc, or(1, .L__ockl_printf_append_string_n.uses_vcc, .L__ockl_printf_append_args.uses_vcc)
	.set .L_ZL14no_device_codePKciS0_iS0_.uses_flat_scratch, or(0, .L__ockl_printf_append_string_n.uses_flat_scratch, .L__ockl_printf_append_args.uses_flat_scratch)
	.set .L_ZL14no_device_codePKciS0_iS0_.has_dyn_sized_stack, or(0, .L__ockl_printf_append_string_n.has_dyn_sized_stack, .L__ockl_printf_append_args.has_dyn_sized_stack)
	.set .L_ZL14no_device_codePKciS0_iS0_.has_recursion, or(0, .L__ockl_printf_append_string_n.has_recursion, .L__ockl_printf_append_args.has_recursion)
	.set .L_ZL14no_device_codePKciS0_iS0_.has_indirect_call, or(0, .L__ockl_printf_append_string_n.has_indirect_call, .L__ockl_printf_append_args.has_indirect_call)
	.section	.AMDGPU.csdata,"",@progbits
; Function info:
; codeLenInByte = 10460
; TotalNumSgprs: 36
; NumVgprs: 40
; ScratchSize: 16
; MemoryBound: 0
	.section	.text._ZL15flash_attn_tileILi72ELi72ELi8ELi8ELb1EEvPKcS1_S1_S1_S1_PKiPfP15HIP_vector_typeIfLj2EEffffjfiS5_IjLj3EEiiiiiiiiiiiliiliiiiil,"axG",@progbits,_ZL15flash_attn_tileILi72ELi72ELi8ELi8ELb1EEvPKcS1_S1_S1_S1_PKiPfP15HIP_vector_typeIfLj2EEffffjfiS5_IjLj3EEiiiiiiiiiiiliiliiiiil,comdat
	.globl	_ZL15flash_attn_tileILi72ELi72ELi8ELi8ELb1EEvPKcS1_S1_S1_S1_PKiPfP15HIP_vector_typeIfLj2EEffffjfiS5_IjLj3EEiiiiiiiiiiiliiliiiiil ; -- Begin function _ZL15flash_attn_tileILi72ELi72ELi8ELi8ELb1EEvPKcS1_S1_S1_S1_PKiPfP15HIP_vector_typeIfLj2EEffffjfiS5_IjLj3EEiiiiiiiiiiiliiliiiiil
	.p2align	8
	.type	_ZL15flash_attn_tileILi72ELi72ELi8ELi8ELb1EEvPKcS1_S1_S1_S1_PKiPfP15HIP_vector_typeIfLj2EEffffjfiS5_IjLj3EEiiiiiiiiiiiliiliiiiil,@function
_ZL15flash_attn_tileILi72ELi72ELi8ELi8ELb1EEvPKcS1_S1_S1_S1_PKiPfP15HIP_vector_typeIfLj2EEffffjfiS5_IjLj3EEiiiiiiiiiiiliiliiiiil: ; @_ZL15flash_attn_tileILi72ELi72ELi8ELi8ELb1EEvPKcS1_S1_S1_S1_PKiPfP15HIP_vector_typeIfLj2EEffffjfiS5_IjLj3EEiiiiiiiiiiiliiliiiiil
; %bb.0:
	s_add_u32 s0, s0, s7
	s_addc_u32 s1, s1, 0
	s_add_u32 s8, s4, 0xd0
	s_addc_u32 s9, s5, 0
	s_getpc_b64 s[4:5]
	s_add_u32 s4, s4, _ZL14no_device_codePKciS0_iS0_@rel32@lo+4
	s_addc_u32 s5, s5, _ZL14no_device_codePKciS0_iS0_@rel32@hi+12
	s_mov_b32 s32, 0
	s_swappc_b64 s[30:31], s[4:5]
	.section	.rodata,"a",@progbits
	.p2align	6, 0x0
	.amdhsa_kernel _ZL15flash_attn_tileILi72ELi72ELi8ELi8ELb1EEvPKcS1_S1_S1_S1_PKiPfP15HIP_vector_typeIfLj2EEffffjfiS5_IjLj3EEiiiiiiiiiiiliiliiiiil
		.amdhsa_group_segment_fixed_size 0
		.amdhsa_private_segment_fixed_size 16
		.amdhsa_kernarg_size 464
		.amdhsa_user_sgpr_count 6
		.amdhsa_user_sgpr_private_segment_buffer 1
		.amdhsa_user_sgpr_dispatch_ptr 0
		.amdhsa_user_sgpr_queue_ptr 0
		.amdhsa_user_sgpr_kernarg_segment_ptr 1
		.amdhsa_user_sgpr_dispatch_id 0
		.amdhsa_user_sgpr_flat_scratch_init 0
		.amdhsa_user_sgpr_private_segment_size 0
		.amdhsa_wavefront_size32 1
		.amdhsa_uses_dynamic_stack 0
		.amdhsa_system_sgpr_private_segment_wavefront_offset 1
		.amdhsa_system_sgpr_workgroup_id_x 1
		.amdhsa_system_sgpr_workgroup_id_y 0
		.amdhsa_system_sgpr_workgroup_id_z 0
		.amdhsa_system_sgpr_workgroup_info 0
		.amdhsa_system_vgpr_workitem_id 0
		.amdhsa_next_free_vgpr 40
		.amdhsa_next_free_sgpr 34
		.amdhsa_reserve_vcc 1
		.amdhsa_reserve_flat_scratch 0
		.amdhsa_float_round_mode_32 0
		.amdhsa_float_round_mode_16_64 0
		.amdhsa_float_denorm_mode_32 3
		.amdhsa_float_denorm_mode_16_64 3
		.amdhsa_dx10_clamp 1
		.amdhsa_ieee_mode 1
		.amdhsa_fp16_overflow 0
		.amdhsa_workgroup_processor_mode 1
		.amdhsa_memory_ordered 1
		.amdhsa_forward_progress 1
		.amdhsa_shared_vgpr_count 0
		.amdhsa_exception_fp_ieee_invalid_op 0
		.amdhsa_exception_fp_denorm_src 0
		.amdhsa_exception_fp_ieee_div_zero 0
		.amdhsa_exception_fp_ieee_overflow 0
		.amdhsa_exception_fp_ieee_underflow 0
		.amdhsa_exception_fp_ieee_inexact 0
		.amdhsa_exception_int_div_zero 0
	.end_amdhsa_kernel
	.section	.text._ZL15flash_attn_tileILi72ELi72ELi8ELi8ELb1EEvPKcS1_S1_S1_S1_PKiPfP15HIP_vector_typeIfLj2EEffffjfiS5_IjLj3EEiiiiiiiiiiiliiliiiiil,"axG",@progbits,_ZL15flash_attn_tileILi72ELi72ELi8ELi8ELb1EEvPKcS1_S1_S1_S1_PKiPfP15HIP_vector_typeIfLj2EEffffjfiS5_IjLj3EEiiiiiiiiiiiliiliiiiil,comdat
.Lfunc_end74:
	.size	_ZL15flash_attn_tileILi72ELi72ELi8ELi8ELb1EEvPKcS1_S1_S1_S1_PKiPfP15HIP_vector_typeIfLj2EEffffjfiS5_IjLj3EEiiiiiiiiiiiliiliiiiil, .Lfunc_end74-_ZL15flash_attn_tileILi72ELi72ELi8ELi8ELb1EEvPKcS1_S1_S1_S1_PKiPfP15HIP_vector_typeIfLj2EEffffjfiS5_IjLj3EEiiiiiiiiiiiliiliiiiil
                                        ; -- End function
	.set _ZL15flash_attn_tileILi72ELi72ELi8ELi8ELb1EEvPKcS1_S1_S1_S1_PKiPfP15HIP_vector_typeIfLj2EEffffjfiS5_IjLj3EEiiiiiiiiiiiliiliiiiil.num_vgpr, max(0, .L_ZL14no_device_codePKciS0_iS0_.num_vgpr)
	.set _ZL15flash_attn_tileILi72ELi72ELi8ELi8ELb1EEvPKcS1_S1_S1_S1_PKiPfP15HIP_vector_typeIfLj2EEffffjfiS5_IjLj3EEiiiiiiiiiiiliiliiiiil.num_agpr, max(0, .L_ZL14no_device_codePKciS0_iS0_.num_agpr)
	.set _ZL15flash_attn_tileILi72ELi72ELi8ELi8ELb1EEvPKcS1_S1_S1_S1_PKiPfP15HIP_vector_typeIfLj2EEffffjfiS5_IjLj3EEiiiiiiiiiiiliiliiiiil.numbered_sgpr, max(33, .L_ZL14no_device_codePKciS0_iS0_.numbered_sgpr)
	.set _ZL15flash_attn_tileILi72ELi72ELi8ELi8ELb1EEvPKcS1_S1_S1_S1_PKiPfP15HIP_vector_typeIfLj2EEffffjfiS5_IjLj3EEiiiiiiiiiiiliiliiiiil.num_named_barrier, max(0, .L_ZL14no_device_codePKciS0_iS0_.num_named_barrier)
	.set _ZL15flash_attn_tileILi72ELi72ELi8ELi8ELb1EEvPKcS1_S1_S1_S1_PKiPfP15HIP_vector_typeIfLj2EEffffjfiS5_IjLj3EEiiiiiiiiiiiliiliiiiil.private_seg_size, 0+max(.L_ZL14no_device_codePKciS0_iS0_.private_seg_size)
	.set _ZL15flash_attn_tileILi72ELi72ELi8ELi8ELb1EEvPKcS1_S1_S1_S1_PKiPfP15HIP_vector_typeIfLj2EEffffjfiS5_IjLj3EEiiiiiiiiiiiliiliiiiil.uses_vcc, or(1, .L_ZL14no_device_codePKciS0_iS0_.uses_vcc)
	.set _ZL15flash_attn_tileILi72ELi72ELi8ELi8ELb1EEvPKcS1_S1_S1_S1_PKiPfP15HIP_vector_typeIfLj2EEffffjfiS5_IjLj3EEiiiiiiiiiiiliiliiiiil.uses_flat_scratch, or(0, .L_ZL14no_device_codePKciS0_iS0_.uses_flat_scratch)
	.set _ZL15flash_attn_tileILi72ELi72ELi8ELi8ELb1EEvPKcS1_S1_S1_S1_PKiPfP15HIP_vector_typeIfLj2EEffffjfiS5_IjLj3EEiiiiiiiiiiiliiliiiiil.has_dyn_sized_stack, or(0, .L_ZL14no_device_codePKciS0_iS0_.has_dyn_sized_stack)
	.set _ZL15flash_attn_tileILi72ELi72ELi8ELi8ELb1EEvPKcS1_S1_S1_S1_PKiPfP15HIP_vector_typeIfLj2EEffffjfiS5_IjLj3EEiiiiiiiiiiiliiliiiiil.has_recursion, or(0, .L_ZL14no_device_codePKciS0_iS0_.has_recursion)
	.set _ZL15flash_attn_tileILi72ELi72ELi8ELi8ELb1EEvPKcS1_S1_S1_S1_PKiPfP15HIP_vector_typeIfLj2EEffffjfiS5_IjLj3EEiiiiiiiiiiiliiliiiiil.has_indirect_call, or(0, .L_ZL14no_device_codePKciS0_iS0_.has_indirect_call)
	.section	.AMDGPU.csdata,"",@progbits
; Kernel info:
; codeLenInByte = 48
; TotalNumSgprs: 36
; NumVgprs: 40
; ScratchSize: 16
; MemoryBound: 0
; FloatMode: 240
; IeeeMode: 1
; LDSByteSize: 0 bytes/workgroup (compile time only)
; SGPRBlocks: 0
; VGPRBlocks: 4
; NumSGPRsForWavesPerEU: 36
; NumVGPRsForWavesPerEU: 40
; Occupancy: 16
; WaveLimiterHint : 1
; COMPUTE_PGM_RSRC2:SCRATCH_EN: 1
; COMPUTE_PGM_RSRC2:USER_SGPR: 6
; COMPUTE_PGM_RSRC2:TRAP_HANDLER: 0
; COMPUTE_PGM_RSRC2:TGID_X_EN: 1
; COMPUTE_PGM_RSRC2:TGID_Y_EN: 0
; COMPUTE_PGM_RSRC2:TGID_Z_EN: 0
; COMPUTE_PGM_RSRC2:TIDIG_COMP_CNT: 0
	.section	.text._ZL15flash_attn_tileILi72ELi72ELi4ELi8ELb1EEvPKcS1_S1_S1_S1_PKiPfP15HIP_vector_typeIfLj2EEffffjfiS5_IjLj3EEiiiiiiiiiiiliiliiiiil,"axG",@progbits,_ZL15flash_attn_tileILi72ELi72ELi4ELi8ELb1EEvPKcS1_S1_S1_S1_PKiPfP15HIP_vector_typeIfLj2EEffffjfiS5_IjLj3EEiiiiiiiiiiiliiliiiiil,comdat
	.globl	_ZL15flash_attn_tileILi72ELi72ELi4ELi8ELb1EEvPKcS1_S1_S1_S1_PKiPfP15HIP_vector_typeIfLj2EEffffjfiS5_IjLj3EEiiiiiiiiiiiliiliiiiil ; -- Begin function _ZL15flash_attn_tileILi72ELi72ELi4ELi8ELb1EEvPKcS1_S1_S1_S1_PKiPfP15HIP_vector_typeIfLj2EEffffjfiS5_IjLj3EEiiiiiiiiiiiliiliiiiil
	.p2align	8
	.type	_ZL15flash_attn_tileILi72ELi72ELi4ELi8ELb1EEvPKcS1_S1_S1_S1_PKiPfP15HIP_vector_typeIfLj2EEffffjfiS5_IjLj3EEiiiiiiiiiiiliiliiiiil,@function
_ZL15flash_attn_tileILi72ELi72ELi4ELi8ELb1EEvPKcS1_S1_S1_S1_PKiPfP15HIP_vector_typeIfLj2EEffffjfiS5_IjLj3EEiiiiiiiiiiiliiliiiiil: ; @_ZL15flash_attn_tileILi72ELi72ELi4ELi8ELb1EEvPKcS1_S1_S1_S1_PKiPfP15HIP_vector_typeIfLj2EEffffjfiS5_IjLj3EEiiiiiiiiiiiliiliiiiil
; %bb.0:
	s_add_u32 s0, s0, s7
	s_addc_u32 s1, s1, 0
	s_add_u32 s8, s4, 0xd0
	s_addc_u32 s9, s5, 0
	s_getpc_b64 s[4:5]
	s_add_u32 s4, s4, _ZL14no_device_codePKciS0_iS0_@rel32@lo+4
	s_addc_u32 s5, s5, _ZL14no_device_codePKciS0_iS0_@rel32@hi+12
	s_mov_b32 s32, 0
	s_swappc_b64 s[30:31], s[4:5]
	.section	.rodata,"a",@progbits
	.p2align	6, 0x0
	.amdhsa_kernel _ZL15flash_attn_tileILi72ELi72ELi4ELi8ELb1EEvPKcS1_S1_S1_S1_PKiPfP15HIP_vector_typeIfLj2EEffffjfiS5_IjLj3EEiiiiiiiiiiiliiliiiiil
		.amdhsa_group_segment_fixed_size 0
		.amdhsa_private_segment_fixed_size 16
		.amdhsa_kernarg_size 464
		.amdhsa_user_sgpr_count 6
		.amdhsa_user_sgpr_private_segment_buffer 1
		.amdhsa_user_sgpr_dispatch_ptr 0
		.amdhsa_user_sgpr_queue_ptr 0
		.amdhsa_user_sgpr_kernarg_segment_ptr 1
		.amdhsa_user_sgpr_dispatch_id 0
		.amdhsa_user_sgpr_flat_scratch_init 0
		.amdhsa_user_sgpr_private_segment_size 0
		.amdhsa_wavefront_size32 1
		.amdhsa_uses_dynamic_stack 0
		.amdhsa_system_sgpr_private_segment_wavefront_offset 1
		.amdhsa_system_sgpr_workgroup_id_x 1
		.amdhsa_system_sgpr_workgroup_id_y 0
		.amdhsa_system_sgpr_workgroup_id_z 0
		.amdhsa_system_sgpr_workgroup_info 0
		.amdhsa_system_vgpr_workitem_id 0
		.amdhsa_next_free_vgpr 40
		.amdhsa_next_free_sgpr 34
		.amdhsa_reserve_vcc 1
		.amdhsa_reserve_flat_scratch 0
		.amdhsa_float_round_mode_32 0
		.amdhsa_float_round_mode_16_64 0
		.amdhsa_float_denorm_mode_32 3
		.amdhsa_float_denorm_mode_16_64 3
		.amdhsa_dx10_clamp 1
		.amdhsa_ieee_mode 1
		.amdhsa_fp16_overflow 0
		.amdhsa_workgroup_processor_mode 1
		.amdhsa_memory_ordered 1
		.amdhsa_forward_progress 1
		.amdhsa_shared_vgpr_count 0
		.amdhsa_exception_fp_ieee_invalid_op 0
		.amdhsa_exception_fp_denorm_src 0
		.amdhsa_exception_fp_ieee_div_zero 0
		.amdhsa_exception_fp_ieee_overflow 0
		.amdhsa_exception_fp_ieee_underflow 0
		.amdhsa_exception_fp_ieee_inexact 0
		.amdhsa_exception_int_div_zero 0
	.end_amdhsa_kernel
	.section	.text._ZL15flash_attn_tileILi72ELi72ELi4ELi8ELb1EEvPKcS1_S1_S1_S1_PKiPfP15HIP_vector_typeIfLj2EEffffjfiS5_IjLj3EEiiiiiiiiiiiliiliiiiil,"axG",@progbits,_ZL15flash_attn_tileILi72ELi72ELi4ELi8ELb1EEvPKcS1_S1_S1_S1_PKiPfP15HIP_vector_typeIfLj2EEffffjfiS5_IjLj3EEiiiiiiiiiiiliiliiiiil,comdat
.Lfunc_end75:
	.size	_ZL15flash_attn_tileILi72ELi72ELi4ELi8ELb1EEvPKcS1_S1_S1_S1_PKiPfP15HIP_vector_typeIfLj2EEffffjfiS5_IjLj3EEiiiiiiiiiiiliiliiiiil, .Lfunc_end75-_ZL15flash_attn_tileILi72ELi72ELi4ELi8ELb1EEvPKcS1_S1_S1_S1_PKiPfP15HIP_vector_typeIfLj2EEffffjfiS5_IjLj3EEiiiiiiiiiiiliiliiiiil
                                        ; -- End function
	.set _ZL15flash_attn_tileILi72ELi72ELi4ELi8ELb1EEvPKcS1_S1_S1_S1_PKiPfP15HIP_vector_typeIfLj2EEffffjfiS5_IjLj3EEiiiiiiiiiiiliiliiiiil.num_vgpr, max(0, .L_ZL14no_device_codePKciS0_iS0_.num_vgpr)
	.set _ZL15flash_attn_tileILi72ELi72ELi4ELi8ELb1EEvPKcS1_S1_S1_S1_PKiPfP15HIP_vector_typeIfLj2EEffffjfiS5_IjLj3EEiiiiiiiiiiiliiliiiiil.num_agpr, max(0, .L_ZL14no_device_codePKciS0_iS0_.num_agpr)
	.set _ZL15flash_attn_tileILi72ELi72ELi4ELi8ELb1EEvPKcS1_S1_S1_S1_PKiPfP15HIP_vector_typeIfLj2EEffffjfiS5_IjLj3EEiiiiiiiiiiiliiliiiiil.numbered_sgpr, max(33, .L_ZL14no_device_codePKciS0_iS0_.numbered_sgpr)
	.set _ZL15flash_attn_tileILi72ELi72ELi4ELi8ELb1EEvPKcS1_S1_S1_S1_PKiPfP15HIP_vector_typeIfLj2EEffffjfiS5_IjLj3EEiiiiiiiiiiiliiliiiiil.num_named_barrier, max(0, .L_ZL14no_device_codePKciS0_iS0_.num_named_barrier)
	.set _ZL15flash_attn_tileILi72ELi72ELi4ELi8ELb1EEvPKcS1_S1_S1_S1_PKiPfP15HIP_vector_typeIfLj2EEffffjfiS5_IjLj3EEiiiiiiiiiiiliiliiiiil.private_seg_size, 0+max(.L_ZL14no_device_codePKciS0_iS0_.private_seg_size)
	.set _ZL15flash_attn_tileILi72ELi72ELi4ELi8ELb1EEvPKcS1_S1_S1_S1_PKiPfP15HIP_vector_typeIfLj2EEffffjfiS5_IjLj3EEiiiiiiiiiiiliiliiiiil.uses_vcc, or(1, .L_ZL14no_device_codePKciS0_iS0_.uses_vcc)
	.set _ZL15flash_attn_tileILi72ELi72ELi4ELi8ELb1EEvPKcS1_S1_S1_S1_PKiPfP15HIP_vector_typeIfLj2EEffffjfiS5_IjLj3EEiiiiiiiiiiiliiliiiiil.uses_flat_scratch, or(0, .L_ZL14no_device_codePKciS0_iS0_.uses_flat_scratch)
	.set _ZL15flash_attn_tileILi72ELi72ELi4ELi8ELb1EEvPKcS1_S1_S1_S1_PKiPfP15HIP_vector_typeIfLj2EEffffjfiS5_IjLj3EEiiiiiiiiiiiliiliiiiil.has_dyn_sized_stack, or(0, .L_ZL14no_device_codePKciS0_iS0_.has_dyn_sized_stack)
	.set _ZL15flash_attn_tileILi72ELi72ELi4ELi8ELb1EEvPKcS1_S1_S1_S1_PKiPfP15HIP_vector_typeIfLj2EEffffjfiS5_IjLj3EEiiiiiiiiiiiliiliiiiil.has_recursion, or(0, .L_ZL14no_device_codePKciS0_iS0_.has_recursion)
	.set _ZL15flash_attn_tileILi72ELi72ELi4ELi8ELb1EEvPKcS1_S1_S1_S1_PKiPfP15HIP_vector_typeIfLj2EEffffjfiS5_IjLj3EEiiiiiiiiiiiliiliiiiil.has_indirect_call, or(0, .L_ZL14no_device_codePKciS0_iS0_.has_indirect_call)
	.section	.AMDGPU.csdata,"",@progbits
; Kernel info:
; codeLenInByte = 48
; TotalNumSgprs: 36
; NumVgprs: 40
; ScratchSize: 16
; MemoryBound: 0
; FloatMode: 240
; IeeeMode: 1
; LDSByteSize: 0 bytes/workgroup (compile time only)
; SGPRBlocks: 0
; VGPRBlocks: 4
; NumSGPRsForWavesPerEU: 36
; NumVGPRsForWavesPerEU: 40
; Occupancy: 16
; WaveLimiterHint : 1
; COMPUTE_PGM_RSRC2:SCRATCH_EN: 1
; COMPUTE_PGM_RSRC2:USER_SGPR: 6
; COMPUTE_PGM_RSRC2:TRAP_HANDLER: 0
; COMPUTE_PGM_RSRC2:TGID_X_EN: 1
; COMPUTE_PGM_RSRC2:TGID_Y_EN: 0
; COMPUTE_PGM_RSRC2:TGID_Z_EN: 0
; COMPUTE_PGM_RSRC2:TIDIG_COMP_CNT: 0
	.section	.text._ZL15flash_attn_tileILi72ELi72ELi2ELi8ELb1EEvPKcS1_S1_S1_S1_PKiPfP15HIP_vector_typeIfLj2EEffffjfiS5_IjLj3EEiiiiiiiiiiiliiliiiiil,"axG",@progbits,_ZL15flash_attn_tileILi72ELi72ELi2ELi8ELb1EEvPKcS1_S1_S1_S1_PKiPfP15HIP_vector_typeIfLj2EEffffjfiS5_IjLj3EEiiiiiiiiiiiliiliiiiil,comdat
	.globl	_ZL15flash_attn_tileILi72ELi72ELi2ELi8ELb1EEvPKcS1_S1_S1_S1_PKiPfP15HIP_vector_typeIfLj2EEffffjfiS5_IjLj3EEiiiiiiiiiiiliiliiiiil ; -- Begin function _ZL15flash_attn_tileILi72ELi72ELi2ELi8ELb1EEvPKcS1_S1_S1_S1_PKiPfP15HIP_vector_typeIfLj2EEffffjfiS5_IjLj3EEiiiiiiiiiiiliiliiiiil
	.p2align	8
	.type	_ZL15flash_attn_tileILi72ELi72ELi2ELi8ELb1EEvPKcS1_S1_S1_S1_PKiPfP15HIP_vector_typeIfLj2EEffffjfiS5_IjLj3EEiiiiiiiiiiiliiliiiiil,@function
_ZL15flash_attn_tileILi72ELi72ELi2ELi8ELb1EEvPKcS1_S1_S1_S1_PKiPfP15HIP_vector_typeIfLj2EEffffjfiS5_IjLj3EEiiiiiiiiiiiliiliiiiil: ; @_ZL15flash_attn_tileILi72ELi72ELi2ELi8ELb1EEvPKcS1_S1_S1_S1_PKiPfP15HIP_vector_typeIfLj2EEffffjfiS5_IjLj3EEiiiiiiiiiiiliiliiiiil
; %bb.0:
	s_add_u32 s0, s0, s7
	s_addc_u32 s1, s1, 0
	s_add_u32 s8, s4, 0xd0
	s_addc_u32 s9, s5, 0
	s_getpc_b64 s[4:5]
	s_add_u32 s4, s4, _ZL14no_device_codePKciS0_iS0_@rel32@lo+4
	s_addc_u32 s5, s5, _ZL14no_device_codePKciS0_iS0_@rel32@hi+12
	s_mov_b32 s32, 0
	s_swappc_b64 s[30:31], s[4:5]
	.section	.rodata,"a",@progbits
	.p2align	6, 0x0
	.amdhsa_kernel _ZL15flash_attn_tileILi72ELi72ELi2ELi8ELb1EEvPKcS1_S1_S1_S1_PKiPfP15HIP_vector_typeIfLj2EEffffjfiS5_IjLj3EEiiiiiiiiiiiliiliiiiil
		.amdhsa_group_segment_fixed_size 0
		.amdhsa_private_segment_fixed_size 16
		.amdhsa_kernarg_size 464
		.amdhsa_user_sgpr_count 6
		.amdhsa_user_sgpr_private_segment_buffer 1
		.amdhsa_user_sgpr_dispatch_ptr 0
		.amdhsa_user_sgpr_queue_ptr 0
		.amdhsa_user_sgpr_kernarg_segment_ptr 1
		.amdhsa_user_sgpr_dispatch_id 0
		.amdhsa_user_sgpr_flat_scratch_init 0
		.amdhsa_user_sgpr_private_segment_size 0
		.amdhsa_wavefront_size32 1
		.amdhsa_uses_dynamic_stack 0
		.amdhsa_system_sgpr_private_segment_wavefront_offset 1
		.amdhsa_system_sgpr_workgroup_id_x 1
		.amdhsa_system_sgpr_workgroup_id_y 0
		.amdhsa_system_sgpr_workgroup_id_z 0
		.amdhsa_system_sgpr_workgroup_info 0
		.amdhsa_system_vgpr_workitem_id 0
		.amdhsa_next_free_vgpr 40
		.amdhsa_next_free_sgpr 34
		.amdhsa_reserve_vcc 1
		.amdhsa_reserve_flat_scratch 0
		.amdhsa_float_round_mode_32 0
		.amdhsa_float_round_mode_16_64 0
		.amdhsa_float_denorm_mode_32 3
		.amdhsa_float_denorm_mode_16_64 3
		.amdhsa_dx10_clamp 1
		.amdhsa_ieee_mode 1
		.amdhsa_fp16_overflow 0
		.amdhsa_workgroup_processor_mode 1
		.amdhsa_memory_ordered 1
		.amdhsa_forward_progress 1
		.amdhsa_shared_vgpr_count 0
		.amdhsa_exception_fp_ieee_invalid_op 0
		.amdhsa_exception_fp_denorm_src 0
		.amdhsa_exception_fp_ieee_div_zero 0
		.amdhsa_exception_fp_ieee_overflow 0
		.amdhsa_exception_fp_ieee_underflow 0
		.amdhsa_exception_fp_ieee_inexact 0
		.amdhsa_exception_int_div_zero 0
	.end_amdhsa_kernel
	.section	.text._ZL15flash_attn_tileILi72ELi72ELi2ELi8ELb1EEvPKcS1_S1_S1_S1_PKiPfP15HIP_vector_typeIfLj2EEffffjfiS5_IjLj3EEiiiiiiiiiiiliiliiiiil,"axG",@progbits,_ZL15flash_attn_tileILi72ELi72ELi2ELi8ELb1EEvPKcS1_S1_S1_S1_PKiPfP15HIP_vector_typeIfLj2EEffffjfiS5_IjLj3EEiiiiiiiiiiiliiliiiiil,comdat
.Lfunc_end76:
	.size	_ZL15flash_attn_tileILi72ELi72ELi2ELi8ELb1EEvPKcS1_S1_S1_S1_PKiPfP15HIP_vector_typeIfLj2EEffffjfiS5_IjLj3EEiiiiiiiiiiiliiliiiiil, .Lfunc_end76-_ZL15flash_attn_tileILi72ELi72ELi2ELi8ELb1EEvPKcS1_S1_S1_S1_PKiPfP15HIP_vector_typeIfLj2EEffffjfiS5_IjLj3EEiiiiiiiiiiiliiliiiiil
                                        ; -- End function
	.set _ZL15flash_attn_tileILi72ELi72ELi2ELi8ELb1EEvPKcS1_S1_S1_S1_PKiPfP15HIP_vector_typeIfLj2EEffffjfiS5_IjLj3EEiiiiiiiiiiiliiliiiiil.num_vgpr, max(0, .L_ZL14no_device_codePKciS0_iS0_.num_vgpr)
	.set _ZL15flash_attn_tileILi72ELi72ELi2ELi8ELb1EEvPKcS1_S1_S1_S1_PKiPfP15HIP_vector_typeIfLj2EEffffjfiS5_IjLj3EEiiiiiiiiiiiliiliiiiil.num_agpr, max(0, .L_ZL14no_device_codePKciS0_iS0_.num_agpr)
	.set _ZL15flash_attn_tileILi72ELi72ELi2ELi8ELb1EEvPKcS1_S1_S1_S1_PKiPfP15HIP_vector_typeIfLj2EEffffjfiS5_IjLj3EEiiiiiiiiiiiliiliiiiil.numbered_sgpr, max(33, .L_ZL14no_device_codePKciS0_iS0_.numbered_sgpr)
	.set _ZL15flash_attn_tileILi72ELi72ELi2ELi8ELb1EEvPKcS1_S1_S1_S1_PKiPfP15HIP_vector_typeIfLj2EEffffjfiS5_IjLj3EEiiiiiiiiiiiliiliiiiil.num_named_barrier, max(0, .L_ZL14no_device_codePKciS0_iS0_.num_named_barrier)
	.set _ZL15flash_attn_tileILi72ELi72ELi2ELi8ELb1EEvPKcS1_S1_S1_S1_PKiPfP15HIP_vector_typeIfLj2EEffffjfiS5_IjLj3EEiiiiiiiiiiiliiliiiiil.private_seg_size, 0+max(.L_ZL14no_device_codePKciS0_iS0_.private_seg_size)
	.set _ZL15flash_attn_tileILi72ELi72ELi2ELi8ELb1EEvPKcS1_S1_S1_S1_PKiPfP15HIP_vector_typeIfLj2EEffffjfiS5_IjLj3EEiiiiiiiiiiiliiliiiiil.uses_vcc, or(1, .L_ZL14no_device_codePKciS0_iS0_.uses_vcc)
	.set _ZL15flash_attn_tileILi72ELi72ELi2ELi8ELb1EEvPKcS1_S1_S1_S1_PKiPfP15HIP_vector_typeIfLj2EEffffjfiS5_IjLj3EEiiiiiiiiiiiliiliiiiil.uses_flat_scratch, or(0, .L_ZL14no_device_codePKciS0_iS0_.uses_flat_scratch)
	.set _ZL15flash_attn_tileILi72ELi72ELi2ELi8ELb1EEvPKcS1_S1_S1_S1_PKiPfP15HIP_vector_typeIfLj2EEffffjfiS5_IjLj3EEiiiiiiiiiiiliiliiiiil.has_dyn_sized_stack, or(0, .L_ZL14no_device_codePKciS0_iS0_.has_dyn_sized_stack)
	.set _ZL15flash_attn_tileILi72ELi72ELi2ELi8ELb1EEvPKcS1_S1_S1_S1_PKiPfP15HIP_vector_typeIfLj2EEffffjfiS5_IjLj3EEiiiiiiiiiiiliiliiiiil.has_recursion, or(0, .L_ZL14no_device_codePKciS0_iS0_.has_recursion)
	.set _ZL15flash_attn_tileILi72ELi72ELi2ELi8ELb1EEvPKcS1_S1_S1_S1_PKiPfP15HIP_vector_typeIfLj2EEffffjfiS5_IjLj3EEiiiiiiiiiiiliiliiiiil.has_indirect_call, or(0, .L_ZL14no_device_codePKciS0_iS0_.has_indirect_call)
	.section	.AMDGPU.csdata,"",@progbits
; Kernel info:
; codeLenInByte = 48
; TotalNumSgprs: 36
; NumVgprs: 40
; ScratchSize: 16
; MemoryBound: 0
; FloatMode: 240
; IeeeMode: 1
; LDSByteSize: 0 bytes/workgroup (compile time only)
; SGPRBlocks: 0
; VGPRBlocks: 4
; NumSGPRsForWavesPerEU: 36
; NumVGPRsForWavesPerEU: 40
; Occupancy: 16
; WaveLimiterHint : 1
; COMPUTE_PGM_RSRC2:SCRATCH_EN: 1
; COMPUTE_PGM_RSRC2:USER_SGPR: 6
; COMPUTE_PGM_RSRC2:TRAP_HANDLER: 0
; COMPUTE_PGM_RSRC2:TGID_X_EN: 1
; COMPUTE_PGM_RSRC2:TGID_Y_EN: 0
; COMPUTE_PGM_RSRC2:TGID_Z_EN: 0
; COMPUTE_PGM_RSRC2:TIDIG_COMP_CNT: 0
	.section	.text._ZL15flash_attn_tileILi72ELi72ELi1ELi8ELb1EEvPKcS1_S1_S1_S1_PKiPfP15HIP_vector_typeIfLj2EEffffjfiS5_IjLj3EEiiiiiiiiiiiliiliiiiil,"axG",@progbits,_ZL15flash_attn_tileILi72ELi72ELi1ELi8ELb1EEvPKcS1_S1_S1_S1_PKiPfP15HIP_vector_typeIfLj2EEffffjfiS5_IjLj3EEiiiiiiiiiiiliiliiiiil,comdat
	.globl	_ZL15flash_attn_tileILi72ELi72ELi1ELi8ELb1EEvPKcS1_S1_S1_S1_PKiPfP15HIP_vector_typeIfLj2EEffffjfiS5_IjLj3EEiiiiiiiiiiiliiliiiiil ; -- Begin function _ZL15flash_attn_tileILi72ELi72ELi1ELi8ELb1EEvPKcS1_S1_S1_S1_PKiPfP15HIP_vector_typeIfLj2EEffffjfiS5_IjLj3EEiiiiiiiiiiiliiliiiiil
	.p2align	8
	.type	_ZL15flash_attn_tileILi72ELi72ELi1ELi8ELb1EEvPKcS1_S1_S1_S1_PKiPfP15HIP_vector_typeIfLj2EEffffjfiS5_IjLj3EEiiiiiiiiiiiliiliiiiil,@function
_ZL15flash_attn_tileILi72ELi72ELi1ELi8ELb1EEvPKcS1_S1_S1_S1_PKiPfP15HIP_vector_typeIfLj2EEffffjfiS5_IjLj3EEiiiiiiiiiiiliiliiiiil: ; @_ZL15flash_attn_tileILi72ELi72ELi1ELi8ELb1EEvPKcS1_S1_S1_S1_PKiPfP15HIP_vector_typeIfLj2EEffffjfiS5_IjLj3EEiiiiiiiiiiiliiliiiiil
; %bb.0:
	s_add_u32 s0, s0, s7
	s_addc_u32 s1, s1, 0
	s_add_u32 s8, s4, 0xd0
	s_addc_u32 s9, s5, 0
	s_getpc_b64 s[4:5]
	s_add_u32 s4, s4, _ZL14no_device_codePKciS0_iS0_@rel32@lo+4
	s_addc_u32 s5, s5, _ZL14no_device_codePKciS0_iS0_@rel32@hi+12
	s_mov_b32 s32, 0
	s_swappc_b64 s[30:31], s[4:5]
	.section	.rodata,"a",@progbits
	.p2align	6, 0x0
	.amdhsa_kernel _ZL15flash_attn_tileILi72ELi72ELi1ELi8ELb1EEvPKcS1_S1_S1_S1_PKiPfP15HIP_vector_typeIfLj2EEffffjfiS5_IjLj3EEiiiiiiiiiiiliiliiiiil
		.amdhsa_group_segment_fixed_size 0
		.amdhsa_private_segment_fixed_size 16
		.amdhsa_kernarg_size 464
		.amdhsa_user_sgpr_count 6
		.amdhsa_user_sgpr_private_segment_buffer 1
		.amdhsa_user_sgpr_dispatch_ptr 0
		.amdhsa_user_sgpr_queue_ptr 0
		.amdhsa_user_sgpr_kernarg_segment_ptr 1
		.amdhsa_user_sgpr_dispatch_id 0
		.amdhsa_user_sgpr_flat_scratch_init 0
		.amdhsa_user_sgpr_private_segment_size 0
		.amdhsa_wavefront_size32 1
		.amdhsa_uses_dynamic_stack 0
		.amdhsa_system_sgpr_private_segment_wavefront_offset 1
		.amdhsa_system_sgpr_workgroup_id_x 1
		.amdhsa_system_sgpr_workgroup_id_y 0
		.amdhsa_system_sgpr_workgroup_id_z 0
		.amdhsa_system_sgpr_workgroup_info 0
		.amdhsa_system_vgpr_workitem_id 0
		.amdhsa_next_free_vgpr 40
		.amdhsa_next_free_sgpr 34
		.amdhsa_reserve_vcc 1
		.amdhsa_reserve_flat_scratch 0
		.amdhsa_float_round_mode_32 0
		.amdhsa_float_round_mode_16_64 0
		.amdhsa_float_denorm_mode_32 3
		.amdhsa_float_denorm_mode_16_64 3
		.amdhsa_dx10_clamp 1
		.amdhsa_ieee_mode 1
		.amdhsa_fp16_overflow 0
		.amdhsa_workgroup_processor_mode 1
		.amdhsa_memory_ordered 1
		.amdhsa_forward_progress 1
		.amdhsa_shared_vgpr_count 0
		.amdhsa_exception_fp_ieee_invalid_op 0
		.amdhsa_exception_fp_denorm_src 0
		.amdhsa_exception_fp_ieee_div_zero 0
		.amdhsa_exception_fp_ieee_overflow 0
		.amdhsa_exception_fp_ieee_underflow 0
		.amdhsa_exception_fp_ieee_inexact 0
		.amdhsa_exception_int_div_zero 0
	.end_amdhsa_kernel
	.section	.text._ZL15flash_attn_tileILi72ELi72ELi1ELi8ELb1EEvPKcS1_S1_S1_S1_PKiPfP15HIP_vector_typeIfLj2EEffffjfiS5_IjLj3EEiiiiiiiiiiiliiliiiiil,"axG",@progbits,_ZL15flash_attn_tileILi72ELi72ELi1ELi8ELb1EEvPKcS1_S1_S1_S1_PKiPfP15HIP_vector_typeIfLj2EEffffjfiS5_IjLj3EEiiiiiiiiiiiliiliiiiil,comdat
.Lfunc_end77:
	.size	_ZL15flash_attn_tileILi72ELi72ELi1ELi8ELb1EEvPKcS1_S1_S1_S1_PKiPfP15HIP_vector_typeIfLj2EEffffjfiS5_IjLj3EEiiiiiiiiiiiliiliiiiil, .Lfunc_end77-_ZL15flash_attn_tileILi72ELi72ELi1ELi8ELb1EEvPKcS1_S1_S1_S1_PKiPfP15HIP_vector_typeIfLj2EEffffjfiS5_IjLj3EEiiiiiiiiiiiliiliiiiil
                                        ; -- End function
	.set _ZL15flash_attn_tileILi72ELi72ELi1ELi8ELb1EEvPKcS1_S1_S1_S1_PKiPfP15HIP_vector_typeIfLj2EEffffjfiS5_IjLj3EEiiiiiiiiiiiliiliiiiil.num_vgpr, max(0, .L_ZL14no_device_codePKciS0_iS0_.num_vgpr)
	.set _ZL15flash_attn_tileILi72ELi72ELi1ELi8ELb1EEvPKcS1_S1_S1_S1_PKiPfP15HIP_vector_typeIfLj2EEffffjfiS5_IjLj3EEiiiiiiiiiiiliiliiiiil.num_agpr, max(0, .L_ZL14no_device_codePKciS0_iS0_.num_agpr)
	.set _ZL15flash_attn_tileILi72ELi72ELi1ELi8ELb1EEvPKcS1_S1_S1_S1_PKiPfP15HIP_vector_typeIfLj2EEffffjfiS5_IjLj3EEiiiiiiiiiiiliiliiiiil.numbered_sgpr, max(33, .L_ZL14no_device_codePKciS0_iS0_.numbered_sgpr)
	.set _ZL15flash_attn_tileILi72ELi72ELi1ELi8ELb1EEvPKcS1_S1_S1_S1_PKiPfP15HIP_vector_typeIfLj2EEffffjfiS5_IjLj3EEiiiiiiiiiiiliiliiiiil.num_named_barrier, max(0, .L_ZL14no_device_codePKciS0_iS0_.num_named_barrier)
	.set _ZL15flash_attn_tileILi72ELi72ELi1ELi8ELb1EEvPKcS1_S1_S1_S1_PKiPfP15HIP_vector_typeIfLj2EEffffjfiS5_IjLj3EEiiiiiiiiiiiliiliiiiil.private_seg_size, 0+max(.L_ZL14no_device_codePKciS0_iS0_.private_seg_size)
	.set _ZL15flash_attn_tileILi72ELi72ELi1ELi8ELb1EEvPKcS1_S1_S1_S1_PKiPfP15HIP_vector_typeIfLj2EEffffjfiS5_IjLj3EEiiiiiiiiiiiliiliiiiil.uses_vcc, or(1, .L_ZL14no_device_codePKciS0_iS0_.uses_vcc)
	.set _ZL15flash_attn_tileILi72ELi72ELi1ELi8ELb1EEvPKcS1_S1_S1_S1_PKiPfP15HIP_vector_typeIfLj2EEffffjfiS5_IjLj3EEiiiiiiiiiiiliiliiiiil.uses_flat_scratch, or(0, .L_ZL14no_device_codePKciS0_iS0_.uses_flat_scratch)
	.set _ZL15flash_attn_tileILi72ELi72ELi1ELi8ELb1EEvPKcS1_S1_S1_S1_PKiPfP15HIP_vector_typeIfLj2EEffffjfiS5_IjLj3EEiiiiiiiiiiiliiliiiiil.has_dyn_sized_stack, or(0, .L_ZL14no_device_codePKciS0_iS0_.has_dyn_sized_stack)
	.set _ZL15flash_attn_tileILi72ELi72ELi1ELi8ELb1EEvPKcS1_S1_S1_S1_PKiPfP15HIP_vector_typeIfLj2EEffffjfiS5_IjLj3EEiiiiiiiiiiiliiliiiiil.has_recursion, or(0, .L_ZL14no_device_codePKciS0_iS0_.has_recursion)
	.set _ZL15flash_attn_tileILi72ELi72ELi1ELi8ELb1EEvPKcS1_S1_S1_S1_PKiPfP15HIP_vector_typeIfLj2EEffffjfiS5_IjLj3EEiiiiiiiiiiiliiliiiiil.has_indirect_call, or(0, .L_ZL14no_device_codePKciS0_iS0_.has_indirect_call)
	.section	.AMDGPU.csdata,"",@progbits
; Kernel info:
; codeLenInByte = 48
; TotalNumSgprs: 36
; NumVgprs: 40
; ScratchSize: 16
; MemoryBound: 0
; FloatMode: 240
; IeeeMode: 1
; LDSByteSize: 0 bytes/workgroup (compile time only)
; SGPRBlocks: 0
; VGPRBlocks: 4
; NumSGPRsForWavesPerEU: 36
; NumVGPRsForWavesPerEU: 40
; Occupancy: 16
; WaveLimiterHint : 1
; COMPUTE_PGM_RSRC2:SCRATCH_EN: 1
; COMPUTE_PGM_RSRC2:USER_SGPR: 6
; COMPUTE_PGM_RSRC2:TRAP_HANDLER: 0
; COMPUTE_PGM_RSRC2:TGID_X_EN: 1
; COMPUTE_PGM_RSRC2:TGID_Y_EN: 0
; COMPUTE_PGM_RSRC2:TGID_Z_EN: 0
; COMPUTE_PGM_RSRC2:TIDIG_COMP_CNT: 0
	.section	.text._ZL15flash_attn_tileILi72ELi72ELi16ELi4ELb1EEvPKcS1_S1_S1_S1_PKiPfP15HIP_vector_typeIfLj2EEffffjfiS5_IjLj3EEiiiiiiiiiiiliiliiiiil,"axG",@progbits,_ZL15flash_attn_tileILi72ELi72ELi16ELi4ELb1EEvPKcS1_S1_S1_S1_PKiPfP15HIP_vector_typeIfLj2EEffffjfiS5_IjLj3EEiiiiiiiiiiiliiliiiiil,comdat
	.globl	_ZL15flash_attn_tileILi72ELi72ELi16ELi4ELb1EEvPKcS1_S1_S1_S1_PKiPfP15HIP_vector_typeIfLj2EEffffjfiS5_IjLj3EEiiiiiiiiiiiliiliiiiil ; -- Begin function _ZL15flash_attn_tileILi72ELi72ELi16ELi4ELb1EEvPKcS1_S1_S1_S1_PKiPfP15HIP_vector_typeIfLj2EEffffjfiS5_IjLj3EEiiiiiiiiiiiliiliiiiil
	.p2align	8
	.type	_ZL15flash_attn_tileILi72ELi72ELi16ELi4ELb1EEvPKcS1_S1_S1_S1_PKiPfP15HIP_vector_typeIfLj2EEffffjfiS5_IjLj3EEiiiiiiiiiiiliiliiiiil,@function
_ZL15flash_attn_tileILi72ELi72ELi16ELi4ELb1EEvPKcS1_S1_S1_S1_PKiPfP15HIP_vector_typeIfLj2EEffffjfiS5_IjLj3EEiiiiiiiiiiiliiliiiiil: ; @_ZL15flash_attn_tileILi72ELi72ELi16ELi4ELb1EEvPKcS1_S1_S1_S1_PKiPfP15HIP_vector_typeIfLj2EEffffjfiS5_IjLj3EEiiiiiiiiiiiliiliiiiil
; %bb.0:
	s_add_u32 s0, s0, s7
	s_addc_u32 s1, s1, 0
	s_add_u32 s8, s4, 0xd0
	s_addc_u32 s9, s5, 0
	s_getpc_b64 s[4:5]
	s_add_u32 s4, s4, _ZL14no_device_codePKciS0_iS0_@rel32@lo+4
	s_addc_u32 s5, s5, _ZL14no_device_codePKciS0_iS0_@rel32@hi+12
	s_mov_b32 s32, 0
	s_swappc_b64 s[30:31], s[4:5]
	.section	.rodata,"a",@progbits
	.p2align	6, 0x0
	.amdhsa_kernel _ZL15flash_attn_tileILi72ELi72ELi16ELi4ELb1EEvPKcS1_S1_S1_S1_PKiPfP15HIP_vector_typeIfLj2EEffffjfiS5_IjLj3EEiiiiiiiiiiiliiliiiiil
		.amdhsa_group_segment_fixed_size 0
		.amdhsa_private_segment_fixed_size 16
		.amdhsa_kernarg_size 464
		.amdhsa_user_sgpr_count 6
		.amdhsa_user_sgpr_private_segment_buffer 1
		.amdhsa_user_sgpr_dispatch_ptr 0
		.amdhsa_user_sgpr_queue_ptr 0
		.amdhsa_user_sgpr_kernarg_segment_ptr 1
		.amdhsa_user_sgpr_dispatch_id 0
		.amdhsa_user_sgpr_flat_scratch_init 0
		.amdhsa_user_sgpr_private_segment_size 0
		.amdhsa_wavefront_size32 1
		.amdhsa_uses_dynamic_stack 0
		.amdhsa_system_sgpr_private_segment_wavefront_offset 1
		.amdhsa_system_sgpr_workgroup_id_x 1
		.amdhsa_system_sgpr_workgroup_id_y 0
		.amdhsa_system_sgpr_workgroup_id_z 0
		.amdhsa_system_sgpr_workgroup_info 0
		.amdhsa_system_vgpr_workitem_id 0
		.amdhsa_next_free_vgpr 40
		.amdhsa_next_free_sgpr 34
		.amdhsa_reserve_vcc 1
		.amdhsa_reserve_flat_scratch 0
		.amdhsa_float_round_mode_32 0
		.amdhsa_float_round_mode_16_64 0
		.amdhsa_float_denorm_mode_32 3
		.amdhsa_float_denorm_mode_16_64 3
		.amdhsa_dx10_clamp 1
		.amdhsa_ieee_mode 1
		.amdhsa_fp16_overflow 0
		.amdhsa_workgroup_processor_mode 1
		.amdhsa_memory_ordered 1
		.amdhsa_forward_progress 1
		.amdhsa_shared_vgpr_count 0
		.amdhsa_exception_fp_ieee_invalid_op 0
		.amdhsa_exception_fp_denorm_src 0
		.amdhsa_exception_fp_ieee_div_zero 0
		.amdhsa_exception_fp_ieee_overflow 0
		.amdhsa_exception_fp_ieee_underflow 0
		.amdhsa_exception_fp_ieee_inexact 0
		.amdhsa_exception_int_div_zero 0
	.end_amdhsa_kernel
	.section	.text._ZL15flash_attn_tileILi72ELi72ELi16ELi4ELb1EEvPKcS1_S1_S1_S1_PKiPfP15HIP_vector_typeIfLj2EEffffjfiS5_IjLj3EEiiiiiiiiiiiliiliiiiil,"axG",@progbits,_ZL15flash_attn_tileILi72ELi72ELi16ELi4ELb1EEvPKcS1_S1_S1_S1_PKiPfP15HIP_vector_typeIfLj2EEffffjfiS5_IjLj3EEiiiiiiiiiiiliiliiiiil,comdat
.Lfunc_end78:
	.size	_ZL15flash_attn_tileILi72ELi72ELi16ELi4ELb1EEvPKcS1_S1_S1_S1_PKiPfP15HIP_vector_typeIfLj2EEffffjfiS5_IjLj3EEiiiiiiiiiiiliiliiiiil, .Lfunc_end78-_ZL15flash_attn_tileILi72ELi72ELi16ELi4ELb1EEvPKcS1_S1_S1_S1_PKiPfP15HIP_vector_typeIfLj2EEffffjfiS5_IjLj3EEiiiiiiiiiiiliiliiiiil
                                        ; -- End function
	.set _ZL15flash_attn_tileILi72ELi72ELi16ELi4ELb1EEvPKcS1_S1_S1_S1_PKiPfP15HIP_vector_typeIfLj2EEffffjfiS5_IjLj3EEiiiiiiiiiiiliiliiiiil.num_vgpr, max(0, .L_ZL14no_device_codePKciS0_iS0_.num_vgpr)
	.set _ZL15flash_attn_tileILi72ELi72ELi16ELi4ELb1EEvPKcS1_S1_S1_S1_PKiPfP15HIP_vector_typeIfLj2EEffffjfiS5_IjLj3EEiiiiiiiiiiiliiliiiiil.num_agpr, max(0, .L_ZL14no_device_codePKciS0_iS0_.num_agpr)
	.set _ZL15flash_attn_tileILi72ELi72ELi16ELi4ELb1EEvPKcS1_S1_S1_S1_PKiPfP15HIP_vector_typeIfLj2EEffffjfiS5_IjLj3EEiiiiiiiiiiiliiliiiiil.numbered_sgpr, max(33, .L_ZL14no_device_codePKciS0_iS0_.numbered_sgpr)
	.set _ZL15flash_attn_tileILi72ELi72ELi16ELi4ELb1EEvPKcS1_S1_S1_S1_PKiPfP15HIP_vector_typeIfLj2EEffffjfiS5_IjLj3EEiiiiiiiiiiiliiliiiiil.num_named_barrier, max(0, .L_ZL14no_device_codePKciS0_iS0_.num_named_barrier)
	.set _ZL15flash_attn_tileILi72ELi72ELi16ELi4ELb1EEvPKcS1_S1_S1_S1_PKiPfP15HIP_vector_typeIfLj2EEffffjfiS5_IjLj3EEiiiiiiiiiiiliiliiiiil.private_seg_size, 0+max(.L_ZL14no_device_codePKciS0_iS0_.private_seg_size)
	.set _ZL15flash_attn_tileILi72ELi72ELi16ELi4ELb1EEvPKcS1_S1_S1_S1_PKiPfP15HIP_vector_typeIfLj2EEffffjfiS5_IjLj3EEiiiiiiiiiiiliiliiiiil.uses_vcc, or(1, .L_ZL14no_device_codePKciS0_iS0_.uses_vcc)
	.set _ZL15flash_attn_tileILi72ELi72ELi16ELi4ELb1EEvPKcS1_S1_S1_S1_PKiPfP15HIP_vector_typeIfLj2EEffffjfiS5_IjLj3EEiiiiiiiiiiiliiliiiiil.uses_flat_scratch, or(0, .L_ZL14no_device_codePKciS0_iS0_.uses_flat_scratch)
	.set _ZL15flash_attn_tileILi72ELi72ELi16ELi4ELb1EEvPKcS1_S1_S1_S1_PKiPfP15HIP_vector_typeIfLj2EEffffjfiS5_IjLj3EEiiiiiiiiiiiliiliiiiil.has_dyn_sized_stack, or(0, .L_ZL14no_device_codePKciS0_iS0_.has_dyn_sized_stack)
	.set _ZL15flash_attn_tileILi72ELi72ELi16ELi4ELb1EEvPKcS1_S1_S1_S1_PKiPfP15HIP_vector_typeIfLj2EEffffjfiS5_IjLj3EEiiiiiiiiiiiliiliiiiil.has_recursion, or(0, .L_ZL14no_device_codePKciS0_iS0_.has_recursion)
	.set _ZL15flash_attn_tileILi72ELi72ELi16ELi4ELb1EEvPKcS1_S1_S1_S1_PKiPfP15HIP_vector_typeIfLj2EEffffjfiS5_IjLj3EEiiiiiiiiiiiliiliiiiil.has_indirect_call, or(0, .L_ZL14no_device_codePKciS0_iS0_.has_indirect_call)
	.section	.AMDGPU.csdata,"",@progbits
; Kernel info:
; codeLenInByte = 48
; TotalNumSgprs: 36
; NumVgprs: 40
; ScratchSize: 16
; MemoryBound: 0
; FloatMode: 240
; IeeeMode: 1
; LDSByteSize: 0 bytes/workgroup (compile time only)
; SGPRBlocks: 0
; VGPRBlocks: 4
; NumSGPRsForWavesPerEU: 36
; NumVGPRsForWavesPerEU: 40
; Occupancy: 16
; WaveLimiterHint : 1
; COMPUTE_PGM_RSRC2:SCRATCH_EN: 1
; COMPUTE_PGM_RSRC2:USER_SGPR: 6
; COMPUTE_PGM_RSRC2:TRAP_HANDLER: 0
; COMPUTE_PGM_RSRC2:TGID_X_EN: 1
; COMPUTE_PGM_RSRC2:TGID_Y_EN: 0
; COMPUTE_PGM_RSRC2:TGID_Z_EN: 0
; COMPUTE_PGM_RSRC2:TIDIG_COMP_CNT: 0
	.section	.text._ZL15flash_attn_tileILi72ELi72ELi8ELi4ELb1EEvPKcS1_S1_S1_S1_PKiPfP15HIP_vector_typeIfLj2EEffffjfiS5_IjLj3EEiiiiiiiiiiiliiliiiiil,"axG",@progbits,_ZL15flash_attn_tileILi72ELi72ELi8ELi4ELb1EEvPKcS1_S1_S1_S1_PKiPfP15HIP_vector_typeIfLj2EEffffjfiS5_IjLj3EEiiiiiiiiiiiliiliiiiil,comdat
	.globl	_ZL15flash_attn_tileILi72ELi72ELi8ELi4ELb1EEvPKcS1_S1_S1_S1_PKiPfP15HIP_vector_typeIfLj2EEffffjfiS5_IjLj3EEiiiiiiiiiiiliiliiiiil ; -- Begin function _ZL15flash_attn_tileILi72ELi72ELi8ELi4ELb1EEvPKcS1_S1_S1_S1_PKiPfP15HIP_vector_typeIfLj2EEffffjfiS5_IjLj3EEiiiiiiiiiiiliiliiiiil
	.p2align	8
	.type	_ZL15flash_attn_tileILi72ELi72ELi8ELi4ELb1EEvPKcS1_S1_S1_S1_PKiPfP15HIP_vector_typeIfLj2EEffffjfiS5_IjLj3EEiiiiiiiiiiiliiliiiiil,@function
_ZL15flash_attn_tileILi72ELi72ELi8ELi4ELb1EEvPKcS1_S1_S1_S1_PKiPfP15HIP_vector_typeIfLj2EEffffjfiS5_IjLj3EEiiiiiiiiiiiliiliiiiil: ; @_ZL15flash_attn_tileILi72ELi72ELi8ELi4ELb1EEvPKcS1_S1_S1_S1_PKiPfP15HIP_vector_typeIfLj2EEffffjfiS5_IjLj3EEiiiiiiiiiiiliiliiiiil
; %bb.0:
	s_add_u32 s0, s0, s7
	s_addc_u32 s1, s1, 0
	s_add_u32 s8, s4, 0xd0
	s_addc_u32 s9, s5, 0
	s_getpc_b64 s[4:5]
	s_add_u32 s4, s4, _ZL14no_device_codePKciS0_iS0_@rel32@lo+4
	s_addc_u32 s5, s5, _ZL14no_device_codePKciS0_iS0_@rel32@hi+12
	s_mov_b32 s32, 0
	s_swappc_b64 s[30:31], s[4:5]
	.section	.rodata,"a",@progbits
	.p2align	6, 0x0
	.amdhsa_kernel _ZL15flash_attn_tileILi72ELi72ELi8ELi4ELb1EEvPKcS1_S1_S1_S1_PKiPfP15HIP_vector_typeIfLj2EEffffjfiS5_IjLj3EEiiiiiiiiiiiliiliiiiil
		.amdhsa_group_segment_fixed_size 0
		.amdhsa_private_segment_fixed_size 16
		.amdhsa_kernarg_size 464
		.amdhsa_user_sgpr_count 6
		.amdhsa_user_sgpr_private_segment_buffer 1
		.amdhsa_user_sgpr_dispatch_ptr 0
		.amdhsa_user_sgpr_queue_ptr 0
		.amdhsa_user_sgpr_kernarg_segment_ptr 1
		.amdhsa_user_sgpr_dispatch_id 0
		.amdhsa_user_sgpr_flat_scratch_init 0
		.amdhsa_user_sgpr_private_segment_size 0
		.amdhsa_wavefront_size32 1
		.amdhsa_uses_dynamic_stack 0
		.amdhsa_system_sgpr_private_segment_wavefront_offset 1
		.amdhsa_system_sgpr_workgroup_id_x 1
		.amdhsa_system_sgpr_workgroup_id_y 0
		.amdhsa_system_sgpr_workgroup_id_z 0
		.amdhsa_system_sgpr_workgroup_info 0
		.amdhsa_system_vgpr_workitem_id 0
		.amdhsa_next_free_vgpr 40
		.amdhsa_next_free_sgpr 34
		.amdhsa_reserve_vcc 1
		.amdhsa_reserve_flat_scratch 0
		.amdhsa_float_round_mode_32 0
		.amdhsa_float_round_mode_16_64 0
		.amdhsa_float_denorm_mode_32 3
		.amdhsa_float_denorm_mode_16_64 3
		.amdhsa_dx10_clamp 1
		.amdhsa_ieee_mode 1
		.amdhsa_fp16_overflow 0
		.amdhsa_workgroup_processor_mode 1
		.amdhsa_memory_ordered 1
		.amdhsa_forward_progress 1
		.amdhsa_shared_vgpr_count 0
		.amdhsa_exception_fp_ieee_invalid_op 0
		.amdhsa_exception_fp_denorm_src 0
		.amdhsa_exception_fp_ieee_div_zero 0
		.amdhsa_exception_fp_ieee_overflow 0
		.amdhsa_exception_fp_ieee_underflow 0
		.amdhsa_exception_fp_ieee_inexact 0
		.amdhsa_exception_int_div_zero 0
	.end_amdhsa_kernel
	.section	.text._ZL15flash_attn_tileILi72ELi72ELi8ELi4ELb1EEvPKcS1_S1_S1_S1_PKiPfP15HIP_vector_typeIfLj2EEffffjfiS5_IjLj3EEiiiiiiiiiiiliiliiiiil,"axG",@progbits,_ZL15flash_attn_tileILi72ELi72ELi8ELi4ELb1EEvPKcS1_S1_S1_S1_PKiPfP15HIP_vector_typeIfLj2EEffffjfiS5_IjLj3EEiiiiiiiiiiiliiliiiiil,comdat
.Lfunc_end79:
	.size	_ZL15flash_attn_tileILi72ELi72ELi8ELi4ELb1EEvPKcS1_S1_S1_S1_PKiPfP15HIP_vector_typeIfLj2EEffffjfiS5_IjLj3EEiiiiiiiiiiiliiliiiiil, .Lfunc_end79-_ZL15flash_attn_tileILi72ELi72ELi8ELi4ELb1EEvPKcS1_S1_S1_S1_PKiPfP15HIP_vector_typeIfLj2EEffffjfiS5_IjLj3EEiiiiiiiiiiiliiliiiiil
                                        ; -- End function
	.set _ZL15flash_attn_tileILi72ELi72ELi8ELi4ELb1EEvPKcS1_S1_S1_S1_PKiPfP15HIP_vector_typeIfLj2EEffffjfiS5_IjLj3EEiiiiiiiiiiiliiliiiiil.num_vgpr, max(0, .L_ZL14no_device_codePKciS0_iS0_.num_vgpr)
	.set _ZL15flash_attn_tileILi72ELi72ELi8ELi4ELb1EEvPKcS1_S1_S1_S1_PKiPfP15HIP_vector_typeIfLj2EEffffjfiS5_IjLj3EEiiiiiiiiiiiliiliiiiil.num_agpr, max(0, .L_ZL14no_device_codePKciS0_iS0_.num_agpr)
	.set _ZL15flash_attn_tileILi72ELi72ELi8ELi4ELb1EEvPKcS1_S1_S1_S1_PKiPfP15HIP_vector_typeIfLj2EEffffjfiS5_IjLj3EEiiiiiiiiiiiliiliiiiil.numbered_sgpr, max(33, .L_ZL14no_device_codePKciS0_iS0_.numbered_sgpr)
	.set _ZL15flash_attn_tileILi72ELi72ELi8ELi4ELb1EEvPKcS1_S1_S1_S1_PKiPfP15HIP_vector_typeIfLj2EEffffjfiS5_IjLj3EEiiiiiiiiiiiliiliiiiil.num_named_barrier, max(0, .L_ZL14no_device_codePKciS0_iS0_.num_named_barrier)
	.set _ZL15flash_attn_tileILi72ELi72ELi8ELi4ELb1EEvPKcS1_S1_S1_S1_PKiPfP15HIP_vector_typeIfLj2EEffffjfiS5_IjLj3EEiiiiiiiiiiiliiliiiiil.private_seg_size, 0+max(.L_ZL14no_device_codePKciS0_iS0_.private_seg_size)
	.set _ZL15flash_attn_tileILi72ELi72ELi8ELi4ELb1EEvPKcS1_S1_S1_S1_PKiPfP15HIP_vector_typeIfLj2EEffffjfiS5_IjLj3EEiiiiiiiiiiiliiliiiiil.uses_vcc, or(1, .L_ZL14no_device_codePKciS0_iS0_.uses_vcc)
	.set _ZL15flash_attn_tileILi72ELi72ELi8ELi4ELb1EEvPKcS1_S1_S1_S1_PKiPfP15HIP_vector_typeIfLj2EEffffjfiS5_IjLj3EEiiiiiiiiiiiliiliiiiil.uses_flat_scratch, or(0, .L_ZL14no_device_codePKciS0_iS0_.uses_flat_scratch)
	.set _ZL15flash_attn_tileILi72ELi72ELi8ELi4ELb1EEvPKcS1_S1_S1_S1_PKiPfP15HIP_vector_typeIfLj2EEffffjfiS5_IjLj3EEiiiiiiiiiiiliiliiiiil.has_dyn_sized_stack, or(0, .L_ZL14no_device_codePKciS0_iS0_.has_dyn_sized_stack)
	.set _ZL15flash_attn_tileILi72ELi72ELi8ELi4ELb1EEvPKcS1_S1_S1_S1_PKiPfP15HIP_vector_typeIfLj2EEffffjfiS5_IjLj3EEiiiiiiiiiiiliiliiiiil.has_recursion, or(0, .L_ZL14no_device_codePKciS0_iS0_.has_recursion)
	.set _ZL15flash_attn_tileILi72ELi72ELi8ELi4ELb1EEvPKcS1_S1_S1_S1_PKiPfP15HIP_vector_typeIfLj2EEffffjfiS5_IjLj3EEiiiiiiiiiiiliiliiiiil.has_indirect_call, or(0, .L_ZL14no_device_codePKciS0_iS0_.has_indirect_call)
	.section	.AMDGPU.csdata,"",@progbits
; Kernel info:
; codeLenInByte = 48
; TotalNumSgprs: 36
; NumVgprs: 40
; ScratchSize: 16
; MemoryBound: 0
; FloatMode: 240
; IeeeMode: 1
; LDSByteSize: 0 bytes/workgroup (compile time only)
; SGPRBlocks: 0
; VGPRBlocks: 4
; NumSGPRsForWavesPerEU: 36
; NumVGPRsForWavesPerEU: 40
; Occupancy: 16
; WaveLimiterHint : 1
; COMPUTE_PGM_RSRC2:SCRATCH_EN: 1
; COMPUTE_PGM_RSRC2:USER_SGPR: 6
; COMPUTE_PGM_RSRC2:TRAP_HANDLER: 0
; COMPUTE_PGM_RSRC2:TGID_X_EN: 1
; COMPUTE_PGM_RSRC2:TGID_Y_EN: 0
; COMPUTE_PGM_RSRC2:TGID_Z_EN: 0
; COMPUTE_PGM_RSRC2:TIDIG_COMP_CNT: 0
	.section	.text._ZL15flash_attn_tileILi72ELi72ELi4ELi4ELb1EEvPKcS1_S1_S1_S1_PKiPfP15HIP_vector_typeIfLj2EEffffjfiS5_IjLj3EEiiiiiiiiiiiliiliiiiil,"axG",@progbits,_ZL15flash_attn_tileILi72ELi72ELi4ELi4ELb1EEvPKcS1_S1_S1_S1_PKiPfP15HIP_vector_typeIfLj2EEffffjfiS5_IjLj3EEiiiiiiiiiiiliiliiiiil,comdat
	.globl	_ZL15flash_attn_tileILi72ELi72ELi4ELi4ELb1EEvPKcS1_S1_S1_S1_PKiPfP15HIP_vector_typeIfLj2EEffffjfiS5_IjLj3EEiiiiiiiiiiiliiliiiiil ; -- Begin function _ZL15flash_attn_tileILi72ELi72ELi4ELi4ELb1EEvPKcS1_S1_S1_S1_PKiPfP15HIP_vector_typeIfLj2EEffffjfiS5_IjLj3EEiiiiiiiiiiiliiliiiiil
	.p2align	8
	.type	_ZL15flash_attn_tileILi72ELi72ELi4ELi4ELb1EEvPKcS1_S1_S1_S1_PKiPfP15HIP_vector_typeIfLj2EEffffjfiS5_IjLj3EEiiiiiiiiiiiliiliiiiil,@function
_ZL15flash_attn_tileILi72ELi72ELi4ELi4ELb1EEvPKcS1_S1_S1_S1_PKiPfP15HIP_vector_typeIfLj2EEffffjfiS5_IjLj3EEiiiiiiiiiiiliiliiiiil: ; @_ZL15flash_attn_tileILi72ELi72ELi4ELi4ELb1EEvPKcS1_S1_S1_S1_PKiPfP15HIP_vector_typeIfLj2EEffffjfiS5_IjLj3EEiiiiiiiiiiiliiliiiiil
; %bb.0:
	s_add_u32 s0, s0, s7
	s_addc_u32 s1, s1, 0
	s_add_u32 s8, s4, 0xd0
	s_addc_u32 s9, s5, 0
	s_getpc_b64 s[4:5]
	s_add_u32 s4, s4, _ZL14no_device_codePKciS0_iS0_@rel32@lo+4
	s_addc_u32 s5, s5, _ZL14no_device_codePKciS0_iS0_@rel32@hi+12
	s_mov_b32 s32, 0
	s_swappc_b64 s[30:31], s[4:5]
	.section	.rodata,"a",@progbits
	.p2align	6, 0x0
	.amdhsa_kernel _ZL15flash_attn_tileILi72ELi72ELi4ELi4ELb1EEvPKcS1_S1_S1_S1_PKiPfP15HIP_vector_typeIfLj2EEffffjfiS5_IjLj3EEiiiiiiiiiiiliiliiiiil
		.amdhsa_group_segment_fixed_size 0
		.amdhsa_private_segment_fixed_size 16
		.amdhsa_kernarg_size 464
		.amdhsa_user_sgpr_count 6
		.amdhsa_user_sgpr_private_segment_buffer 1
		.amdhsa_user_sgpr_dispatch_ptr 0
		.amdhsa_user_sgpr_queue_ptr 0
		.amdhsa_user_sgpr_kernarg_segment_ptr 1
		.amdhsa_user_sgpr_dispatch_id 0
		.amdhsa_user_sgpr_flat_scratch_init 0
		.amdhsa_user_sgpr_private_segment_size 0
		.amdhsa_wavefront_size32 1
		.amdhsa_uses_dynamic_stack 0
		.amdhsa_system_sgpr_private_segment_wavefront_offset 1
		.amdhsa_system_sgpr_workgroup_id_x 1
		.amdhsa_system_sgpr_workgroup_id_y 0
		.amdhsa_system_sgpr_workgroup_id_z 0
		.amdhsa_system_sgpr_workgroup_info 0
		.amdhsa_system_vgpr_workitem_id 0
		.amdhsa_next_free_vgpr 40
		.amdhsa_next_free_sgpr 34
		.amdhsa_reserve_vcc 1
		.amdhsa_reserve_flat_scratch 0
		.amdhsa_float_round_mode_32 0
		.amdhsa_float_round_mode_16_64 0
		.amdhsa_float_denorm_mode_32 3
		.amdhsa_float_denorm_mode_16_64 3
		.amdhsa_dx10_clamp 1
		.amdhsa_ieee_mode 1
		.amdhsa_fp16_overflow 0
		.amdhsa_workgroup_processor_mode 1
		.amdhsa_memory_ordered 1
		.amdhsa_forward_progress 1
		.amdhsa_shared_vgpr_count 0
		.amdhsa_exception_fp_ieee_invalid_op 0
		.amdhsa_exception_fp_denorm_src 0
		.amdhsa_exception_fp_ieee_div_zero 0
		.amdhsa_exception_fp_ieee_overflow 0
		.amdhsa_exception_fp_ieee_underflow 0
		.amdhsa_exception_fp_ieee_inexact 0
		.amdhsa_exception_int_div_zero 0
	.end_amdhsa_kernel
	.section	.text._ZL15flash_attn_tileILi72ELi72ELi4ELi4ELb1EEvPKcS1_S1_S1_S1_PKiPfP15HIP_vector_typeIfLj2EEffffjfiS5_IjLj3EEiiiiiiiiiiiliiliiiiil,"axG",@progbits,_ZL15flash_attn_tileILi72ELi72ELi4ELi4ELb1EEvPKcS1_S1_S1_S1_PKiPfP15HIP_vector_typeIfLj2EEffffjfiS5_IjLj3EEiiiiiiiiiiiliiliiiiil,comdat
.Lfunc_end80:
	.size	_ZL15flash_attn_tileILi72ELi72ELi4ELi4ELb1EEvPKcS1_S1_S1_S1_PKiPfP15HIP_vector_typeIfLj2EEffffjfiS5_IjLj3EEiiiiiiiiiiiliiliiiiil, .Lfunc_end80-_ZL15flash_attn_tileILi72ELi72ELi4ELi4ELb1EEvPKcS1_S1_S1_S1_PKiPfP15HIP_vector_typeIfLj2EEffffjfiS5_IjLj3EEiiiiiiiiiiiliiliiiiil
                                        ; -- End function
	.set _ZL15flash_attn_tileILi72ELi72ELi4ELi4ELb1EEvPKcS1_S1_S1_S1_PKiPfP15HIP_vector_typeIfLj2EEffffjfiS5_IjLj3EEiiiiiiiiiiiliiliiiiil.num_vgpr, max(0, .L_ZL14no_device_codePKciS0_iS0_.num_vgpr)
	.set _ZL15flash_attn_tileILi72ELi72ELi4ELi4ELb1EEvPKcS1_S1_S1_S1_PKiPfP15HIP_vector_typeIfLj2EEffffjfiS5_IjLj3EEiiiiiiiiiiiliiliiiiil.num_agpr, max(0, .L_ZL14no_device_codePKciS0_iS0_.num_agpr)
	.set _ZL15flash_attn_tileILi72ELi72ELi4ELi4ELb1EEvPKcS1_S1_S1_S1_PKiPfP15HIP_vector_typeIfLj2EEffffjfiS5_IjLj3EEiiiiiiiiiiiliiliiiiil.numbered_sgpr, max(33, .L_ZL14no_device_codePKciS0_iS0_.numbered_sgpr)
	.set _ZL15flash_attn_tileILi72ELi72ELi4ELi4ELb1EEvPKcS1_S1_S1_S1_PKiPfP15HIP_vector_typeIfLj2EEffffjfiS5_IjLj3EEiiiiiiiiiiiliiliiiiil.num_named_barrier, max(0, .L_ZL14no_device_codePKciS0_iS0_.num_named_barrier)
	.set _ZL15flash_attn_tileILi72ELi72ELi4ELi4ELb1EEvPKcS1_S1_S1_S1_PKiPfP15HIP_vector_typeIfLj2EEffffjfiS5_IjLj3EEiiiiiiiiiiiliiliiiiil.private_seg_size, 0+max(.L_ZL14no_device_codePKciS0_iS0_.private_seg_size)
	.set _ZL15flash_attn_tileILi72ELi72ELi4ELi4ELb1EEvPKcS1_S1_S1_S1_PKiPfP15HIP_vector_typeIfLj2EEffffjfiS5_IjLj3EEiiiiiiiiiiiliiliiiiil.uses_vcc, or(1, .L_ZL14no_device_codePKciS0_iS0_.uses_vcc)
	.set _ZL15flash_attn_tileILi72ELi72ELi4ELi4ELb1EEvPKcS1_S1_S1_S1_PKiPfP15HIP_vector_typeIfLj2EEffffjfiS5_IjLj3EEiiiiiiiiiiiliiliiiiil.uses_flat_scratch, or(0, .L_ZL14no_device_codePKciS0_iS0_.uses_flat_scratch)
	.set _ZL15flash_attn_tileILi72ELi72ELi4ELi4ELb1EEvPKcS1_S1_S1_S1_PKiPfP15HIP_vector_typeIfLj2EEffffjfiS5_IjLj3EEiiiiiiiiiiiliiliiiiil.has_dyn_sized_stack, or(0, .L_ZL14no_device_codePKciS0_iS0_.has_dyn_sized_stack)
	.set _ZL15flash_attn_tileILi72ELi72ELi4ELi4ELb1EEvPKcS1_S1_S1_S1_PKiPfP15HIP_vector_typeIfLj2EEffffjfiS5_IjLj3EEiiiiiiiiiiiliiliiiiil.has_recursion, or(0, .L_ZL14no_device_codePKciS0_iS0_.has_recursion)
	.set _ZL15flash_attn_tileILi72ELi72ELi4ELi4ELb1EEvPKcS1_S1_S1_S1_PKiPfP15HIP_vector_typeIfLj2EEffffjfiS5_IjLj3EEiiiiiiiiiiiliiliiiiil.has_indirect_call, or(0, .L_ZL14no_device_codePKciS0_iS0_.has_indirect_call)
	.section	.AMDGPU.csdata,"",@progbits
; Kernel info:
; codeLenInByte = 48
; TotalNumSgprs: 36
; NumVgprs: 40
; ScratchSize: 16
; MemoryBound: 0
; FloatMode: 240
; IeeeMode: 1
; LDSByteSize: 0 bytes/workgroup (compile time only)
; SGPRBlocks: 0
; VGPRBlocks: 4
; NumSGPRsForWavesPerEU: 36
; NumVGPRsForWavesPerEU: 40
; Occupancy: 16
; WaveLimiterHint : 1
; COMPUTE_PGM_RSRC2:SCRATCH_EN: 1
; COMPUTE_PGM_RSRC2:USER_SGPR: 6
; COMPUTE_PGM_RSRC2:TRAP_HANDLER: 0
; COMPUTE_PGM_RSRC2:TGID_X_EN: 1
; COMPUTE_PGM_RSRC2:TGID_Y_EN: 0
; COMPUTE_PGM_RSRC2:TGID_Z_EN: 0
; COMPUTE_PGM_RSRC2:TIDIG_COMP_CNT: 0
	.section	.text._ZL15flash_attn_tileILi72ELi72ELi2ELi4ELb1EEvPKcS1_S1_S1_S1_PKiPfP15HIP_vector_typeIfLj2EEffffjfiS5_IjLj3EEiiiiiiiiiiiliiliiiiil,"axG",@progbits,_ZL15flash_attn_tileILi72ELi72ELi2ELi4ELb1EEvPKcS1_S1_S1_S1_PKiPfP15HIP_vector_typeIfLj2EEffffjfiS5_IjLj3EEiiiiiiiiiiiliiliiiiil,comdat
	.globl	_ZL15flash_attn_tileILi72ELi72ELi2ELi4ELb1EEvPKcS1_S1_S1_S1_PKiPfP15HIP_vector_typeIfLj2EEffffjfiS5_IjLj3EEiiiiiiiiiiiliiliiiiil ; -- Begin function _ZL15flash_attn_tileILi72ELi72ELi2ELi4ELb1EEvPKcS1_S1_S1_S1_PKiPfP15HIP_vector_typeIfLj2EEffffjfiS5_IjLj3EEiiiiiiiiiiiliiliiiiil
	.p2align	8
	.type	_ZL15flash_attn_tileILi72ELi72ELi2ELi4ELb1EEvPKcS1_S1_S1_S1_PKiPfP15HIP_vector_typeIfLj2EEffffjfiS5_IjLj3EEiiiiiiiiiiiliiliiiiil,@function
_ZL15flash_attn_tileILi72ELi72ELi2ELi4ELb1EEvPKcS1_S1_S1_S1_PKiPfP15HIP_vector_typeIfLj2EEffffjfiS5_IjLj3EEiiiiiiiiiiiliiliiiiil: ; @_ZL15flash_attn_tileILi72ELi72ELi2ELi4ELb1EEvPKcS1_S1_S1_S1_PKiPfP15HIP_vector_typeIfLj2EEffffjfiS5_IjLj3EEiiiiiiiiiiiliiliiiiil
; %bb.0:
	s_add_u32 s0, s0, s7
	s_addc_u32 s1, s1, 0
	s_add_u32 s8, s4, 0xd0
	s_addc_u32 s9, s5, 0
	s_getpc_b64 s[4:5]
	s_add_u32 s4, s4, _ZL14no_device_codePKciS0_iS0_@rel32@lo+4
	s_addc_u32 s5, s5, _ZL14no_device_codePKciS0_iS0_@rel32@hi+12
	s_mov_b32 s32, 0
	s_swappc_b64 s[30:31], s[4:5]
	.section	.rodata,"a",@progbits
	.p2align	6, 0x0
	.amdhsa_kernel _ZL15flash_attn_tileILi72ELi72ELi2ELi4ELb1EEvPKcS1_S1_S1_S1_PKiPfP15HIP_vector_typeIfLj2EEffffjfiS5_IjLj3EEiiiiiiiiiiiliiliiiiil
		.amdhsa_group_segment_fixed_size 0
		.amdhsa_private_segment_fixed_size 16
		.amdhsa_kernarg_size 464
		.amdhsa_user_sgpr_count 6
		.amdhsa_user_sgpr_private_segment_buffer 1
		.amdhsa_user_sgpr_dispatch_ptr 0
		.amdhsa_user_sgpr_queue_ptr 0
		.amdhsa_user_sgpr_kernarg_segment_ptr 1
		.amdhsa_user_sgpr_dispatch_id 0
		.amdhsa_user_sgpr_flat_scratch_init 0
		.amdhsa_user_sgpr_private_segment_size 0
		.amdhsa_wavefront_size32 1
		.amdhsa_uses_dynamic_stack 0
		.amdhsa_system_sgpr_private_segment_wavefront_offset 1
		.amdhsa_system_sgpr_workgroup_id_x 1
		.amdhsa_system_sgpr_workgroup_id_y 0
		.amdhsa_system_sgpr_workgroup_id_z 0
		.amdhsa_system_sgpr_workgroup_info 0
		.amdhsa_system_vgpr_workitem_id 0
		.amdhsa_next_free_vgpr 40
		.amdhsa_next_free_sgpr 34
		.amdhsa_reserve_vcc 1
		.amdhsa_reserve_flat_scratch 0
		.amdhsa_float_round_mode_32 0
		.amdhsa_float_round_mode_16_64 0
		.amdhsa_float_denorm_mode_32 3
		.amdhsa_float_denorm_mode_16_64 3
		.amdhsa_dx10_clamp 1
		.amdhsa_ieee_mode 1
		.amdhsa_fp16_overflow 0
		.amdhsa_workgroup_processor_mode 1
		.amdhsa_memory_ordered 1
		.amdhsa_forward_progress 1
		.amdhsa_shared_vgpr_count 0
		.amdhsa_exception_fp_ieee_invalid_op 0
		.amdhsa_exception_fp_denorm_src 0
		.amdhsa_exception_fp_ieee_div_zero 0
		.amdhsa_exception_fp_ieee_overflow 0
		.amdhsa_exception_fp_ieee_underflow 0
		.amdhsa_exception_fp_ieee_inexact 0
		.amdhsa_exception_int_div_zero 0
	.end_amdhsa_kernel
	.section	.text._ZL15flash_attn_tileILi72ELi72ELi2ELi4ELb1EEvPKcS1_S1_S1_S1_PKiPfP15HIP_vector_typeIfLj2EEffffjfiS5_IjLj3EEiiiiiiiiiiiliiliiiiil,"axG",@progbits,_ZL15flash_attn_tileILi72ELi72ELi2ELi4ELb1EEvPKcS1_S1_S1_S1_PKiPfP15HIP_vector_typeIfLj2EEffffjfiS5_IjLj3EEiiiiiiiiiiiliiliiiiil,comdat
.Lfunc_end81:
	.size	_ZL15flash_attn_tileILi72ELi72ELi2ELi4ELb1EEvPKcS1_S1_S1_S1_PKiPfP15HIP_vector_typeIfLj2EEffffjfiS5_IjLj3EEiiiiiiiiiiiliiliiiiil, .Lfunc_end81-_ZL15flash_attn_tileILi72ELi72ELi2ELi4ELb1EEvPKcS1_S1_S1_S1_PKiPfP15HIP_vector_typeIfLj2EEffffjfiS5_IjLj3EEiiiiiiiiiiiliiliiiiil
                                        ; -- End function
	.set _ZL15flash_attn_tileILi72ELi72ELi2ELi4ELb1EEvPKcS1_S1_S1_S1_PKiPfP15HIP_vector_typeIfLj2EEffffjfiS5_IjLj3EEiiiiiiiiiiiliiliiiiil.num_vgpr, max(0, .L_ZL14no_device_codePKciS0_iS0_.num_vgpr)
	.set _ZL15flash_attn_tileILi72ELi72ELi2ELi4ELb1EEvPKcS1_S1_S1_S1_PKiPfP15HIP_vector_typeIfLj2EEffffjfiS5_IjLj3EEiiiiiiiiiiiliiliiiiil.num_agpr, max(0, .L_ZL14no_device_codePKciS0_iS0_.num_agpr)
	.set _ZL15flash_attn_tileILi72ELi72ELi2ELi4ELb1EEvPKcS1_S1_S1_S1_PKiPfP15HIP_vector_typeIfLj2EEffffjfiS5_IjLj3EEiiiiiiiiiiiliiliiiiil.numbered_sgpr, max(33, .L_ZL14no_device_codePKciS0_iS0_.numbered_sgpr)
	.set _ZL15flash_attn_tileILi72ELi72ELi2ELi4ELb1EEvPKcS1_S1_S1_S1_PKiPfP15HIP_vector_typeIfLj2EEffffjfiS5_IjLj3EEiiiiiiiiiiiliiliiiiil.num_named_barrier, max(0, .L_ZL14no_device_codePKciS0_iS0_.num_named_barrier)
	.set _ZL15flash_attn_tileILi72ELi72ELi2ELi4ELb1EEvPKcS1_S1_S1_S1_PKiPfP15HIP_vector_typeIfLj2EEffffjfiS5_IjLj3EEiiiiiiiiiiiliiliiiiil.private_seg_size, 0+max(.L_ZL14no_device_codePKciS0_iS0_.private_seg_size)
	.set _ZL15flash_attn_tileILi72ELi72ELi2ELi4ELb1EEvPKcS1_S1_S1_S1_PKiPfP15HIP_vector_typeIfLj2EEffffjfiS5_IjLj3EEiiiiiiiiiiiliiliiiiil.uses_vcc, or(1, .L_ZL14no_device_codePKciS0_iS0_.uses_vcc)
	.set _ZL15flash_attn_tileILi72ELi72ELi2ELi4ELb1EEvPKcS1_S1_S1_S1_PKiPfP15HIP_vector_typeIfLj2EEffffjfiS5_IjLj3EEiiiiiiiiiiiliiliiiiil.uses_flat_scratch, or(0, .L_ZL14no_device_codePKciS0_iS0_.uses_flat_scratch)
	.set _ZL15flash_attn_tileILi72ELi72ELi2ELi4ELb1EEvPKcS1_S1_S1_S1_PKiPfP15HIP_vector_typeIfLj2EEffffjfiS5_IjLj3EEiiiiiiiiiiiliiliiiiil.has_dyn_sized_stack, or(0, .L_ZL14no_device_codePKciS0_iS0_.has_dyn_sized_stack)
	.set _ZL15flash_attn_tileILi72ELi72ELi2ELi4ELb1EEvPKcS1_S1_S1_S1_PKiPfP15HIP_vector_typeIfLj2EEffffjfiS5_IjLj3EEiiiiiiiiiiiliiliiiiil.has_recursion, or(0, .L_ZL14no_device_codePKciS0_iS0_.has_recursion)
	.set _ZL15flash_attn_tileILi72ELi72ELi2ELi4ELb1EEvPKcS1_S1_S1_S1_PKiPfP15HIP_vector_typeIfLj2EEffffjfiS5_IjLj3EEiiiiiiiiiiiliiliiiiil.has_indirect_call, or(0, .L_ZL14no_device_codePKciS0_iS0_.has_indirect_call)
	.section	.AMDGPU.csdata,"",@progbits
; Kernel info:
; codeLenInByte = 48
; TotalNumSgprs: 36
; NumVgprs: 40
; ScratchSize: 16
; MemoryBound: 0
; FloatMode: 240
; IeeeMode: 1
; LDSByteSize: 0 bytes/workgroup (compile time only)
; SGPRBlocks: 0
; VGPRBlocks: 4
; NumSGPRsForWavesPerEU: 36
; NumVGPRsForWavesPerEU: 40
; Occupancy: 16
; WaveLimiterHint : 1
; COMPUTE_PGM_RSRC2:SCRATCH_EN: 1
; COMPUTE_PGM_RSRC2:USER_SGPR: 6
; COMPUTE_PGM_RSRC2:TRAP_HANDLER: 0
; COMPUTE_PGM_RSRC2:TGID_X_EN: 1
; COMPUTE_PGM_RSRC2:TGID_Y_EN: 0
; COMPUTE_PGM_RSRC2:TGID_Z_EN: 0
; COMPUTE_PGM_RSRC2:TIDIG_COMP_CNT: 0
	.section	.text._ZL15flash_attn_tileILi72ELi72ELi1ELi4ELb1EEvPKcS1_S1_S1_S1_PKiPfP15HIP_vector_typeIfLj2EEffffjfiS5_IjLj3EEiiiiiiiiiiiliiliiiiil,"axG",@progbits,_ZL15flash_attn_tileILi72ELi72ELi1ELi4ELb1EEvPKcS1_S1_S1_S1_PKiPfP15HIP_vector_typeIfLj2EEffffjfiS5_IjLj3EEiiiiiiiiiiiliiliiiiil,comdat
	.globl	_ZL15flash_attn_tileILi72ELi72ELi1ELi4ELb1EEvPKcS1_S1_S1_S1_PKiPfP15HIP_vector_typeIfLj2EEffffjfiS5_IjLj3EEiiiiiiiiiiiliiliiiiil ; -- Begin function _ZL15flash_attn_tileILi72ELi72ELi1ELi4ELb1EEvPKcS1_S1_S1_S1_PKiPfP15HIP_vector_typeIfLj2EEffffjfiS5_IjLj3EEiiiiiiiiiiiliiliiiiil
	.p2align	8
	.type	_ZL15flash_attn_tileILi72ELi72ELi1ELi4ELb1EEvPKcS1_S1_S1_S1_PKiPfP15HIP_vector_typeIfLj2EEffffjfiS5_IjLj3EEiiiiiiiiiiiliiliiiiil,@function
_ZL15flash_attn_tileILi72ELi72ELi1ELi4ELb1EEvPKcS1_S1_S1_S1_PKiPfP15HIP_vector_typeIfLj2EEffffjfiS5_IjLj3EEiiiiiiiiiiiliiliiiiil: ; @_ZL15flash_attn_tileILi72ELi72ELi1ELi4ELb1EEvPKcS1_S1_S1_S1_PKiPfP15HIP_vector_typeIfLj2EEffffjfiS5_IjLj3EEiiiiiiiiiiiliiliiiiil
; %bb.0:
	s_add_u32 s0, s0, s7
	s_addc_u32 s1, s1, 0
	s_add_u32 s8, s4, 0xd0
	s_addc_u32 s9, s5, 0
	s_getpc_b64 s[4:5]
	s_add_u32 s4, s4, _ZL14no_device_codePKciS0_iS0_@rel32@lo+4
	s_addc_u32 s5, s5, _ZL14no_device_codePKciS0_iS0_@rel32@hi+12
	s_mov_b32 s32, 0
	s_swappc_b64 s[30:31], s[4:5]
	.section	.rodata,"a",@progbits
	.p2align	6, 0x0
	.amdhsa_kernel _ZL15flash_attn_tileILi72ELi72ELi1ELi4ELb1EEvPKcS1_S1_S1_S1_PKiPfP15HIP_vector_typeIfLj2EEffffjfiS5_IjLj3EEiiiiiiiiiiiliiliiiiil
		.amdhsa_group_segment_fixed_size 0
		.amdhsa_private_segment_fixed_size 16
		.amdhsa_kernarg_size 464
		.amdhsa_user_sgpr_count 6
		.amdhsa_user_sgpr_private_segment_buffer 1
		.amdhsa_user_sgpr_dispatch_ptr 0
		.amdhsa_user_sgpr_queue_ptr 0
		.amdhsa_user_sgpr_kernarg_segment_ptr 1
		.amdhsa_user_sgpr_dispatch_id 0
		.amdhsa_user_sgpr_flat_scratch_init 0
		.amdhsa_user_sgpr_private_segment_size 0
		.amdhsa_wavefront_size32 1
		.amdhsa_uses_dynamic_stack 0
		.amdhsa_system_sgpr_private_segment_wavefront_offset 1
		.amdhsa_system_sgpr_workgroup_id_x 1
		.amdhsa_system_sgpr_workgroup_id_y 0
		.amdhsa_system_sgpr_workgroup_id_z 0
		.amdhsa_system_sgpr_workgroup_info 0
		.amdhsa_system_vgpr_workitem_id 0
		.amdhsa_next_free_vgpr 40
		.amdhsa_next_free_sgpr 34
		.amdhsa_reserve_vcc 1
		.amdhsa_reserve_flat_scratch 0
		.amdhsa_float_round_mode_32 0
		.amdhsa_float_round_mode_16_64 0
		.amdhsa_float_denorm_mode_32 3
		.amdhsa_float_denorm_mode_16_64 3
		.amdhsa_dx10_clamp 1
		.amdhsa_ieee_mode 1
		.amdhsa_fp16_overflow 0
		.amdhsa_workgroup_processor_mode 1
		.amdhsa_memory_ordered 1
		.amdhsa_forward_progress 1
		.amdhsa_shared_vgpr_count 0
		.amdhsa_exception_fp_ieee_invalid_op 0
		.amdhsa_exception_fp_denorm_src 0
		.amdhsa_exception_fp_ieee_div_zero 0
		.amdhsa_exception_fp_ieee_overflow 0
		.amdhsa_exception_fp_ieee_underflow 0
		.amdhsa_exception_fp_ieee_inexact 0
		.amdhsa_exception_int_div_zero 0
	.end_amdhsa_kernel
	.section	.text._ZL15flash_attn_tileILi72ELi72ELi1ELi4ELb1EEvPKcS1_S1_S1_S1_PKiPfP15HIP_vector_typeIfLj2EEffffjfiS5_IjLj3EEiiiiiiiiiiiliiliiiiil,"axG",@progbits,_ZL15flash_attn_tileILi72ELi72ELi1ELi4ELb1EEvPKcS1_S1_S1_S1_PKiPfP15HIP_vector_typeIfLj2EEffffjfiS5_IjLj3EEiiiiiiiiiiiliiliiiiil,comdat
.Lfunc_end82:
	.size	_ZL15flash_attn_tileILi72ELi72ELi1ELi4ELb1EEvPKcS1_S1_S1_S1_PKiPfP15HIP_vector_typeIfLj2EEffffjfiS5_IjLj3EEiiiiiiiiiiiliiliiiiil, .Lfunc_end82-_ZL15flash_attn_tileILi72ELi72ELi1ELi4ELb1EEvPKcS1_S1_S1_S1_PKiPfP15HIP_vector_typeIfLj2EEffffjfiS5_IjLj3EEiiiiiiiiiiiliiliiiiil
                                        ; -- End function
	.set _ZL15flash_attn_tileILi72ELi72ELi1ELi4ELb1EEvPKcS1_S1_S1_S1_PKiPfP15HIP_vector_typeIfLj2EEffffjfiS5_IjLj3EEiiiiiiiiiiiliiliiiiil.num_vgpr, max(0, .L_ZL14no_device_codePKciS0_iS0_.num_vgpr)
	.set _ZL15flash_attn_tileILi72ELi72ELi1ELi4ELb1EEvPKcS1_S1_S1_S1_PKiPfP15HIP_vector_typeIfLj2EEffffjfiS5_IjLj3EEiiiiiiiiiiiliiliiiiil.num_agpr, max(0, .L_ZL14no_device_codePKciS0_iS0_.num_agpr)
	.set _ZL15flash_attn_tileILi72ELi72ELi1ELi4ELb1EEvPKcS1_S1_S1_S1_PKiPfP15HIP_vector_typeIfLj2EEffffjfiS5_IjLj3EEiiiiiiiiiiiliiliiiiil.numbered_sgpr, max(33, .L_ZL14no_device_codePKciS0_iS0_.numbered_sgpr)
	.set _ZL15flash_attn_tileILi72ELi72ELi1ELi4ELb1EEvPKcS1_S1_S1_S1_PKiPfP15HIP_vector_typeIfLj2EEffffjfiS5_IjLj3EEiiiiiiiiiiiliiliiiiil.num_named_barrier, max(0, .L_ZL14no_device_codePKciS0_iS0_.num_named_barrier)
	.set _ZL15flash_attn_tileILi72ELi72ELi1ELi4ELb1EEvPKcS1_S1_S1_S1_PKiPfP15HIP_vector_typeIfLj2EEffffjfiS5_IjLj3EEiiiiiiiiiiiliiliiiiil.private_seg_size, 0+max(.L_ZL14no_device_codePKciS0_iS0_.private_seg_size)
	.set _ZL15flash_attn_tileILi72ELi72ELi1ELi4ELb1EEvPKcS1_S1_S1_S1_PKiPfP15HIP_vector_typeIfLj2EEffffjfiS5_IjLj3EEiiiiiiiiiiiliiliiiiil.uses_vcc, or(1, .L_ZL14no_device_codePKciS0_iS0_.uses_vcc)
	.set _ZL15flash_attn_tileILi72ELi72ELi1ELi4ELb1EEvPKcS1_S1_S1_S1_PKiPfP15HIP_vector_typeIfLj2EEffffjfiS5_IjLj3EEiiiiiiiiiiiliiliiiiil.uses_flat_scratch, or(0, .L_ZL14no_device_codePKciS0_iS0_.uses_flat_scratch)
	.set _ZL15flash_attn_tileILi72ELi72ELi1ELi4ELb1EEvPKcS1_S1_S1_S1_PKiPfP15HIP_vector_typeIfLj2EEffffjfiS5_IjLj3EEiiiiiiiiiiiliiliiiiil.has_dyn_sized_stack, or(0, .L_ZL14no_device_codePKciS0_iS0_.has_dyn_sized_stack)
	.set _ZL15flash_attn_tileILi72ELi72ELi1ELi4ELb1EEvPKcS1_S1_S1_S1_PKiPfP15HIP_vector_typeIfLj2EEffffjfiS5_IjLj3EEiiiiiiiiiiiliiliiiiil.has_recursion, or(0, .L_ZL14no_device_codePKciS0_iS0_.has_recursion)
	.set _ZL15flash_attn_tileILi72ELi72ELi1ELi4ELb1EEvPKcS1_S1_S1_S1_PKiPfP15HIP_vector_typeIfLj2EEffffjfiS5_IjLj3EEiiiiiiiiiiiliiliiiiil.has_indirect_call, or(0, .L_ZL14no_device_codePKciS0_iS0_.has_indirect_call)
	.section	.AMDGPU.csdata,"",@progbits
; Kernel info:
; codeLenInByte = 48
; TotalNumSgprs: 36
; NumVgprs: 40
; ScratchSize: 16
; MemoryBound: 0
; FloatMode: 240
; IeeeMode: 1
; LDSByteSize: 0 bytes/workgroup (compile time only)
; SGPRBlocks: 0
; VGPRBlocks: 4
; NumSGPRsForWavesPerEU: 36
; NumVGPRsForWavesPerEU: 40
; Occupancy: 16
; WaveLimiterHint : 1
; COMPUTE_PGM_RSRC2:SCRATCH_EN: 1
; COMPUTE_PGM_RSRC2:USER_SGPR: 6
; COMPUTE_PGM_RSRC2:TRAP_HANDLER: 0
; COMPUTE_PGM_RSRC2:TGID_X_EN: 1
; COMPUTE_PGM_RSRC2:TGID_Y_EN: 0
; COMPUTE_PGM_RSRC2:TGID_Z_EN: 0
; COMPUTE_PGM_RSRC2:TIDIG_COMP_CNT: 0
	.section	.text._ZL15flash_attn_tileILi72ELi72ELi32ELi2ELb1EEvPKcS1_S1_S1_S1_PKiPfP15HIP_vector_typeIfLj2EEffffjfiS5_IjLj3EEiiiiiiiiiiiliiliiiiil,"axG",@progbits,_ZL15flash_attn_tileILi72ELi72ELi32ELi2ELb1EEvPKcS1_S1_S1_S1_PKiPfP15HIP_vector_typeIfLj2EEffffjfiS5_IjLj3EEiiiiiiiiiiiliiliiiiil,comdat
	.globl	_ZL15flash_attn_tileILi72ELi72ELi32ELi2ELb1EEvPKcS1_S1_S1_S1_PKiPfP15HIP_vector_typeIfLj2EEffffjfiS5_IjLj3EEiiiiiiiiiiiliiliiiiil ; -- Begin function _ZL15flash_attn_tileILi72ELi72ELi32ELi2ELb1EEvPKcS1_S1_S1_S1_PKiPfP15HIP_vector_typeIfLj2EEffffjfiS5_IjLj3EEiiiiiiiiiiiliiliiiiil
	.p2align	8
	.type	_ZL15flash_attn_tileILi72ELi72ELi32ELi2ELb1EEvPKcS1_S1_S1_S1_PKiPfP15HIP_vector_typeIfLj2EEffffjfiS5_IjLj3EEiiiiiiiiiiiliiliiiiil,@function
_ZL15flash_attn_tileILi72ELi72ELi32ELi2ELb1EEvPKcS1_S1_S1_S1_PKiPfP15HIP_vector_typeIfLj2EEffffjfiS5_IjLj3EEiiiiiiiiiiiliiliiiiil: ; @_ZL15flash_attn_tileILi72ELi72ELi32ELi2ELb1EEvPKcS1_S1_S1_S1_PKiPfP15HIP_vector_typeIfLj2EEffffjfiS5_IjLj3EEiiiiiiiiiiiliiliiiiil
; %bb.0:
	s_add_u32 s0, s0, s7
	s_addc_u32 s1, s1, 0
	s_add_u32 s8, s4, 0xd0
	s_addc_u32 s9, s5, 0
	s_getpc_b64 s[4:5]
	s_add_u32 s4, s4, _ZL14no_device_codePKciS0_iS0_@rel32@lo+4
	s_addc_u32 s5, s5, _ZL14no_device_codePKciS0_iS0_@rel32@hi+12
	s_mov_b32 s32, 0
	s_swappc_b64 s[30:31], s[4:5]
	.section	.rodata,"a",@progbits
	.p2align	6, 0x0
	.amdhsa_kernel _ZL15flash_attn_tileILi72ELi72ELi32ELi2ELb1EEvPKcS1_S1_S1_S1_PKiPfP15HIP_vector_typeIfLj2EEffffjfiS5_IjLj3EEiiiiiiiiiiiliiliiiiil
		.amdhsa_group_segment_fixed_size 0
		.amdhsa_private_segment_fixed_size 16
		.amdhsa_kernarg_size 464
		.amdhsa_user_sgpr_count 6
		.amdhsa_user_sgpr_private_segment_buffer 1
		.amdhsa_user_sgpr_dispatch_ptr 0
		.amdhsa_user_sgpr_queue_ptr 0
		.amdhsa_user_sgpr_kernarg_segment_ptr 1
		.amdhsa_user_sgpr_dispatch_id 0
		.amdhsa_user_sgpr_flat_scratch_init 0
		.amdhsa_user_sgpr_private_segment_size 0
		.amdhsa_wavefront_size32 1
		.amdhsa_uses_dynamic_stack 0
		.amdhsa_system_sgpr_private_segment_wavefront_offset 1
		.amdhsa_system_sgpr_workgroup_id_x 1
		.amdhsa_system_sgpr_workgroup_id_y 0
		.amdhsa_system_sgpr_workgroup_id_z 0
		.amdhsa_system_sgpr_workgroup_info 0
		.amdhsa_system_vgpr_workitem_id 0
		.amdhsa_next_free_vgpr 40
		.amdhsa_next_free_sgpr 34
		.amdhsa_reserve_vcc 1
		.amdhsa_reserve_flat_scratch 0
		.amdhsa_float_round_mode_32 0
		.amdhsa_float_round_mode_16_64 0
		.amdhsa_float_denorm_mode_32 3
		.amdhsa_float_denorm_mode_16_64 3
		.amdhsa_dx10_clamp 1
		.amdhsa_ieee_mode 1
		.amdhsa_fp16_overflow 0
		.amdhsa_workgroup_processor_mode 1
		.amdhsa_memory_ordered 1
		.amdhsa_forward_progress 1
		.amdhsa_shared_vgpr_count 0
		.amdhsa_exception_fp_ieee_invalid_op 0
		.amdhsa_exception_fp_denorm_src 0
		.amdhsa_exception_fp_ieee_div_zero 0
		.amdhsa_exception_fp_ieee_overflow 0
		.amdhsa_exception_fp_ieee_underflow 0
		.amdhsa_exception_fp_ieee_inexact 0
		.amdhsa_exception_int_div_zero 0
	.end_amdhsa_kernel
	.section	.text._ZL15flash_attn_tileILi72ELi72ELi32ELi2ELb1EEvPKcS1_S1_S1_S1_PKiPfP15HIP_vector_typeIfLj2EEffffjfiS5_IjLj3EEiiiiiiiiiiiliiliiiiil,"axG",@progbits,_ZL15flash_attn_tileILi72ELi72ELi32ELi2ELb1EEvPKcS1_S1_S1_S1_PKiPfP15HIP_vector_typeIfLj2EEffffjfiS5_IjLj3EEiiiiiiiiiiiliiliiiiil,comdat
.Lfunc_end83:
	.size	_ZL15flash_attn_tileILi72ELi72ELi32ELi2ELb1EEvPKcS1_S1_S1_S1_PKiPfP15HIP_vector_typeIfLj2EEffffjfiS5_IjLj3EEiiiiiiiiiiiliiliiiiil, .Lfunc_end83-_ZL15flash_attn_tileILi72ELi72ELi32ELi2ELb1EEvPKcS1_S1_S1_S1_PKiPfP15HIP_vector_typeIfLj2EEffffjfiS5_IjLj3EEiiiiiiiiiiiliiliiiiil
                                        ; -- End function
	.set _ZL15flash_attn_tileILi72ELi72ELi32ELi2ELb1EEvPKcS1_S1_S1_S1_PKiPfP15HIP_vector_typeIfLj2EEffffjfiS5_IjLj3EEiiiiiiiiiiiliiliiiiil.num_vgpr, max(0, .L_ZL14no_device_codePKciS0_iS0_.num_vgpr)
	.set _ZL15flash_attn_tileILi72ELi72ELi32ELi2ELb1EEvPKcS1_S1_S1_S1_PKiPfP15HIP_vector_typeIfLj2EEffffjfiS5_IjLj3EEiiiiiiiiiiiliiliiiiil.num_agpr, max(0, .L_ZL14no_device_codePKciS0_iS0_.num_agpr)
	.set _ZL15flash_attn_tileILi72ELi72ELi32ELi2ELb1EEvPKcS1_S1_S1_S1_PKiPfP15HIP_vector_typeIfLj2EEffffjfiS5_IjLj3EEiiiiiiiiiiiliiliiiiil.numbered_sgpr, max(33, .L_ZL14no_device_codePKciS0_iS0_.numbered_sgpr)
	.set _ZL15flash_attn_tileILi72ELi72ELi32ELi2ELb1EEvPKcS1_S1_S1_S1_PKiPfP15HIP_vector_typeIfLj2EEffffjfiS5_IjLj3EEiiiiiiiiiiiliiliiiiil.num_named_barrier, max(0, .L_ZL14no_device_codePKciS0_iS0_.num_named_barrier)
	.set _ZL15flash_attn_tileILi72ELi72ELi32ELi2ELb1EEvPKcS1_S1_S1_S1_PKiPfP15HIP_vector_typeIfLj2EEffffjfiS5_IjLj3EEiiiiiiiiiiiliiliiiiil.private_seg_size, 0+max(.L_ZL14no_device_codePKciS0_iS0_.private_seg_size)
	.set _ZL15flash_attn_tileILi72ELi72ELi32ELi2ELb1EEvPKcS1_S1_S1_S1_PKiPfP15HIP_vector_typeIfLj2EEffffjfiS5_IjLj3EEiiiiiiiiiiiliiliiiiil.uses_vcc, or(1, .L_ZL14no_device_codePKciS0_iS0_.uses_vcc)
	.set _ZL15flash_attn_tileILi72ELi72ELi32ELi2ELb1EEvPKcS1_S1_S1_S1_PKiPfP15HIP_vector_typeIfLj2EEffffjfiS5_IjLj3EEiiiiiiiiiiiliiliiiiil.uses_flat_scratch, or(0, .L_ZL14no_device_codePKciS0_iS0_.uses_flat_scratch)
	.set _ZL15flash_attn_tileILi72ELi72ELi32ELi2ELb1EEvPKcS1_S1_S1_S1_PKiPfP15HIP_vector_typeIfLj2EEffffjfiS5_IjLj3EEiiiiiiiiiiiliiliiiiil.has_dyn_sized_stack, or(0, .L_ZL14no_device_codePKciS0_iS0_.has_dyn_sized_stack)
	.set _ZL15flash_attn_tileILi72ELi72ELi32ELi2ELb1EEvPKcS1_S1_S1_S1_PKiPfP15HIP_vector_typeIfLj2EEffffjfiS5_IjLj3EEiiiiiiiiiiiliiliiiiil.has_recursion, or(0, .L_ZL14no_device_codePKciS0_iS0_.has_recursion)
	.set _ZL15flash_attn_tileILi72ELi72ELi32ELi2ELb1EEvPKcS1_S1_S1_S1_PKiPfP15HIP_vector_typeIfLj2EEffffjfiS5_IjLj3EEiiiiiiiiiiiliiliiiiil.has_indirect_call, or(0, .L_ZL14no_device_codePKciS0_iS0_.has_indirect_call)
	.section	.AMDGPU.csdata,"",@progbits
; Kernel info:
; codeLenInByte = 48
; TotalNumSgprs: 36
; NumVgprs: 40
; ScratchSize: 16
; MemoryBound: 0
; FloatMode: 240
; IeeeMode: 1
; LDSByteSize: 0 bytes/workgroup (compile time only)
; SGPRBlocks: 0
; VGPRBlocks: 4
; NumSGPRsForWavesPerEU: 36
; NumVGPRsForWavesPerEU: 40
; Occupancy: 16
; WaveLimiterHint : 1
; COMPUTE_PGM_RSRC2:SCRATCH_EN: 1
; COMPUTE_PGM_RSRC2:USER_SGPR: 6
; COMPUTE_PGM_RSRC2:TRAP_HANDLER: 0
; COMPUTE_PGM_RSRC2:TGID_X_EN: 1
; COMPUTE_PGM_RSRC2:TGID_Y_EN: 0
; COMPUTE_PGM_RSRC2:TGID_Z_EN: 0
; COMPUTE_PGM_RSRC2:TIDIG_COMP_CNT: 0
	.section	.text._ZL15flash_attn_tileILi72ELi72ELi16ELi2ELb1EEvPKcS1_S1_S1_S1_PKiPfP15HIP_vector_typeIfLj2EEffffjfiS5_IjLj3EEiiiiiiiiiiiliiliiiiil,"axG",@progbits,_ZL15flash_attn_tileILi72ELi72ELi16ELi2ELb1EEvPKcS1_S1_S1_S1_PKiPfP15HIP_vector_typeIfLj2EEffffjfiS5_IjLj3EEiiiiiiiiiiiliiliiiiil,comdat
	.globl	_ZL15flash_attn_tileILi72ELi72ELi16ELi2ELb1EEvPKcS1_S1_S1_S1_PKiPfP15HIP_vector_typeIfLj2EEffffjfiS5_IjLj3EEiiiiiiiiiiiliiliiiiil ; -- Begin function _ZL15flash_attn_tileILi72ELi72ELi16ELi2ELb1EEvPKcS1_S1_S1_S1_PKiPfP15HIP_vector_typeIfLj2EEffffjfiS5_IjLj3EEiiiiiiiiiiiliiliiiiil
	.p2align	8
	.type	_ZL15flash_attn_tileILi72ELi72ELi16ELi2ELb1EEvPKcS1_S1_S1_S1_PKiPfP15HIP_vector_typeIfLj2EEffffjfiS5_IjLj3EEiiiiiiiiiiiliiliiiiil,@function
_ZL15flash_attn_tileILi72ELi72ELi16ELi2ELb1EEvPKcS1_S1_S1_S1_PKiPfP15HIP_vector_typeIfLj2EEffffjfiS5_IjLj3EEiiiiiiiiiiiliiliiiiil: ; @_ZL15flash_attn_tileILi72ELi72ELi16ELi2ELb1EEvPKcS1_S1_S1_S1_PKiPfP15HIP_vector_typeIfLj2EEffffjfiS5_IjLj3EEiiiiiiiiiiiliiliiiiil
; %bb.0:
	s_add_u32 s0, s0, s7
	s_addc_u32 s1, s1, 0
	s_add_u32 s8, s4, 0xd0
	s_addc_u32 s9, s5, 0
	s_getpc_b64 s[4:5]
	s_add_u32 s4, s4, _ZL14no_device_codePKciS0_iS0_@rel32@lo+4
	s_addc_u32 s5, s5, _ZL14no_device_codePKciS0_iS0_@rel32@hi+12
	s_mov_b32 s32, 0
	s_swappc_b64 s[30:31], s[4:5]
	.section	.rodata,"a",@progbits
	.p2align	6, 0x0
	.amdhsa_kernel _ZL15flash_attn_tileILi72ELi72ELi16ELi2ELb1EEvPKcS1_S1_S1_S1_PKiPfP15HIP_vector_typeIfLj2EEffffjfiS5_IjLj3EEiiiiiiiiiiiliiliiiiil
		.amdhsa_group_segment_fixed_size 0
		.amdhsa_private_segment_fixed_size 16
		.amdhsa_kernarg_size 464
		.amdhsa_user_sgpr_count 6
		.amdhsa_user_sgpr_private_segment_buffer 1
		.amdhsa_user_sgpr_dispatch_ptr 0
		.amdhsa_user_sgpr_queue_ptr 0
		.amdhsa_user_sgpr_kernarg_segment_ptr 1
		.amdhsa_user_sgpr_dispatch_id 0
		.amdhsa_user_sgpr_flat_scratch_init 0
		.amdhsa_user_sgpr_private_segment_size 0
		.amdhsa_wavefront_size32 1
		.amdhsa_uses_dynamic_stack 0
		.amdhsa_system_sgpr_private_segment_wavefront_offset 1
		.amdhsa_system_sgpr_workgroup_id_x 1
		.amdhsa_system_sgpr_workgroup_id_y 0
		.amdhsa_system_sgpr_workgroup_id_z 0
		.amdhsa_system_sgpr_workgroup_info 0
		.amdhsa_system_vgpr_workitem_id 0
		.amdhsa_next_free_vgpr 40
		.amdhsa_next_free_sgpr 34
		.amdhsa_reserve_vcc 1
		.amdhsa_reserve_flat_scratch 0
		.amdhsa_float_round_mode_32 0
		.amdhsa_float_round_mode_16_64 0
		.amdhsa_float_denorm_mode_32 3
		.amdhsa_float_denorm_mode_16_64 3
		.amdhsa_dx10_clamp 1
		.amdhsa_ieee_mode 1
		.amdhsa_fp16_overflow 0
		.amdhsa_workgroup_processor_mode 1
		.amdhsa_memory_ordered 1
		.amdhsa_forward_progress 1
		.amdhsa_shared_vgpr_count 0
		.amdhsa_exception_fp_ieee_invalid_op 0
		.amdhsa_exception_fp_denorm_src 0
		.amdhsa_exception_fp_ieee_div_zero 0
		.amdhsa_exception_fp_ieee_overflow 0
		.amdhsa_exception_fp_ieee_underflow 0
		.amdhsa_exception_fp_ieee_inexact 0
		.amdhsa_exception_int_div_zero 0
	.end_amdhsa_kernel
	.section	.text._ZL15flash_attn_tileILi72ELi72ELi16ELi2ELb1EEvPKcS1_S1_S1_S1_PKiPfP15HIP_vector_typeIfLj2EEffffjfiS5_IjLj3EEiiiiiiiiiiiliiliiiiil,"axG",@progbits,_ZL15flash_attn_tileILi72ELi72ELi16ELi2ELb1EEvPKcS1_S1_S1_S1_PKiPfP15HIP_vector_typeIfLj2EEffffjfiS5_IjLj3EEiiiiiiiiiiiliiliiiiil,comdat
.Lfunc_end84:
	.size	_ZL15flash_attn_tileILi72ELi72ELi16ELi2ELb1EEvPKcS1_S1_S1_S1_PKiPfP15HIP_vector_typeIfLj2EEffffjfiS5_IjLj3EEiiiiiiiiiiiliiliiiiil, .Lfunc_end84-_ZL15flash_attn_tileILi72ELi72ELi16ELi2ELb1EEvPKcS1_S1_S1_S1_PKiPfP15HIP_vector_typeIfLj2EEffffjfiS5_IjLj3EEiiiiiiiiiiiliiliiiiil
                                        ; -- End function
	.set _ZL15flash_attn_tileILi72ELi72ELi16ELi2ELb1EEvPKcS1_S1_S1_S1_PKiPfP15HIP_vector_typeIfLj2EEffffjfiS5_IjLj3EEiiiiiiiiiiiliiliiiiil.num_vgpr, max(0, .L_ZL14no_device_codePKciS0_iS0_.num_vgpr)
	.set _ZL15flash_attn_tileILi72ELi72ELi16ELi2ELb1EEvPKcS1_S1_S1_S1_PKiPfP15HIP_vector_typeIfLj2EEffffjfiS5_IjLj3EEiiiiiiiiiiiliiliiiiil.num_agpr, max(0, .L_ZL14no_device_codePKciS0_iS0_.num_agpr)
	.set _ZL15flash_attn_tileILi72ELi72ELi16ELi2ELb1EEvPKcS1_S1_S1_S1_PKiPfP15HIP_vector_typeIfLj2EEffffjfiS5_IjLj3EEiiiiiiiiiiiliiliiiiil.numbered_sgpr, max(33, .L_ZL14no_device_codePKciS0_iS0_.numbered_sgpr)
	.set _ZL15flash_attn_tileILi72ELi72ELi16ELi2ELb1EEvPKcS1_S1_S1_S1_PKiPfP15HIP_vector_typeIfLj2EEffffjfiS5_IjLj3EEiiiiiiiiiiiliiliiiiil.num_named_barrier, max(0, .L_ZL14no_device_codePKciS0_iS0_.num_named_barrier)
	.set _ZL15flash_attn_tileILi72ELi72ELi16ELi2ELb1EEvPKcS1_S1_S1_S1_PKiPfP15HIP_vector_typeIfLj2EEffffjfiS5_IjLj3EEiiiiiiiiiiiliiliiiiil.private_seg_size, 0+max(.L_ZL14no_device_codePKciS0_iS0_.private_seg_size)
	.set _ZL15flash_attn_tileILi72ELi72ELi16ELi2ELb1EEvPKcS1_S1_S1_S1_PKiPfP15HIP_vector_typeIfLj2EEffffjfiS5_IjLj3EEiiiiiiiiiiiliiliiiiil.uses_vcc, or(1, .L_ZL14no_device_codePKciS0_iS0_.uses_vcc)
	.set _ZL15flash_attn_tileILi72ELi72ELi16ELi2ELb1EEvPKcS1_S1_S1_S1_PKiPfP15HIP_vector_typeIfLj2EEffffjfiS5_IjLj3EEiiiiiiiiiiiliiliiiiil.uses_flat_scratch, or(0, .L_ZL14no_device_codePKciS0_iS0_.uses_flat_scratch)
	.set _ZL15flash_attn_tileILi72ELi72ELi16ELi2ELb1EEvPKcS1_S1_S1_S1_PKiPfP15HIP_vector_typeIfLj2EEffffjfiS5_IjLj3EEiiiiiiiiiiiliiliiiiil.has_dyn_sized_stack, or(0, .L_ZL14no_device_codePKciS0_iS0_.has_dyn_sized_stack)
	.set _ZL15flash_attn_tileILi72ELi72ELi16ELi2ELb1EEvPKcS1_S1_S1_S1_PKiPfP15HIP_vector_typeIfLj2EEffffjfiS5_IjLj3EEiiiiiiiiiiiliiliiiiil.has_recursion, or(0, .L_ZL14no_device_codePKciS0_iS0_.has_recursion)
	.set _ZL15flash_attn_tileILi72ELi72ELi16ELi2ELb1EEvPKcS1_S1_S1_S1_PKiPfP15HIP_vector_typeIfLj2EEffffjfiS5_IjLj3EEiiiiiiiiiiiliiliiiiil.has_indirect_call, or(0, .L_ZL14no_device_codePKciS0_iS0_.has_indirect_call)
	.section	.AMDGPU.csdata,"",@progbits
; Kernel info:
; codeLenInByte = 48
; TotalNumSgprs: 36
; NumVgprs: 40
; ScratchSize: 16
; MemoryBound: 0
; FloatMode: 240
; IeeeMode: 1
; LDSByteSize: 0 bytes/workgroup (compile time only)
; SGPRBlocks: 0
; VGPRBlocks: 4
; NumSGPRsForWavesPerEU: 36
; NumVGPRsForWavesPerEU: 40
; Occupancy: 16
; WaveLimiterHint : 1
; COMPUTE_PGM_RSRC2:SCRATCH_EN: 1
; COMPUTE_PGM_RSRC2:USER_SGPR: 6
; COMPUTE_PGM_RSRC2:TRAP_HANDLER: 0
; COMPUTE_PGM_RSRC2:TGID_X_EN: 1
; COMPUTE_PGM_RSRC2:TGID_Y_EN: 0
; COMPUTE_PGM_RSRC2:TGID_Z_EN: 0
; COMPUTE_PGM_RSRC2:TIDIG_COMP_CNT: 0
	.section	.text._ZL15flash_attn_tileILi72ELi72ELi8ELi2ELb1EEvPKcS1_S1_S1_S1_PKiPfP15HIP_vector_typeIfLj2EEffffjfiS5_IjLj3EEiiiiiiiiiiiliiliiiiil,"axG",@progbits,_ZL15flash_attn_tileILi72ELi72ELi8ELi2ELb1EEvPKcS1_S1_S1_S1_PKiPfP15HIP_vector_typeIfLj2EEffffjfiS5_IjLj3EEiiiiiiiiiiiliiliiiiil,comdat
	.globl	_ZL15flash_attn_tileILi72ELi72ELi8ELi2ELb1EEvPKcS1_S1_S1_S1_PKiPfP15HIP_vector_typeIfLj2EEffffjfiS5_IjLj3EEiiiiiiiiiiiliiliiiiil ; -- Begin function _ZL15flash_attn_tileILi72ELi72ELi8ELi2ELb1EEvPKcS1_S1_S1_S1_PKiPfP15HIP_vector_typeIfLj2EEffffjfiS5_IjLj3EEiiiiiiiiiiiliiliiiiil
	.p2align	8
	.type	_ZL15flash_attn_tileILi72ELi72ELi8ELi2ELb1EEvPKcS1_S1_S1_S1_PKiPfP15HIP_vector_typeIfLj2EEffffjfiS5_IjLj3EEiiiiiiiiiiiliiliiiiil,@function
_ZL15flash_attn_tileILi72ELi72ELi8ELi2ELb1EEvPKcS1_S1_S1_S1_PKiPfP15HIP_vector_typeIfLj2EEffffjfiS5_IjLj3EEiiiiiiiiiiiliiliiiiil: ; @_ZL15flash_attn_tileILi72ELi72ELi8ELi2ELb1EEvPKcS1_S1_S1_S1_PKiPfP15HIP_vector_typeIfLj2EEffffjfiS5_IjLj3EEiiiiiiiiiiiliiliiiiil
; %bb.0:
	s_add_u32 s0, s0, s7
	s_addc_u32 s1, s1, 0
	s_add_u32 s8, s4, 0xd0
	s_addc_u32 s9, s5, 0
	s_getpc_b64 s[4:5]
	s_add_u32 s4, s4, _ZL14no_device_codePKciS0_iS0_@rel32@lo+4
	s_addc_u32 s5, s5, _ZL14no_device_codePKciS0_iS0_@rel32@hi+12
	s_mov_b32 s32, 0
	s_swappc_b64 s[30:31], s[4:5]
	.section	.rodata,"a",@progbits
	.p2align	6, 0x0
	.amdhsa_kernel _ZL15flash_attn_tileILi72ELi72ELi8ELi2ELb1EEvPKcS1_S1_S1_S1_PKiPfP15HIP_vector_typeIfLj2EEffffjfiS5_IjLj3EEiiiiiiiiiiiliiliiiiil
		.amdhsa_group_segment_fixed_size 0
		.amdhsa_private_segment_fixed_size 16
		.amdhsa_kernarg_size 464
		.amdhsa_user_sgpr_count 6
		.amdhsa_user_sgpr_private_segment_buffer 1
		.amdhsa_user_sgpr_dispatch_ptr 0
		.amdhsa_user_sgpr_queue_ptr 0
		.amdhsa_user_sgpr_kernarg_segment_ptr 1
		.amdhsa_user_sgpr_dispatch_id 0
		.amdhsa_user_sgpr_flat_scratch_init 0
		.amdhsa_user_sgpr_private_segment_size 0
		.amdhsa_wavefront_size32 1
		.amdhsa_uses_dynamic_stack 0
		.amdhsa_system_sgpr_private_segment_wavefront_offset 1
		.amdhsa_system_sgpr_workgroup_id_x 1
		.amdhsa_system_sgpr_workgroup_id_y 0
		.amdhsa_system_sgpr_workgroup_id_z 0
		.amdhsa_system_sgpr_workgroup_info 0
		.amdhsa_system_vgpr_workitem_id 0
		.amdhsa_next_free_vgpr 40
		.amdhsa_next_free_sgpr 34
		.amdhsa_reserve_vcc 1
		.amdhsa_reserve_flat_scratch 0
		.amdhsa_float_round_mode_32 0
		.amdhsa_float_round_mode_16_64 0
		.amdhsa_float_denorm_mode_32 3
		.amdhsa_float_denorm_mode_16_64 3
		.amdhsa_dx10_clamp 1
		.amdhsa_ieee_mode 1
		.amdhsa_fp16_overflow 0
		.amdhsa_workgroup_processor_mode 1
		.amdhsa_memory_ordered 1
		.amdhsa_forward_progress 1
		.amdhsa_shared_vgpr_count 0
		.amdhsa_exception_fp_ieee_invalid_op 0
		.amdhsa_exception_fp_denorm_src 0
		.amdhsa_exception_fp_ieee_div_zero 0
		.amdhsa_exception_fp_ieee_overflow 0
		.amdhsa_exception_fp_ieee_underflow 0
		.amdhsa_exception_fp_ieee_inexact 0
		.amdhsa_exception_int_div_zero 0
	.end_amdhsa_kernel
	.section	.text._ZL15flash_attn_tileILi72ELi72ELi8ELi2ELb1EEvPKcS1_S1_S1_S1_PKiPfP15HIP_vector_typeIfLj2EEffffjfiS5_IjLj3EEiiiiiiiiiiiliiliiiiil,"axG",@progbits,_ZL15flash_attn_tileILi72ELi72ELi8ELi2ELb1EEvPKcS1_S1_S1_S1_PKiPfP15HIP_vector_typeIfLj2EEffffjfiS5_IjLj3EEiiiiiiiiiiiliiliiiiil,comdat
.Lfunc_end85:
	.size	_ZL15flash_attn_tileILi72ELi72ELi8ELi2ELb1EEvPKcS1_S1_S1_S1_PKiPfP15HIP_vector_typeIfLj2EEffffjfiS5_IjLj3EEiiiiiiiiiiiliiliiiiil, .Lfunc_end85-_ZL15flash_attn_tileILi72ELi72ELi8ELi2ELb1EEvPKcS1_S1_S1_S1_PKiPfP15HIP_vector_typeIfLj2EEffffjfiS5_IjLj3EEiiiiiiiiiiiliiliiiiil
                                        ; -- End function
	.set _ZL15flash_attn_tileILi72ELi72ELi8ELi2ELb1EEvPKcS1_S1_S1_S1_PKiPfP15HIP_vector_typeIfLj2EEffffjfiS5_IjLj3EEiiiiiiiiiiiliiliiiiil.num_vgpr, max(0, .L_ZL14no_device_codePKciS0_iS0_.num_vgpr)
	.set _ZL15flash_attn_tileILi72ELi72ELi8ELi2ELb1EEvPKcS1_S1_S1_S1_PKiPfP15HIP_vector_typeIfLj2EEffffjfiS5_IjLj3EEiiiiiiiiiiiliiliiiiil.num_agpr, max(0, .L_ZL14no_device_codePKciS0_iS0_.num_agpr)
	.set _ZL15flash_attn_tileILi72ELi72ELi8ELi2ELb1EEvPKcS1_S1_S1_S1_PKiPfP15HIP_vector_typeIfLj2EEffffjfiS5_IjLj3EEiiiiiiiiiiiliiliiiiil.numbered_sgpr, max(33, .L_ZL14no_device_codePKciS0_iS0_.numbered_sgpr)
	.set _ZL15flash_attn_tileILi72ELi72ELi8ELi2ELb1EEvPKcS1_S1_S1_S1_PKiPfP15HIP_vector_typeIfLj2EEffffjfiS5_IjLj3EEiiiiiiiiiiiliiliiiiil.num_named_barrier, max(0, .L_ZL14no_device_codePKciS0_iS0_.num_named_barrier)
	.set _ZL15flash_attn_tileILi72ELi72ELi8ELi2ELb1EEvPKcS1_S1_S1_S1_PKiPfP15HIP_vector_typeIfLj2EEffffjfiS5_IjLj3EEiiiiiiiiiiiliiliiiiil.private_seg_size, 0+max(.L_ZL14no_device_codePKciS0_iS0_.private_seg_size)
	.set _ZL15flash_attn_tileILi72ELi72ELi8ELi2ELb1EEvPKcS1_S1_S1_S1_PKiPfP15HIP_vector_typeIfLj2EEffffjfiS5_IjLj3EEiiiiiiiiiiiliiliiiiil.uses_vcc, or(1, .L_ZL14no_device_codePKciS0_iS0_.uses_vcc)
	.set _ZL15flash_attn_tileILi72ELi72ELi8ELi2ELb1EEvPKcS1_S1_S1_S1_PKiPfP15HIP_vector_typeIfLj2EEffffjfiS5_IjLj3EEiiiiiiiiiiiliiliiiiil.uses_flat_scratch, or(0, .L_ZL14no_device_codePKciS0_iS0_.uses_flat_scratch)
	.set _ZL15flash_attn_tileILi72ELi72ELi8ELi2ELb1EEvPKcS1_S1_S1_S1_PKiPfP15HIP_vector_typeIfLj2EEffffjfiS5_IjLj3EEiiiiiiiiiiiliiliiiiil.has_dyn_sized_stack, or(0, .L_ZL14no_device_codePKciS0_iS0_.has_dyn_sized_stack)
	.set _ZL15flash_attn_tileILi72ELi72ELi8ELi2ELb1EEvPKcS1_S1_S1_S1_PKiPfP15HIP_vector_typeIfLj2EEffffjfiS5_IjLj3EEiiiiiiiiiiiliiliiiiil.has_recursion, or(0, .L_ZL14no_device_codePKciS0_iS0_.has_recursion)
	.set _ZL15flash_attn_tileILi72ELi72ELi8ELi2ELb1EEvPKcS1_S1_S1_S1_PKiPfP15HIP_vector_typeIfLj2EEffffjfiS5_IjLj3EEiiiiiiiiiiiliiliiiiil.has_indirect_call, or(0, .L_ZL14no_device_codePKciS0_iS0_.has_indirect_call)
	.section	.AMDGPU.csdata,"",@progbits
; Kernel info:
; codeLenInByte = 48
; TotalNumSgprs: 36
; NumVgprs: 40
; ScratchSize: 16
; MemoryBound: 0
; FloatMode: 240
; IeeeMode: 1
; LDSByteSize: 0 bytes/workgroup (compile time only)
; SGPRBlocks: 0
; VGPRBlocks: 4
; NumSGPRsForWavesPerEU: 36
; NumVGPRsForWavesPerEU: 40
; Occupancy: 16
; WaveLimiterHint : 1
; COMPUTE_PGM_RSRC2:SCRATCH_EN: 1
; COMPUTE_PGM_RSRC2:USER_SGPR: 6
; COMPUTE_PGM_RSRC2:TRAP_HANDLER: 0
; COMPUTE_PGM_RSRC2:TGID_X_EN: 1
; COMPUTE_PGM_RSRC2:TGID_Y_EN: 0
; COMPUTE_PGM_RSRC2:TGID_Z_EN: 0
; COMPUTE_PGM_RSRC2:TIDIG_COMP_CNT: 0
	.section	.text._ZL15flash_attn_tileILi72ELi72ELi4ELi2ELb1EEvPKcS1_S1_S1_S1_PKiPfP15HIP_vector_typeIfLj2EEffffjfiS5_IjLj3EEiiiiiiiiiiiliiliiiiil,"axG",@progbits,_ZL15flash_attn_tileILi72ELi72ELi4ELi2ELb1EEvPKcS1_S1_S1_S1_PKiPfP15HIP_vector_typeIfLj2EEffffjfiS5_IjLj3EEiiiiiiiiiiiliiliiiiil,comdat
	.globl	_ZL15flash_attn_tileILi72ELi72ELi4ELi2ELb1EEvPKcS1_S1_S1_S1_PKiPfP15HIP_vector_typeIfLj2EEffffjfiS5_IjLj3EEiiiiiiiiiiiliiliiiiil ; -- Begin function _ZL15flash_attn_tileILi72ELi72ELi4ELi2ELb1EEvPKcS1_S1_S1_S1_PKiPfP15HIP_vector_typeIfLj2EEffffjfiS5_IjLj3EEiiiiiiiiiiiliiliiiiil
	.p2align	8
	.type	_ZL15flash_attn_tileILi72ELi72ELi4ELi2ELb1EEvPKcS1_S1_S1_S1_PKiPfP15HIP_vector_typeIfLj2EEffffjfiS5_IjLj3EEiiiiiiiiiiiliiliiiiil,@function
_ZL15flash_attn_tileILi72ELi72ELi4ELi2ELb1EEvPKcS1_S1_S1_S1_PKiPfP15HIP_vector_typeIfLj2EEffffjfiS5_IjLj3EEiiiiiiiiiiiliiliiiiil: ; @_ZL15flash_attn_tileILi72ELi72ELi4ELi2ELb1EEvPKcS1_S1_S1_S1_PKiPfP15HIP_vector_typeIfLj2EEffffjfiS5_IjLj3EEiiiiiiiiiiiliiliiiiil
; %bb.0:
	s_add_u32 s0, s0, s7
	s_addc_u32 s1, s1, 0
	s_add_u32 s8, s4, 0xd0
	s_addc_u32 s9, s5, 0
	s_getpc_b64 s[4:5]
	s_add_u32 s4, s4, _ZL14no_device_codePKciS0_iS0_@rel32@lo+4
	s_addc_u32 s5, s5, _ZL14no_device_codePKciS0_iS0_@rel32@hi+12
	s_mov_b32 s32, 0
	s_swappc_b64 s[30:31], s[4:5]
	.section	.rodata,"a",@progbits
	.p2align	6, 0x0
	.amdhsa_kernel _ZL15flash_attn_tileILi72ELi72ELi4ELi2ELb1EEvPKcS1_S1_S1_S1_PKiPfP15HIP_vector_typeIfLj2EEffffjfiS5_IjLj3EEiiiiiiiiiiiliiliiiiil
		.amdhsa_group_segment_fixed_size 0
		.amdhsa_private_segment_fixed_size 16
		.amdhsa_kernarg_size 464
		.amdhsa_user_sgpr_count 6
		.amdhsa_user_sgpr_private_segment_buffer 1
		.amdhsa_user_sgpr_dispatch_ptr 0
		.amdhsa_user_sgpr_queue_ptr 0
		.amdhsa_user_sgpr_kernarg_segment_ptr 1
		.amdhsa_user_sgpr_dispatch_id 0
		.amdhsa_user_sgpr_flat_scratch_init 0
		.amdhsa_user_sgpr_private_segment_size 0
		.amdhsa_wavefront_size32 1
		.amdhsa_uses_dynamic_stack 0
		.amdhsa_system_sgpr_private_segment_wavefront_offset 1
		.amdhsa_system_sgpr_workgroup_id_x 1
		.amdhsa_system_sgpr_workgroup_id_y 0
		.amdhsa_system_sgpr_workgroup_id_z 0
		.amdhsa_system_sgpr_workgroup_info 0
		.amdhsa_system_vgpr_workitem_id 0
		.amdhsa_next_free_vgpr 40
		.amdhsa_next_free_sgpr 34
		.amdhsa_reserve_vcc 1
		.amdhsa_reserve_flat_scratch 0
		.amdhsa_float_round_mode_32 0
		.amdhsa_float_round_mode_16_64 0
		.amdhsa_float_denorm_mode_32 3
		.amdhsa_float_denorm_mode_16_64 3
		.amdhsa_dx10_clamp 1
		.amdhsa_ieee_mode 1
		.amdhsa_fp16_overflow 0
		.amdhsa_workgroup_processor_mode 1
		.amdhsa_memory_ordered 1
		.amdhsa_forward_progress 1
		.amdhsa_shared_vgpr_count 0
		.amdhsa_exception_fp_ieee_invalid_op 0
		.amdhsa_exception_fp_denorm_src 0
		.amdhsa_exception_fp_ieee_div_zero 0
		.amdhsa_exception_fp_ieee_overflow 0
		.amdhsa_exception_fp_ieee_underflow 0
		.amdhsa_exception_fp_ieee_inexact 0
		.amdhsa_exception_int_div_zero 0
	.end_amdhsa_kernel
	.section	.text._ZL15flash_attn_tileILi72ELi72ELi4ELi2ELb1EEvPKcS1_S1_S1_S1_PKiPfP15HIP_vector_typeIfLj2EEffffjfiS5_IjLj3EEiiiiiiiiiiiliiliiiiil,"axG",@progbits,_ZL15flash_attn_tileILi72ELi72ELi4ELi2ELb1EEvPKcS1_S1_S1_S1_PKiPfP15HIP_vector_typeIfLj2EEffffjfiS5_IjLj3EEiiiiiiiiiiiliiliiiiil,comdat
.Lfunc_end86:
	.size	_ZL15flash_attn_tileILi72ELi72ELi4ELi2ELb1EEvPKcS1_S1_S1_S1_PKiPfP15HIP_vector_typeIfLj2EEffffjfiS5_IjLj3EEiiiiiiiiiiiliiliiiiil, .Lfunc_end86-_ZL15flash_attn_tileILi72ELi72ELi4ELi2ELb1EEvPKcS1_S1_S1_S1_PKiPfP15HIP_vector_typeIfLj2EEffffjfiS5_IjLj3EEiiiiiiiiiiiliiliiiiil
                                        ; -- End function
	.set _ZL15flash_attn_tileILi72ELi72ELi4ELi2ELb1EEvPKcS1_S1_S1_S1_PKiPfP15HIP_vector_typeIfLj2EEffffjfiS5_IjLj3EEiiiiiiiiiiiliiliiiiil.num_vgpr, max(0, .L_ZL14no_device_codePKciS0_iS0_.num_vgpr)
	.set _ZL15flash_attn_tileILi72ELi72ELi4ELi2ELb1EEvPKcS1_S1_S1_S1_PKiPfP15HIP_vector_typeIfLj2EEffffjfiS5_IjLj3EEiiiiiiiiiiiliiliiiiil.num_agpr, max(0, .L_ZL14no_device_codePKciS0_iS0_.num_agpr)
	.set _ZL15flash_attn_tileILi72ELi72ELi4ELi2ELb1EEvPKcS1_S1_S1_S1_PKiPfP15HIP_vector_typeIfLj2EEffffjfiS5_IjLj3EEiiiiiiiiiiiliiliiiiil.numbered_sgpr, max(33, .L_ZL14no_device_codePKciS0_iS0_.numbered_sgpr)
	.set _ZL15flash_attn_tileILi72ELi72ELi4ELi2ELb1EEvPKcS1_S1_S1_S1_PKiPfP15HIP_vector_typeIfLj2EEffffjfiS5_IjLj3EEiiiiiiiiiiiliiliiiiil.num_named_barrier, max(0, .L_ZL14no_device_codePKciS0_iS0_.num_named_barrier)
	.set _ZL15flash_attn_tileILi72ELi72ELi4ELi2ELb1EEvPKcS1_S1_S1_S1_PKiPfP15HIP_vector_typeIfLj2EEffffjfiS5_IjLj3EEiiiiiiiiiiiliiliiiiil.private_seg_size, 0+max(.L_ZL14no_device_codePKciS0_iS0_.private_seg_size)
	.set _ZL15flash_attn_tileILi72ELi72ELi4ELi2ELb1EEvPKcS1_S1_S1_S1_PKiPfP15HIP_vector_typeIfLj2EEffffjfiS5_IjLj3EEiiiiiiiiiiiliiliiiiil.uses_vcc, or(1, .L_ZL14no_device_codePKciS0_iS0_.uses_vcc)
	.set _ZL15flash_attn_tileILi72ELi72ELi4ELi2ELb1EEvPKcS1_S1_S1_S1_PKiPfP15HIP_vector_typeIfLj2EEffffjfiS5_IjLj3EEiiiiiiiiiiiliiliiiiil.uses_flat_scratch, or(0, .L_ZL14no_device_codePKciS0_iS0_.uses_flat_scratch)
	.set _ZL15flash_attn_tileILi72ELi72ELi4ELi2ELb1EEvPKcS1_S1_S1_S1_PKiPfP15HIP_vector_typeIfLj2EEffffjfiS5_IjLj3EEiiiiiiiiiiiliiliiiiil.has_dyn_sized_stack, or(0, .L_ZL14no_device_codePKciS0_iS0_.has_dyn_sized_stack)
	.set _ZL15flash_attn_tileILi72ELi72ELi4ELi2ELb1EEvPKcS1_S1_S1_S1_PKiPfP15HIP_vector_typeIfLj2EEffffjfiS5_IjLj3EEiiiiiiiiiiiliiliiiiil.has_recursion, or(0, .L_ZL14no_device_codePKciS0_iS0_.has_recursion)
	.set _ZL15flash_attn_tileILi72ELi72ELi4ELi2ELb1EEvPKcS1_S1_S1_S1_PKiPfP15HIP_vector_typeIfLj2EEffffjfiS5_IjLj3EEiiiiiiiiiiiliiliiiiil.has_indirect_call, or(0, .L_ZL14no_device_codePKciS0_iS0_.has_indirect_call)
	.section	.AMDGPU.csdata,"",@progbits
; Kernel info:
; codeLenInByte = 48
; TotalNumSgprs: 36
; NumVgprs: 40
; ScratchSize: 16
; MemoryBound: 0
; FloatMode: 240
; IeeeMode: 1
; LDSByteSize: 0 bytes/workgroup (compile time only)
; SGPRBlocks: 0
; VGPRBlocks: 4
; NumSGPRsForWavesPerEU: 36
; NumVGPRsForWavesPerEU: 40
; Occupancy: 16
; WaveLimiterHint : 1
; COMPUTE_PGM_RSRC2:SCRATCH_EN: 1
; COMPUTE_PGM_RSRC2:USER_SGPR: 6
; COMPUTE_PGM_RSRC2:TRAP_HANDLER: 0
; COMPUTE_PGM_RSRC2:TGID_X_EN: 1
; COMPUTE_PGM_RSRC2:TGID_Y_EN: 0
; COMPUTE_PGM_RSRC2:TGID_Z_EN: 0
; COMPUTE_PGM_RSRC2:TIDIG_COMP_CNT: 0
	.section	.text._ZL15flash_attn_tileILi72ELi72ELi2ELi2ELb1EEvPKcS1_S1_S1_S1_PKiPfP15HIP_vector_typeIfLj2EEffffjfiS5_IjLj3EEiiiiiiiiiiiliiliiiiil,"axG",@progbits,_ZL15flash_attn_tileILi72ELi72ELi2ELi2ELb1EEvPKcS1_S1_S1_S1_PKiPfP15HIP_vector_typeIfLj2EEffffjfiS5_IjLj3EEiiiiiiiiiiiliiliiiiil,comdat
	.globl	_ZL15flash_attn_tileILi72ELi72ELi2ELi2ELb1EEvPKcS1_S1_S1_S1_PKiPfP15HIP_vector_typeIfLj2EEffffjfiS5_IjLj3EEiiiiiiiiiiiliiliiiiil ; -- Begin function _ZL15flash_attn_tileILi72ELi72ELi2ELi2ELb1EEvPKcS1_S1_S1_S1_PKiPfP15HIP_vector_typeIfLj2EEffffjfiS5_IjLj3EEiiiiiiiiiiiliiliiiiil
	.p2align	8
	.type	_ZL15flash_attn_tileILi72ELi72ELi2ELi2ELb1EEvPKcS1_S1_S1_S1_PKiPfP15HIP_vector_typeIfLj2EEffffjfiS5_IjLj3EEiiiiiiiiiiiliiliiiiil,@function
_ZL15flash_attn_tileILi72ELi72ELi2ELi2ELb1EEvPKcS1_S1_S1_S1_PKiPfP15HIP_vector_typeIfLj2EEffffjfiS5_IjLj3EEiiiiiiiiiiiliiliiiiil: ; @_ZL15flash_attn_tileILi72ELi72ELi2ELi2ELb1EEvPKcS1_S1_S1_S1_PKiPfP15HIP_vector_typeIfLj2EEffffjfiS5_IjLj3EEiiiiiiiiiiiliiliiiiil
; %bb.0:
	s_add_u32 s0, s0, s7
	s_addc_u32 s1, s1, 0
	s_add_u32 s8, s4, 0xd0
	s_addc_u32 s9, s5, 0
	s_getpc_b64 s[4:5]
	s_add_u32 s4, s4, _ZL14no_device_codePKciS0_iS0_@rel32@lo+4
	s_addc_u32 s5, s5, _ZL14no_device_codePKciS0_iS0_@rel32@hi+12
	s_mov_b32 s32, 0
	s_swappc_b64 s[30:31], s[4:5]
	.section	.rodata,"a",@progbits
	.p2align	6, 0x0
	.amdhsa_kernel _ZL15flash_attn_tileILi72ELi72ELi2ELi2ELb1EEvPKcS1_S1_S1_S1_PKiPfP15HIP_vector_typeIfLj2EEffffjfiS5_IjLj3EEiiiiiiiiiiiliiliiiiil
		.amdhsa_group_segment_fixed_size 0
		.amdhsa_private_segment_fixed_size 16
		.amdhsa_kernarg_size 464
		.amdhsa_user_sgpr_count 6
		.amdhsa_user_sgpr_private_segment_buffer 1
		.amdhsa_user_sgpr_dispatch_ptr 0
		.amdhsa_user_sgpr_queue_ptr 0
		.amdhsa_user_sgpr_kernarg_segment_ptr 1
		.amdhsa_user_sgpr_dispatch_id 0
		.amdhsa_user_sgpr_flat_scratch_init 0
		.amdhsa_user_sgpr_private_segment_size 0
		.amdhsa_wavefront_size32 1
		.amdhsa_uses_dynamic_stack 0
		.amdhsa_system_sgpr_private_segment_wavefront_offset 1
		.amdhsa_system_sgpr_workgroup_id_x 1
		.amdhsa_system_sgpr_workgroup_id_y 0
		.amdhsa_system_sgpr_workgroup_id_z 0
		.amdhsa_system_sgpr_workgroup_info 0
		.amdhsa_system_vgpr_workitem_id 0
		.amdhsa_next_free_vgpr 40
		.amdhsa_next_free_sgpr 34
		.amdhsa_reserve_vcc 1
		.amdhsa_reserve_flat_scratch 0
		.amdhsa_float_round_mode_32 0
		.amdhsa_float_round_mode_16_64 0
		.amdhsa_float_denorm_mode_32 3
		.amdhsa_float_denorm_mode_16_64 3
		.amdhsa_dx10_clamp 1
		.amdhsa_ieee_mode 1
		.amdhsa_fp16_overflow 0
		.amdhsa_workgroup_processor_mode 1
		.amdhsa_memory_ordered 1
		.amdhsa_forward_progress 1
		.amdhsa_shared_vgpr_count 0
		.amdhsa_exception_fp_ieee_invalid_op 0
		.amdhsa_exception_fp_denorm_src 0
		.amdhsa_exception_fp_ieee_div_zero 0
		.amdhsa_exception_fp_ieee_overflow 0
		.amdhsa_exception_fp_ieee_underflow 0
		.amdhsa_exception_fp_ieee_inexact 0
		.amdhsa_exception_int_div_zero 0
	.end_amdhsa_kernel
	.section	.text._ZL15flash_attn_tileILi72ELi72ELi2ELi2ELb1EEvPKcS1_S1_S1_S1_PKiPfP15HIP_vector_typeIfLj2EEffffjfiS5_IjLj3EEiiiiiiiiiiiliiliiiiil,"axG",@progbits,_ZL15flash_attn_tileILi72ELi72ELi2ELi2ELb1EEvPKcS1_S1_S1_S1_PKiPfP15HIP_vector_typeIfLj2EEffffjfiS5_IjLj3EEiiiiiiiiiiiliiliiiiil,comdat
.Lfunc_end87:
	.size	_ZL15flash_attn_tileILi72ELi72ELi2ELi2ELb1EEvPKcS1_S1_S1_S1_PKiPfP15HIP_vector_typeIfLj2EEffffjfiS5_IjLj3EEiiiiiiiiiiiliiliiiiil, .Lfunc_end87-_ZL15flash_attn_tileILi72ELi72ELi2ELi2ELb1EEvPKcS1_S1_S1_S1_PKiPfP15HIP_vector_typeIfLj2EEffffjfiS5_IjLj3EEiiiiiiiiiiiliiliiiiil
                                        ; -- End function
	.set _ZL15flash_attn_tileILi72ELi72ELi2ELi2ELb1EEvPKcS1_S1_S1_S1_PKiPfP15HIP_vector_typeIfLj2EEffffjfiS5_IjLj3EEiiiiiiiiiiiliiliiiiil.num_vgpr, max(0, .L_ZL14no_device_codePKciS0_iS0_.num_vgpr)
	.set _ZL15flash_attn_tileILi72ELi72ELi2ELi2ELb1EEvPKcS1_S1_S1_S1_PKiPfP15HIP_vector_typeIfLj2EEffffjfiS5_IjLj3EEiiiiiiiiiiiliiliiiiil.num_agpr, max(0, .L_ZL14no_device_codePKciS0_iS0_.num_agpr)
	.set _ZL15flash_attn_tileILi72ELi72ELi2ELi2ELb1EEvPKcS1_S1_S1_S1_PKiPfP15HIP_vector_typeIfLj2EEffffjfiS5_IjLj3EEiiiiiiiiiiiliiliiiiil.numbered_sgpr, max(33, .L_ZL14no_device_codePKciS0_iS0_.numbered_sgpr)
	.set _ZL15flash_attn_tileILi72ELi72ELi2ELi2ELb1EEvPKcS1_S1_S1_S1_PKiPfP15HIP_vector_typeIfLj2EEffffjfiS5_IjLj3EEiiiiiiiiiiiliiliiiiil.num_named_barrier, max(0, .L_ZL14no_device_codePKciS0_iS0_.num_named_barrier)
	.set _ZL15flash_attn_tileILi72ELi72ELi2ELi2ELb1EEvPKcS1_S1_S1_S1_PKiPfP15HIP_vector_typeIfLj2EEffffjfiS5_IjLj3EEiiiiiiiiiiiliiliiiiil.private_seg_size, 0+max(.L_ZL14no_device_codePKciS0_iS0_.private_seg_size)
	.set _ZL15flash_attn_tileILi72ELi72ELi2ELi2ELb1EEvPKcS1_S1_S1_S1_PKiPfP15HIP_vector_typeIfLj2EEffffjfiS5_IjLj3EEiiiiiiiiiiiliiliiiiil.uses_vcc, or(1, .L_ZL14no_device_codePKciS0_iS0_.uses_vcc)
	.set _ZL15flash_attn_tileILi72ELi72ELi2ELi2ELb1EEvPKcS1_S1_S1_S1_PKiPfP15HIP_vector_typeIfLj2EEffffjfiS5_IjLj3EEiiiiiiiiiiiliiliiiiil.uses_flat_scratch, or(0, .L_ZL14no_device_codePKciS0_iS0_.uses_flat_scratch)
	.set _ZL15flash_attn_tileILi72ELi72ELi2ELi2ELb1EEvPKcS1_S1_S1_S1_PKiPfP15HIP_vector_typeIfLj2EEffffjfiS5_IjLj3EEiiiiiiiiiiiliiliiiiil.has_dyn_sized_stack, or(0, .L_ZL14no_device_codePKciS0_iS0_.has_dyn_sized_stack)
	.set _ZL15flash_attn_tileILi72ELi72ELi2ELi2ELb1EEvPKcS1_S1_S1_S1_PKiPfP15HIP_vector_typeIfLj2EEffffjfiS5_IjLj3EEiiiiiiiiiiiliiliiiiil.has_recursion, or(0, .L_ZL14no_device_codePKciS0_iS0_.has_recursion)
	.set _ZL15flash_attn_tileILi72ELi72ELi2ELi2ELb1EEvPKcS1_S1_S1_S1_PKiPfP15HIP_vector_typeIfLj2EEffffjfiS5_IjLj3EEiiiiiiiiiiiliiliiiiil.has_indirect_call, or(0, .L_ZL14no_device_codePKciS0_iS0_.has_indirect_call)
	.section	.AMDGPU.csdata,"",@progbits
; Kernel info:
; codeLenInByte = 48
; TotalNumSgprs: 36
; NumVgprs: 40
; ScratchSize: 16
; MemoryBound: 0
; FloatMode: 240
; IeeeMode: 1
; LDSByteSize: 0 bytes/workgroup (compile time only)
; SGPRBlocks: 0
; VGPRBlocks: 4
; NumSGPRsForWavesPerEU: 36
; NumVGPRsForWavesPerEU: 40
; Occupancy: 16
; WaveLimiterHint : 1
; COMPUTE_PGM_RSRC2:SCRATCH_EN: 1
; COMPUTE_PGM_RSRC2:USER_SGPR: 6
; COMPUTE_PGM_RSRC2:TRAP_HANDLER: 0
; COMPUTE_PGM_RSRC2:TGID_X_EN: 1
; COMPUTE_PGM_RSRC2:TGID_Y_EN: 0
; COMPUTE_PGM_RSRC2:TGID_Z_EN: 0
; COMPUTE_PGM_RSRC2:TIDIG_COMP_CNT: 0
	.section	.text._ZL15flash_attn_tileILi72ELi72ELi1ELi2ELb1EEvPKcS1_S1_S1_S1_PKiPfP15HIP_vector_typeIfLj2EEffffjfiS5_IjLj3EEiiiiiiiiiiiliiliiiiil,"axG",@progbits,_ZL15flash_attn_tileILi72ELi72ELi1ELi2ELb1EEvPKcS1_S1_S1_S1_PKiPfP15HIP_vector_typeIfLj2EEffffjfiS5_IjLj3EEiiiiiiiiiiiliiliiiiil,comdat
	.globl	_ZL15flash_attn_tileILi72ELi72ELi1ELi2ELb1EEvPKcS1_S1_S1_S1_PKiPfP15HIP_vector_typeIfLj2EEffffjfiS5_IjLj3EEiiiiiiiiiiiliiliiiiil ; -- Begin function _ZL15flash_attn_tileILi72ELi72ELi1ELi2ELb1EEvPKcS1_S1_S1_S1_PKiPfP15HIP_vector_typeIfLj2EEffffjfiS5_IjLj3EEiiiiiiiiiiiliiliiiiil
	.p2align	8
	.type	_ZL15flash_attn_tileILi72ELi72ELi1ELi2ELb1EEvPKcS1_S1_S1_S1_PKiPfP15HIP_vector_typeIfLj2EEffffjfiS5_IjLj3EEiiiiiiiiiiiliiliiiiil,@function
_ZL15flash_attn_tileILi72ELi72ELi1ELi2ELb1EEvPKcS1_S1_S1_S1_PKiPfP15HIP_vector_typeIfLj2EEffffjfiS5_IjLj3EEiiiiiiiiiiiliiliiiiil: ; @_ZL15flash_attn_tileILi72ELi72ELi1ELi2ELb1EEvPKcS1_S1_S1_S1_PKiPfP15HIP_vector_typeIfLj2EEffffjfiS5_IjLj3EEiiiiiiiiiiiliiliiiiil
; %bb.0:
	s_add_u32 s0, s0, s7
	s_addc_u32 s1, s1, 0
	s_add_u32 s8, s4, 0xd0
	s_addc_u32 s9, s5, 0
	s_getpc_b64 s[4:5]
	s_add_u32 s4, s4, _ZL14no_device_codePKciS0_iS0_@rel32@lo+4
	s_addc_u32 s5, s5, _ZL14no_device_codePKciS0_iS0_@rel32@hi+12
	s_mov_b32 s32, 0
	s_swappc_b64 s[30:31], s[4:5]
	.section	.rodata,"a",@progbits
	.p2align	6, 0x0
	.amdhsa_kernel _ZL15flash_attn_tileILi72ELi72ELi1ELi2ELb1EEvPKcS1_S1_S1_S1_PKiPfP15HIP_vector_typeIfLj2EEffffjfiS5_IjLj3EEiiiiiiiiiiiliiliiiiil
		.amdhsa_group_segment_fixed_size 0
		.amdhsa_private_segment_fixed_size 16
		.amdhsa_kernarg_size 464
		.amdhsa_user_sgpr_count 6
		.amdhsa_user_sgpr_private_segment_buffer 1
		.amdhsa_user_sgpr_dispatch_ptr 0
		.amdhsa_user_sgpr_queue_ptr 0
		.amdhsa_user_sgpr_kernarg_segment_ptr 1
		.amdhsa_user_sgpr_dispatch_id 0
		.amdhsa_user_sgpr_flat_scratch_init 0
		.amdhsa_user_sgpr_private_segment_size 0
		.amdhsa_wavefront_size32 1
		.amdhsa_uses_dynamic_stack 0
		.amdhsa_system_sgpr_private_segment_wavefront_offset 1
		.amdhsa_system_sgpr_workgroup_id_x 1
		.amdhsa_system_sgpr_workgroup_id_y 0
		.amdhsa_system_sgpr_workgroup_id_z 0
		.amdhsa_system_sgpr_workgroup_info 0
		.amdhsa_system_vgpr_workitem_id 0
		.amdhsa_next_free_vgpr 40
		.amdhsa_next_free_sgpr 34
		.amdhsa_reserve_vcc 1
		.amdhsa_reserve_flat_scratch 0
		.amdhsa_float_round_mode_32 0
		.amdhsa_float_round_mode_16_64 0
		.amdhsa_float_denorm_mode_32 3
		.amdhsa_float_denorm_mode_16_64 3
		.amdhsa_dx10_clamp 1
		.amdhsa_ieee_mode 1
		.amdhsa_fp16_overflow 0
		.amdhsa_workgroup_processor_mode 1
		.amdhsa_memory_ordered 1
		.amdhsa_forward_progress 1
		.amdhsa_shared_vgpr_count 0
		.amdhsa_exception_fp_ieee_invalid_op 0
		.amdhsa_exception_fp_denorm_src 0
		.amdhsa_exception_fp_ieee_div_zero 0
		.amdhsa_exception_fp_ieee_overflow 0
		.amdhsa_exception_fp_ieee_underflow 0
		.amdhsa_exception_fp_ieee_inexact 0
		.amdhsa_exception_int_div_zero 0
	.end_amdhsa_kernel
	.section	.text._ZL15flash_attn_tileILi72ELi72ELi1ELi2ELb1EEvPKcS1_S1_S1_S1_PKiPfP15HIP_vector_typeIfLj2EEffffjfiS5_IjLj3EEiiiiiiiiiiiliiliiiiil,"axG",@progbits,_ZL15flash_attn_tileILi72ELi72ELi1ELi2ELb1EEvPKcS1_S1_S1_S1_PKiPfP15HIP_vector_typeIfLj2EEffffjfiS5_IjLj3EEiiiiiiiiiiiliiliiiiil,comdat
.Lfunc_end88:
	.size	_ZL15flash_attn_tileILi72ELi72ELi1ELi2ELb1EEvPKcS1_S1_S1_S1_PKiPfP15HIP_vector_typeIfLj2EEffffjfiS5_IjLj3EEiiiiiiiiiiiliiliiiiil, .Lfunc_end88-_ZL15flash_attn_tileILi72ELi72ELi1ELi2ELb1EEvPKcS1_S1_S1_S1_PKiPfP15HIP_vector_typeIfLj2EEffffjfiS5_IjLj3EEiiiiiiiiiiiliiliiiiil
                                        ; -- End function
	.set _ZL15flash_attn_tileILi72ELi72ELi1ELi2ELb1EEvPKcS1_S1_S1_S1_PKiPfP15HIP_vector_typeIfLj2EEffffjfiS5_IjLj3EEiiiiiiiiiiiliiliiiiil.num_vgpr, max(0, .L_ZL14no_device_codePKciS0_iS0_.num_vgpr)
	.set _ZL15flash_attn_tileILi72ELi72ELi1ELi2ELb1EEvPKcS1_S1_S1_S1_PKiPfP15HIP_vector_typeIfLj2EEffffjfiS5_IjLj3EEiiiiiiiiiiiliiliiiiil.num_agpr, max(0, .L_ZL14no_device_codePKciS0_iS0_.num_agpr)
	.set _ZL15flash_attn_tileILi72ELi72ELi1ELi2ELb1EEvPKcS1_S1_S1_S1_PKiPfP15HIP_vector_typeIfLj2EEffffjfiS5_IjLj3EEiiiiiiiiiiiliiliiiiil.numbered_sgpr, max(33, .L_ZL14no_device_codePKciS0_iS0_.numbered_sgpr)
	.set _ZL15flash_attn_tileILi72ELi72ELi1ELi2ELb1EEvPKcS1_S1_S1_S1_PKiPfP15HIP_vector_typeIfLj2EEffffjfiS5_IjLj3EEiiiiiiiiiiiliiliiiiil.num_named_barrier, max(0, .L_ZL14no_device_codePKciS0_iS0_.num_named_barrier)
	.set _ZL15flash_attn_tileILi72ELi72ELi1ELi2ELb1EEvPKcS1_S1_S1_S1_PKiPfP15HIP_vector_typeIfLj2EEffffjfiS5_IjLj3EEiiiiiiiiiiiliiliiiiil.private_seg_size, 0+max(.L_ZL14no_device_codePKciS0_iS0_.private_seg_size)
	.set _ZL15flash_attn_tileILi72ELi72ELi1ELi2ELb1EEvPKcS1_S1_S1_S1_PKiPfP15HIP_vector_typeIfLj2EEffffjfiS5_IjLj3EEiiiiiiiiiiiliiliiiiil.uses_vcc, or(1, .L_ZL14no_device_codePKciS0_iS0_.uses_vcc)
	.set _ZL15flash_attn_tileILi72ELi72ELi1ELi2ELb1EEvPKcS1_S1_S1_S1_PKiPfP15HIP_vector_typeIfLj2EEffffjfiS5_IjLj3EEiiiiiiiiiiiliiliiiiil.uses_flat_scratch, or(0, .L_ZL14no_device_codePKciS0_iS0_.uses_flat_scratch)
	.set _ZL15flash_attn_tileILi72ELi72ELi1ELi2ELb1EEvPKcS1_S1_S1_S1_PKiPfP15HIP_vector_typeIfLj2EEffffjfiS5_IjLj3EEiiiiiiiiiiiliiliiiiil.has_dyn_sized_stack, or(0, .L_ZL14no_device_codePKciS0_iS0_.has_dyn_sized_stack)
	.set _ZL15flash_attn_tileILi72ELi72ELi1ELi2ELb1EEvPKcS1_S1_S1_S1_PKiPfP15HIP_vector_typeIfLj2EEffffjfiS5_IjLj3EEiiiiiiiiiiiliiliiiiil.has_recursion, or(0, .L_ZL14no_device_codePKciS0_iS0_.has_recursion)
	.set _ZL15flash_attn_tileILi72ELi72ELi1ELi2ELb1EEvPKcS1_S1_S1_S1_PKiPfP15HIP_vector_typeIfLj2EEffffjfiS5_IjLj3EEiiiiiiiiiiiliiliiiiil.has_indirect_call, or(0, .L_ZL14no_device_codePKciS0_iS0_.has_indirect_call)
	.section	.AMDGPU.csdata,"",@progbits
; Kernel info:
; codeLenInByte = 48
; TotalNumSgprs: 36
; NumVgprs: 40
; ScratchSize: 16
; MemoryBound: 0
; FloatMode: 240
; IeeeMode: 1
; LDSByteSize: 0 bytes/workgroup (compile time only)
; SGPRBlocks: 0
; VGPRBlocks: 4
; NumSGPRsForWavesPerEU: 36
; NumVGPRsForWavesPerEU: 40
; Occupancy: 16
; WaveLimiterHint : 1
; COMPUTE_PGM_RSRC2:SCRATCH_EN: 1
; COMPUTE_PGM_RSRC2:USER_SGPR: 6
; COMPUTE_PGM_RSRC2:TRAP_HANDLER: 0
; COMPUTE_PGM_RSRC2:TGID_X_EN: 1
; COMPUTE_PGM_RSRC2:TGID_Y_EN: 0
; COMPUTE_PGM_RSRC2:TGID_Z_EN: 0
; COMPUTE_PGM_RSRC2:TIDIG_COMP_CNT: 0
	.section	.text._ZL15flash_attn_tileILi72ELi72ELi64ELi1ELb1EEvPKcS1_S1_S1_S1_PKiPfP15HIP_vector_typeIfLj2EEffffjfiS5_IjLj3EEiiiiiiiiiiiliiliiiiil,"axG",@progbits,_ZL15flash_attn_tileILi72ELi72ELi64ELi1ELb1EEvPKcS1_S1_S1_S1_PKiPfP15HIP_vector_typeIfLj2EEffffjfiS5_IjLj3EEiiiiiiiiiiiliiliiiiil,comdat
	.globl	_ZL15flash_attn_tileILi72ELi72ELi64ELi1ELb1EEvPKcS1_S1_S1_S1_PKiPfP15HIP_vector_typeIfLj2EEffffjfiS5_IjLj3EEiiiiiiiiiiiliiliiiiil ; -- Begin function _ZL15flash_attn_tileILi72ELi72ELi64ELi1ELb1EEvPKcS1_S1_S1_S1_PKiPfP15HIP_vector_typeIfLj2EEffffjfiS5_IjLj3EEiiiiiiiiiiiliiliiiiil
	.p2align	8
	.type	_ZL15flash_attn_tileILi72ELi72ELi64ELi1ELb1EEvPKcS1_S1_S1_S1_PKiPfP15HIP_vector_typeIfLj2EEffffjfiS5_IjLj3EEiiiiiiiiiiiliiliiiiil,@function
_ZL15flash_attn_tileILi72ELi72ELi64ELi1ELb1EEvPKcS1_S1_S1_S1_PKiPfP15HIP_vector_typeIfLj2EEffffjfiS5_IjLj3EEiiiiiiiiiiiliiliiiiil: ; @_ZL15flash_attn_tileILi72ELi72ELi64ELi1ELb1EEvPKcS1_S1_S1_S1_PKiPfP15HIP_vector_typeIfLj2EEffffjfiS5_IjLj3EEiiiiiiiiiiiliiliiiiil
; %bb.0:
	s_add_u32 s0, s0, s7
	s_addc_u32 s1, s1, 0
	s_add_u32 s8, s4, 0xd0
	s_addc_u32 s9, s5, 0
	s_getpc_b64 s[4:5]
	s_add_u32 s4, s4, _ZL14no_device_codePKciS0_iS0_@rel32@lo+4
	s_addc_u32 s5, s5, _ZL14no_device_codePKciS0_iS0_@rel32@hi+12
	s_mov_b32 s32, 0
	s_swappc_b64 s[30:31], s[4:5]
	.section	.rodata,"a",@progbits
	.p2align	6, 0x0
	.amdhsa_kernel _ZL15flash_attn_tileILi72ELi72ELi64ELi1ELb1EEvPKcS1_S1_S1_S1_PKiPfP15HIP_vector_typeIfLj2EEffffjfiS5_IjLj3EEiiiiiiiiiiiliiliiiiil
		.amdhsa_group_segment_fixed_size 0
		.amdhsa_private_segment_fixed_size 16
		.amdhsa_kernarg_size 464
		.amdhsa_user_sgpr_count 6
		.amdhsa_user_sgpr_private_segment_buffer 1
		.amdhsa_user_sgpr_dispatch_ptr 0
		.amdhsa_user_sgpr_queue_ptr 0
		.amdhsa_user_sgpr_kernarg_segment_ptr 1
		.amdhsa_user_sgpr_dispatch_id 0
		.amdhsa_user_sgpr_flat_scratch_init 0
		.amdhsa_user_sgpr_private_segment_size 0
		.amdhsa_wavefront_size32 1
		.amdhsa_uses_dynamic_stack 0
		.amdhsa_system_sgpr_private_segment_wavefront_offset 1
		.amdhsa_system_sgpr_workgroup_id_x 1
		.amdhsa_system_sgpr_workgroup_id_y 0
		.amdhsa_system_sgpr_workgroup_id_z 0
		.amdhsa_system_sgpr_workgroup_info 0
		.amdhsa_system_vgpr_workitem_id 0
		.amdhsa_next_free_vgpr 40
		.amdhsa_next_free_sgpr 34
		.amdhsa_reserve_vcc 1
		.amdhsa_reserve_flat_scratch 0
		.amdhsa_float_round_mode_32 0
		.amdhsa_float_round_mode_16_64 0
		.amdhsa_float_denorm_mode_32 3
		.amdhsa_float_denorm_mode_16_64 3
		.amdhsa_dx10_clamp 1
		.amdhsa_ieee_mode 1
		.amdhsa_fp16_overflow 0
		.amdhsa_workgroup_processor_mode 1
		.amdhsa_memory_ordered 1
		.amdhsa_forward_progress 1
		.amdhsa_shared_vgpr_count 0
		.amdhsa_exception_fp_ieee_invalid_op 0
		.amdhsa_exception_fp_denorm_src 0
		.amdhsa_exception_fp_ieee_div_zero 0
		.amdhsa_exception_fp_ieee_overflow 0
		.amdhsa_exception_fp_ieee_underflow 0
		.amdhsa_exception_fp_ieee_inexact 0
		.amdhsa_exception_int_div_zero 0
	.end_amdhsa_kernel
	.section	.text._ZL15flash_attn_tileILi72ELi72ELi64ELi1ELb1EEvPKcS1_S1_S1_S1_PKiPfP15HIP_vector_typeIfLj2EEffffjfiS5_IjLj3EEiiiiiiiiiiiliiliiiiil,"axG",@progbits,_ZL15flash_attn_tileILi72ELi72ELi64ELi1ELb1EEvPKcS1_S1_S1_S1_PKiPfP15HIP_vector_typeIfLj2EEffffjfiS5_IjLj3EEiiiiiiiiiiiliiliiiiil,comdat
.Lfunc_end89:
	.size	_ZL15flash_attn_tileILi72ELi72ELi64ELi1ELb1EEvPKcS1_S1_S1_S1_PKiPfP15HIP_vector_typeIfLj2EEffffjfiS5_IjLj3EEiiiiiiiiiiiliiliiiiil, .Lfunc_end89-_ZL15flash_attn_tileILi72ELi72ELi64ELi1ELb1EEvPKcS1_S1_S1_S1_PKiPfP15HIP_vector_typeIfLj2EEffffjfiS5_IjLj3EEiiiiiiiiiiiliiliiiiil
                                        ; -- End function
	.set _ZL15flash_attn_tileILi72ELi72ELi64ELi1ELb1EEvPKcS1_S1_S1_S1_PKiPfP15HIP_vector_typeIfLj2EEffffjfiS5_IjLj3EEiiiiiiiiiiiliiliiiiil.num_vgpr, max(0, .L_ZL14no_device_codePKciS0_iS0_.num_vgpr)
	.set _ZL15flash_attn_tileILi72ELi72ELi64ELi1ELb1EEvPKcS1_S1_S1_S1_PKiPfP15HIP_vector_typeIfLj2EEffffjfiS5_IjLj3EEiiiiiiiiiiiliiliiiiil.num_agpr, max(0, .L_ZL14no_device_codePKciS0_iS0_.num_agpr)
	.set _ZL15flash_attn_tileILi72ELi72ELi64ELi1ELb1EEvPKcS1_S1_S1_S1_PKiPfP15HIP_vector_typeIfLj2EEffffjfiS5_IjLj3EEiiiiiiiiiiiliiliiiiil.numbered_sgpr, max(33, .L_ZL14no_device_codePKciS0_iS0_.numbered_sgpr)
	.set _ZL15flash_attn_tileILi72ELi72ELi64ELi1ELb1EEvPKcS1_S1_S1_S1_PKiPfP15HIP_vector_typeIfLj2EEffffjfiS5_IjLj3EEiiiiiiiiiiiliiliiiiil.num_named_barrier, max(0, .L_ZL14no_device_codePKciS0_iS0_.num_named_barrier)
	.set _ZL15flash_attn_tileILi72ELi72ELi64ELi1ELb1EEvPKcS1_S1_S1_S1_PKiPfP15HIP_vector_typeIfLj2EEffffjfiS5_IjLj3EEiiiiiiiiiiiliiliiiiil.private_seg_size, 0+max(.L_ZL14no_device_codePKciS0_iS0_.private_seg_size)
	.set _ZL15flash_attn_tileILi72ELi72ELi64ELi1ELb1EEvPKcS1_S1_S1_S1_PKiPfP15HIP_vector_typeIfLj2EEffffjfiS5_IjLj3EEiiiiiiiiiiiliiliiiiil.uses_vcc, or(1, .L_ZL14no_device_codePKciS0_iS0_.uses_vcc)
	.set _ZL15flash_attn_tileILi72ELi72ELi64ELi1ELb1EEvPKcS1_S1_S1_S1_PKiPfP15HIP_vector_typeIfLj2EEffffjfiS5_IjLj3EEiiiiiiiiiiiliiliiiiil.uses_flat_scratch, or(0, .L_ZL14no_device_codePKciS0_iS0_.uses_flat_scratch)
	.set _ZL15flash_attn_tileILi72ELi72ELi64ELi1ELb1EEvPKcS1_S1_S1_S1_PKiPfP15HIP_vector_typeIfLj2EEffffjfiS5_IjLj3EEiiiiiiiiiiiliiliiiiil.has_dyn_sized_stack, or(0, .L_ZL14no_device_codePKciS0_iS0_.has_dyn_sized_stack)
	.set _ZL15flash_attn_tileILi72ELi72ELi64ELi1ELb1EEvPKcS1_S1_S1_S1_PKiPfP15HIP_vector_typeIfLj2EEffffjfiS5_IjLj3EEiiiiiiiiiiiliiliiiiil.has_recursion, or(0, .L_ZL14no_device_codePKciS0_iS0_.has_recursion)
	.set _ZL15flash_attn_tileILi72ELi72ELi64ELi1ELb1EEvPKcS1_S1_S1_S1_PKiPfP15HIP_vector_typeIfLj2EEffffjfiS5_IjLj3EEiiiiiiiiiiiliiliiiiil.has_indirect_call, or(0, .L_ZL14no_device_codePKciS0_iS0_.has_indirect_call)
	.section	.AMDGPU.csdata,"",@progbits
; Kernel info:
; codeLenInByte = 48
; TotalNumSgprs: 36
; NumVgprs: 40
; ScratchSize: 16
; MemoryBound: 0
; FloatMode: 240
; IeeeMode: 1
; LDSByteSize: 0 bytes/workgroup (compile time only)
; SGPRBlocks: 0
; VGPRBlocks: 4
; NumSGPRsForWavesPerEU: 36
; NumVGPRsForWavesPerEU: 40
; Occupancy: 16
; WaveLimiterHint : 1
; COMPUTE_PGM_RSRC2:SCRATCH_EN: 1
; COMPUTE_PGM_RSRC2:USER_SGPR: 6
; COMPUTE_PGM_RSRC2:TRAP_HANDLER: 0
; COMPUTE_PGM_RSRC2:TGID_X_EN: 1
; COMPUTE_PGM_RSRC2:TGID_Y_EN: 0
; COMPUTE_PGM_RSRC2:TGID_Z_EN: 0
; COMPUTE_PGM_RSRC2:TIDIG_COMP_CNT: 0
	.section	.text._ZL15flash_attn_tileILi72ELi72ELi32ELi1ELb1EEvPKcS1_S1_S1_S1_PKiPfP15HIP_vector_typeIfLj2EEffffjfiS5_IjLj3EEiiiiiiiiiiiliiliiiiil,"axG",@progbits,_ZL15flash_attn_tileILi72ELi72ELi32ELi1ELb1EEvPKcS1_S1_S1_S1_PKiPfP15HIP_vector_typeIfLj2EEffffjfiS5_IjLj3EEiiiiiiiiiiiliiliiiiil,comdat
	.globl	_ZL15flash_attn_tileILi72ELi72ELi32ELi1ELb1EEvPKcS1_S1_S1_S1_PKiPfP15HIP_vector_typeIfLj2EEffffjfiS5_IjLj3EEiiiiiiiiiiiliiliiiiil ; -- Begin function _ZL15flash_attn_tileILi72ELi72ELi32ELi1ELb1EEvPKcS1_S1_S1_S1_PKiPfP15HIP_vector_typeIfLj2EEffffjfiS5_IjLj3EEiiiiiiiiiiiliiliiiiil
	.p2align	8
	.type	_ZL15flash_attn_tileILi72ELi72ELi32ELi1ELb1EEvPKcS1_S1_S1_S1_PKiPfP15HIP_vector_typeIfLj2EEffffjfiS5_IjLj3EEiiiiiiiiiiiliiliiiiil,@function
_ZL15flash_attn_tileILi72ELi72ELi32ELi1ELb1EEvPKcS1_S1_S1_S1_PKiPfP15HIP_vector_typeIfLj2EEffffjfiS5_IjLj3EEiiiiiiiiiiiliiliiiiil: ; @_ZL15flash_attn_tileILi72ELi72ELi32ELi1ELb1EEvPKcS1_S1_S1_S1_PKiPfP15HIP_vector_typeIfLj2EEffffjfiS5_IjLj3EEiiiiiiiiiiiliiliiiiil
; %bb.0:
	s_add_u32 s0, s0, s7
	s_addc_u32 s1, s1, 0
	s_add_u32 s8, s4, 0xd0
	s_addc_u32 s9, s5, 0
	s_getpc_b64 s[4:5]
	s_add_u32 s4, s4, _ZL14no_device_codePKciS0_iS0_@rel32@lo+4
	s_addc_u32 s5, s5, _ZL14no_device_codePKciS0_iS0_@rel32@hi+12
	s_mov_b32 s32, 0
	s_swappc_b64 s[30:31], s[4:5]
	.section	.rodata,"a",@progbits
	.p2align	6, 0x0
	.amdhsa_kernel _ZL15flash_attn_tileILi72ELi72ELi32ELi1ELb1EEvPKcS1_S1_S1_S1_PKiPfP15HIP_vector_typeIfLj2EEffffjfiS5_IjLj3EEiiiiiiiiiiiliiliiiiil
		.amdhsa_group_segment_fixed_size 0
		.amdhsa_private_segment_fixed_size 16
		.amdhsa_kernarg_size 464
		.amdhsa_user_sgpr_count 6
		.amdhsa_user_sgpr_private_segment_buffer 1
		.amdhsa_user_sgpr_dispatch_ptr 0
		.amdhsa_user_sgpr_queue_ptr 0
		.amdhsa_user_sgpr_kernarg_segment_ptr 1
		.amdhsa_user_sgpr_dispatch_id 0
		.amdhsa_user_sgpr_flat_scratch_init 0
		.amdhsa_user_sgpr_private_segment_size 0
		.amdhsa_wavefront_size32 1
		.amdhsa_uses_dynamic_stack 0
		.amdhsa_system_sgpr_private_segment_wavefront_offset 1
		.amdhsa_system_sgpr_workgroup_id_x 1
		.amdhsa_system_sgpr_workgroup_id_y 0
		.amdhsa_system_sgpr_workgroup_id_z 0
		.amdhsa_system_sgpr_workgroup_info 0
		.amdhsa_system_vgpr_workitem_id 0
		.amdhsa_next_free_vgpr 40
		.amdhsa_next_free_sgpr 34
		.amdhsa_reserve_vcc 1
		.amdhsa_reserve_flat_scratch 0
		.amdhsa_float_round_mode_32 0
		.amdhsa_float_round_mode_16_64 0
		.amdhsa_float_denorm_mode_32 3
		.amdhsa_float_denorm_mode_16_64 3
		.amdhsa_dx10_clamp 1
		.amdhsa_ieee_mode 1
		.amdhsa_fp16_overflow 0
		.amdhsa_workgroup_processor_mode 1
		.amdhsa_memory_ordered 1
		.amdhsa_forward_progress 1
		.amdhsa_shared_vgpr_count 0
		.amdhsa_exception_fp_ieee_invalid_op 0
		.amdhsa_exception_fp_denorm_src 0
		.amdhsa_exception_fp_ieee_div_zero 0
		.amdhsa_exception_fp_ieee_overflow 0
		.amdhsa_exception_fp_ieee_underflow 0
		.amdhsa_exception_fp_ieee_inexact 0
		.amdhsa_exception_int_div_zero 0
	.end_amdhsa_kernel
	.section	.text._ZL15flash_attn_tileILi72ELi72ELi32ELi1ELb1EEvPKcS1_S1_S1_S1_PKiPfP15HIP_vector_typeIfLj2EEffffjfiS5_IjLj3EEiiiiiiiiiiiliiliiiiil,"axG",@progbits,_ZL15flash_attn_tileILi72ELi72ELi32ELi1ELb1EEvPKcS1_S1_S1_S1_PKiPfP15HIP_vector_typeIfLj2EEffffjfiS5_IjLj3EEiiiiiiiiiiiliiliiiiil,comdat
.Lfunc_end90:
	.size	_ZL15flash_attn_tileILi72ELi72ELi32ELi1ELb1EEvPKcS1_S1_S1_S1_PKiPfP15HIP_vector_typeIfLj2EEffffjfiS5_IjLj3EEiiiiiiiiiiiliiliiiiil, .Lfunc_end90-_ZL15flash_attn_tileILi72ELi72ELi32ELi1ELb1EEvPKcS1_S1_S1_S1_PKiPfP15HIP_vector_typeIfLj2EEffffjfiS5_IjLj3EEiiiiiiiiiiiliiliiiiil
                                        ; -- End function
	.set _ZL15flash_attn_tileILi72ELi72ELi32ELi1ELb1EEvPKcS1_S1_S1_S1_PKiPfP15HIP_vector_typeIfLj2EEffffjfiS5_IjLj3EEiiiiiiiiiiiliiliiiiil.num_vgpr, max(0, .L_ZL14no_device_codePKciS0_iS0_.num_vgpr)
	.set _ZL15flash_attn_tileILi72ELi72ELi32ELi1ELb1EEvPKcS1_S1_S1_S1_PKiPfP15HIP_vector_typeIfLj2EEffffjfiS5_IjLj3EEiiiiiiiiiiiliiliiiiil.num_agpr, max(0, .L_ZL14no_device_codePKciS0_iS0_.num_agpr)
	.set _ZL15flash_attn_tileILi72ELi72ELi32ELi1ELb1EEvPKcS1_S1_S1_S1_PKiPfP15HIP_vector_typeIfLj2EEffffjfiS5_IjLj3EEiiiiiiiiiiiliiliiiiil.numbered_sgpr, max(33, .L_ZL14no_device_codePKciS0_iS0_.numbered_sgpr)
	.set _ZL15flash_attn_tileILi72ELi72ELi32ELi1ELb1EEvPKcS1_S1_S1_S1_PKiPfP15HIP_vector_typeIfLj2EEffffjfiS5_IjLj3EEiiiiiiiiiiiliiliiiiil.num_named_barrier, max(0, .L_ZL14no_device_codePKciS0_iS0_.num_named_barrier)
	.set _ZL15flash_attn_tileILi72ELi72ELi32ELi1ELb1EEvPKcS1_S1_S1_S1_PKiPfP15HIP_vector_typeIfLj2EEffffjfiS5_IjLj3EEiiiiiiiiiiiliiliiiiil.private_seg_size, 0+max(.L_ZL14no_device_codePKciS0_iS0_.private_seg_size)
	.set _ZL15flash_attn_tileILi72ELi72ELi32ELi1ELb1EEvPKcS1_S1_S1_S1_PKiPfP15HIP_vector_typeIfLj2EEffffjfiS5_IjLj3EEiiiiiiiiiiiliiliiiiil.uses_vcc, or(1, .L_ZL14no_device_codePKciS0_iS0_.uses_vcc)
	.set _ZL15flash_attn_tileILi72ELi72ELi32ELi1ELb1EEvPKcS1_S1_S1_S1_PKiPfP15HIP_vector_typeIfLj2EEffffjfiS5_IjLj3EEiiiiiiiiiiiliiliiiiil.uses_flat_scratch, or(0, .L_ZL14no_device_codePKciS0_iS0_.uses_flat_scratch)
	.set _ZL15flash_attn_tileILi72ELi72ELi32ELi1ELb1EEvPKcS1_S1_S1_S1_PKiPfP15HIP_vector_typeIfLj2EEffffjfiS5_IjLj3EEiiiiiiiiiiiliiliiiiil.has_dyn_sized_stack, or(0, .L_ZL14no_device_codePKciS0_iS0_.has_dyn_sized_stack)
	.set _ZL15flash_attn_tileILi72ELi72ELi32ELi1ELb1EEvPKcS1_S1_S1_S1_PKiPfP15HIP_vector_typeIfLj2EEffffjfiS5_IjLj3EEiiiiiiiiiiiliiliiiiil.has_recursion, or(0, .L_ZL14no_device_codePKciS0_iS0_.has_recursion)
	.set _ZL15flash_attn_tileILi72ELi72ELi32ELi1ELb1EEvPKcS1_S1_S1_S1_PKiPfP15HIP_vector_typeIfLj2EEffffjfiS5_IjLj3EEiiiiiiiiiiiliiliiiiil.has_indirect_call, or(0, .L_ZL14no_device_codePKciS0_iS0_.has_indirect_call)
	.section	.AMDGPU.csdata,"",@progbits
; Kernel info:
; codeLenInByte = 48
; TotalNumSgprs: 36
; NumVgprs: 40
; ScratchSize: 16
; MemoryBound: 0
; FloatMode: 240
; IeeeMode: 1
; LDSByteSize: 0 bytes/workgroup (compile time only)
; SGPRBlocks: 0
; VGPRBlocks: 4
; NumSGPRsForWavesPerEU: 36
; NumVGPRsForWavesPerEU: 40
; Occupancy: 16
; WaveLimiterHint : 1
; COMPUTE_PGM_RSRC2:SCRATCH_EN: 1
; COMPUTE_PGM_RSRC2:USER_SGPR: 6
; COMPUTE_PGM_RSRC2:TRAP_HANDLER: 0
; COMPUTE_PGM_RSRC2:TGID_X_EN: 1
; COMPUTE_PGM_RSRC2:TGID_Y_EN: 0
; COMPUTE_PGM_RSRC2:TGID_Z_EN: 0
; COMPUTE_PGM_RSRC2:TIDIG_COMP_CNT: 0
	.section	.text._ZL15flash_attn_tileILi72ELi72ELi16ELi1ELb1EEvPKcS1_S1_S1_S1_PKiPfP15HIP_vector_typeIfLj2EEffffjfiS5_IjLj3EEiiiiiiiiiiiliiliiiiil,"axG",@progbits,_ZL15flash_attn_tileILi72ELi72ELi16ELi1ELb1EEvPKcS1_S1_S1_S1_PKiPfP15HIP_vector_typeIfLj2EEffffjfiS5_IjLj3EEiiiiiiiiiiiliiliiiiil,comdat
	.globl	_ZL15flash_attn_tileILi72ELi72ELi16ELi1ELb1EEvPKcS1_S1_S1_S1_PKiPfP15HIP_vector_typeIfLj2EEffffjfiS5_IjLj3EEiiiiiiiiiiiliiliiiiil ; -- Begin function _ZL15flash_attn_tileILi72ELi72ELi16ELi1ELb1EEvPKcS1_S1_S1_S1_PKiPfP15HIP_vector_typeIfLj2EEffffjfiS5_IjLj3EEiiiiiiiiiiiliiliiiiil
	.p2align	8
	.type	_ZL15flash_attn_tileILi72ELi72ELi16ELi1ELb1EEvPKcS1_S1_S1_S1_PKiPfP15HIP_vector_typeIfLj2EEffffjfiS5_IjLj3EEiiiiiiiiiiiliiliiiiil,@function
_ZL15flash_attn_tileILi72ELi72ELi16ELi1ELb1EEvPKcS1_S1_S1_S1_PKiPfP15HIP_vector_typeIfLj2EEffffjfiS5_IjLj3EEiiiiiiiiiiiliiliiiiil: ; @_ZL15flash_attn_tileILi72ELi72ELi16ELi1ELb1EEvPKcS1_S1_S1_S1_PKiPfP15HIP_vector_typeIfLj2EEffffjfiS5_IjLj3EEiiiiiiiiiiiliiliiiiil
; %bb.0:
	s_add_u32 s0, s0, s7
	s_addc_u32 s1, s1, 0
	s_add_u32 s8, s4, 0xd0
	s_addc_u32 s9, s5, 0
	s_getpc_b64 s[4:5]
	s_add_u32 s4, s4, _ZL14no_device_codePKciS0_iS0_@rel32@lo+4
	s_addc_u32 s5, s5, _ZL14no_device_codePKciS0_iS0_@rel32@hi+12
	s_mov_b32 s32, 0
	s_swappc_b64 s[30:31], s[4:5]
	.section	.rodata,"a",@progbits
	.p2align	6, 0x0
	.amdhsa_kernel _ZL15flash_attn_tileILi72ELi72ELi16ELi1ELb1EEvPKcS1_S1_S1_S1_PKiPfP15HIP_vector_typeIfLj2EEffffjfiS5_IjLj3EEiiiiiiiiiiiliiliiiiil
		.amdhsa_group_segment_fixed_size 0
		.amdhsa_private_segment_fixed_size 16
		.amdhsa_kernarg_size 464
		.amdhsa_user_sgpr_count 6
		.amdhsa_user_sgpr_private_segment_buffer 1
		.amdhsa_user_sgpr_dispatch_ptr 0
		.amdhsa_user_sgpr_queue_ptr 0
		.amdhsa_user_sgpr_kernarg_segment_ptr 1
		.amdhsa_user_sgpr_dispatch_id 0
		.amdhsa_user_sgpr_flat_scratch_init 0
		.amdhsa_user_sgpr_private_segment_size 0
		.amdhsa_wavefront_size32 1
		.amdhsa_uses_dynamic_stack 0
		.amdhsa_system_sgpr_private_segment_wavefront_offset 1
		.amdhsa_system_sgpr_workgroup_id_x 1
		.amdhsa_system_sgpr_workgroup_id_y 0
		.amdhsa_system_sgpr_workgroup_id_z 0
		.amdhsa_system_sgpr_workgroup_info 0
		.amdhsa_system_vgpr_workitem_id 0
		.amdhsa_next_free_vgpr 40
		.amdhsa_next_free_sgpr 34
		.amdhsa_reserve_vcc 1
		.amdhsa_reserve_flat_scratch 0
		.amdhsa_float_round_mode_32 0
		.amdhsa_float_round_mode_16_64 0
		.amdhsa_float_denorm_mode_32 3
		.amdhsa_float_denorm_mode_16_64 3
		.amdhsa_dx10_clamp 1
		.amdhsa_ieee_mode 1
		.amdhsa_fp16_overflow 0
		.amdhsa_workgroup_processor_mode 1
		.amdhsa_memory_ordered 1
		.amdhsa_forward_progress 1
		.amdhsa_shared_vgpr_count 0
		.amdhsa_exception_fp_ieee_invalid_op 0
		.amdhsa_exception_fp_denorm_src 0
		.amdhsa_exception_fp_ieee_div_zero 0
		.amdhsa_exception_fp_ieee_overflow 0
		.amdhsa_exception_fp_ieee_underflow 0
		.amdhsa_exception_fp_ieee_inexact 0
		.amdhsa_exception_int_div_zero 0
	.end_amdhsa_kernel
	.section	.text._ZL15flash_attn_tileILi72ELi72ELi16ELi1ELb1EEvPKcS1_S1_S1_S1_PKiPfP15HIP_vector_typeIfLj2EEffffjfiS5_IjLj3EEiiiiiiiiiiiliiliiiiil,"axG",@progbits,_ZL15flash_attn_tileILi72ELi72ELi16ELi1ELb1EEvPKcS1_S1_S1_S1_PKiPfP15HIP_vector_typeIfLj2EEffffjfiS5_IjLj3EEiiiiiiiiiiiliiliiiiil,comdat
.Lfunc_end91:
	.size	_ZL15flash_attn_tileILi72ELi72ELi16ELi1ELb1EEvPKcS1_S1_S1_S1_PKiPfP15HIP_vector_typeIfLj2EEffffjfiS5_IjLj3EEiiiiiiiiiiiliiliiiiil, .Lfunc_end91-_ZL15flash_attn_tileILi72ELi72ELi16ELi1ELb1EEvPKcS1_S1_S1_S1_PKiPfP15HIP_vector_typeIfLj2EEffffjfiS5_IjLj3EEiiiiiiiiiiiliiliiiiil
                                        ; -- End function
	.set _ZL15flash_attn_tileILi72ELi72ELi16ELi1ELb1EEvPKcS1_S1_S1_S1_PKiPfP15HIP_vector_typeIfLj2EEffffjfiS5_IjLj3EEiiiiiiiiiiiliiliiiiil.num_vgpr, max(0, .L_ZL14no_device_codePKciS0_iS0_.num_vgpr)
	.set _ZL15flash_attn_tileILi72ELi72ELi16ELi1ELb1EEvPKcS1_S1_S1_S1_PKiPfP15HIP_vector_typeIfLj2EEffffjfiS5_IjLj3EEiiiiiiiiiiiliiliiiiil.num_agpr, max(0, .L_ZL14no_device_codePKciS0_iS0_.num_agpr)
	.set _ZL15flash_attn_tileILi72ELi72ELi16ELi1ELb1EEvPKcS1_S1_S1_S1_PKiPfP15HIP_vector_typeIfLj2EEffffjfiS5_IjLj3EEiiiiiiiiiiiliiliiiiil.numbered_sgpr, max(33, .L_ZL14no_device_codePKciS0_iS0_.numbered_sgpr)
	.set _ZL15flash_attn_tileILi72ELi72ELi16ELi1ELb1EEvPKcS1_S1_S1_S1_PKiPfP15HIP_vector_typeIfLj2EEffffjfiS5_IjLj3EEiiiiiiiiiiiliiliiiiil.num_named_barrier, max(0, .L_ZL14no_device_codePKciS0_iS0_.num_named_barrier)
	.set _ZL15flash_attn_tileILi72ELi72ELi16ELi1ELb1EEvPKcS1_S1_S1_S1_PKiPfP15HIP_vector_typeIfLj2EEffffjfiS5_IjLj3EEiiiiiiiiiiiliiliiiiil.private_seg_size, 0+max(.L_ZL14no_device_codePKciS0_iS0_.private_seg_size)
	.set _ZL15flash_attn_tileILi72ELi72ELi16ELi1ELb1EEvPKcS1_S1_S1_S1_PKiPfP15HIP_vector_typeIfLj2EEffffjfiS5_IjLj3EEiiiiiiiiiiiliiliiiiil.uses_vcc, or(1, .L_ZL14no_device_codePKciS0_iS0_.uses_vcc)
	.set _ZL15flash_attn_tileILi72ELi72ELi16ELi1ELb1EEvPKcS1_S1_S1_S1_PKiPfP15HIP_vector_typeIfLj2EEffffjfiS5_IjLj3EEiiiiiiiiiiiliiliiiiil.uses_flat_scratch, or(0, .L_ZL14no_device_codePKciS0_iS0_.uses_flat_scratch)
	.set _ZL15flash_attn_tileILi72ELi72ELi16ELi1ELb1EEvPKcS1_S1_S1_S1_PKiPfP15HIP_vector_typeIfLj2EEffffjfiS5_IjLj3EEiiiiiiiiiiiliiliiiiil.has_dyn_sized_stack, or(0, .L_ZL14no_device_codePKciS0_iS0_.has_dyn_sized_stack)
	.set _ZL15flash_attn_tileILi72ELi72ELi16ELi1ELb1EEvPKcS1_S1_S1_S1_PKiPfP15HIP_vector_typeIfLj2EEffffjfiS5_IjLj3EEiiiiiiiiiiiliiliiiiil.has_recursion, or(0, .L_ZL14no_device_codePKciS0_iS0_.has_recursion)
	.set _ZL15flash_attn_tileILi72ELi72ELi16ELi1ELb1EEvPKcS1_S1_S1_S1_PKiPfP15HIP_vector_typeIfLj2EEffffjfiS5_IjLj3EEiiiiiiiiiiiliiliiiiil.has_indirect_call, or(0, .L_ZL14no_device_codePKciS0_iS0_.has_indirect_call)
	.section	.AMDGPU.csdata,"",@progbits
; Kernel info:
; codeLenInByte = 48
; TotalNumSgprs: 36
; NumVgprs: 40
; ScratchSize: 16
; MemoryBound: 0
; FloatMode: 240
; IeeeMode: 1
; LDSByteSize: 0 bytes/workgroup (compile time only)
; SGPRBlocks: 0
; VGPRBlocks: 4
; NumSGPRsForWavesPerEU: 36
; NumVGPRsForWavesPerEU: 40
; Occupancy: 16
; WaveLimiterHint : 1
; COMPUTE_PGM_RSRC2:SCRATCH_EN: 1
; COMPUTE_PGM_RSRC2:USER_SGPR: 6
; COMPUTE_PGM_RSRC2:TRAP_HANDLER: 0
; COMPUTE_PGM_RSRC2:TGID_X_EN: 1
; COMPUTE_PGM_RSRC2:TGID_Y_EN: 0
; COMPUTE_PGM_RSRC2:TGID_Z_EN: 0
; COMPUTE_PGM_RSRC2:TIDIG_COMP_CNT: 0
	.section	.text._ZL15flash_attn_tileILi72ELi72ELi8ELi1ELb1EEvPKcS1_S1_S1_S1_PKiPfP15HIP_vector_typeIfLj2EEffffjfiS5_IjLj3EEiiiiiiiiiiiliiliiiiil,"axG",@progbits,_ZL15flash_attn_tileILi72ELi72ELi8ELi1ELb1EEvPKcS1_S1_S1_S1_PKiPfP15HIP_vector_typeIfLj2EEffffjfiS5_IjLj3EEiiiiiiiiiiiliiliiiiil,comdat
	.globl	_ZL15flash_attn_tileILi72ELi72ELi8ELi1ELb1EEvPKcS1_S1_S1_S1_PKiPfP15HIP_vector_typeIfLj2EEffffjfiS5_IjLj3EEiiiiiiiiiiiliiliiiiil ; -- Begin function _ZL15flash_attn_tileILi72ELi72ELi8ELi1ELb1EEvPKcS1_S1_S1_S1_PKiPfP15HIP_vector_typeIfLj2EEffffjfiS5_IjLj3EEiiiiiiiiiiiliiliiiiil
	.p2align	8
	.type	_ZL15flash_attn_tileILi72ELi72ELi8ELi1ELb1EEvPKcS1_S1_S1_S1_PKiPfP15HIP_vector_typeIfLj2EEffffjfiS5_IjLj3EEiiiiiiiiiiiliiliiiiil,@function
_ZL15flash_attn_tileILi72ELi72ELi8ELi1ELb1EEvPKcS1_S1_S1_S1_PKiPfP15HIP_vector_typeIfLj2EEffffjfiS5_IjLj3EEiiiiiiiiiiiliiliiiiil: ; @_ZL15flash_attn_tileILi72ELi72ELi8ELi1ELb1EEvPKcS1_S1_S1_S1_PKiPfP15HIP_vector_typeIfLj2EEffffjfiS5_IjLj3EEiiiiiiiiiiiliiliiiiil
; %bb.0:
	s_add_u32 s0, s0, s7
	s_addc_u32 s1, s1, 0
	s_add_u32 s8, s4, 0xd0
	s_addc_u32 s9, s5, 0
	s_getpc_b64 s[4:5]
	s_add_u32 s4, s4, _ZL14no_device_codePKciS0_iS0_@rel32@lo+4
	s_addc_u32 s5, s5, _ZL14no_device_codePKciS0_iS0_@rel32@hi+12
	s_mov_b32 s32, 0
	s_swappc_b64 s[30:31], s[4:5]
	.section	.rodata,"a",@progbits
	.p2align	6, 0x0
	.amdhsa_kernel _ZL15flash_attn_tileILi72ELi72ELi8ELi1ELb1EEvPKcS1_S1_S1_S1_PKiPfP15HIP_vector_typeIfLj2EEffffjfiS5_IjLj3EEiiiiiiiiiiiliiliiiiil
		.amdhsa_group_segment_fixed_size 0
		.amdhsa_private_segment_fixed_size 16
		.amdhsa_kernarg_size 464
		.amdhsa_user_sgpr_count 6
		.amdhsa_user_sgpr_private_segment_buffer 1
		.amdhsa_user_sgpr_dispatch_ptr 0
		.amdhsa_user_sgpr_queue_ptr 0
		.amdhsa_user_sgpr_kernarg_segment_ptr 1
		.amdhsa_user_sgpr_dispatch_id 0
		.amdhsa_user_sgpr_flat_scratch_init 0
		.amdhsa_user_sgpr_private_segment_size 0
		.amdhsa_wavefront_size32 1
		.amdhsa_uses_dynamic_stack 0
		.amdhsa_system_sgpr_private_segment_wavefront_offset 1
		.amdhsa_system_sgpr_workgroup_id_x 1
		.amdhsa_system_sgpr_workgroup_id_y 0
		.amdhsa_system_sgpr_workgroup_id_z 0
		.amdhsa_system_sgpr_workgroup_info 0
		.amdhsa_system_vgpr_workitem_id 0
		.amdhsa_next_free_vgpr 40
		.amdhsa_next_free_sgpr 34
		.amdhsa_reserve_vcc 1
		.amdhsa_reserve_flat_scratch 0
		.amdhsa_float_round_mode_32 0
		.amdhsa_float_round_mode_16_64 0
		.amdhsa_float_denorm_mode_32 3
		.amdhsa_float_denorm_mode_16_64 3
		.amdhsa_dx10_clamp 1
		.amdhsa_ieee_mode 1
		.amdhsa_fp16_overflow 0
		.amdhsa_workgroup_processor_mode 1
		.amdhsa_memory_ordered 1
		.amdhsa_forward_progress 1
		.amdhsa_shared_vgpr_count 0
		.amdhsa_exception_fp_ieee_invalid_op 0
		.amdhsa_exception_fp_denorm_src 0
		.amdhsa_exception_fp_ieee_div_zero 0
		.amdhsa_exception_fp_ieee_overflow 0
		.amdhsa_exception_fp_ieee_underflow 0
		.amdhsa_exception_fp_ieee_inexact 0
		.amdhsa_exception_int_div_zero 0
	.end_amdhsa_kernel
	.section	.text._ZL15flash_attn_tileILi72ELi72ELi8ELi1ELb1EEvPKcS1_S1_S1_S1_PKiPfP15HIP_vector_typeIfLj2EEffffjfiS5_IjLj3EEiiiiiiiiiiiliiliiiiil,"axG",@progbits,_ZL15flash_attn_tileILi72ELi72ELi8ELi1ELb1EEvPKcS1_S1_S1_S1_PKiPfP15HIP_vector_typeIfLj2EEffffjfiS5_IjLj3EEiiiiiiiiiiiliiliiiiil,comdat
.Lfunc_end92:
	.size	_ZL15flash_attn_tileILi72ELi72ELi8ELi1ELb1EEvPKcS1_S1_S1_S1_PKiPfP15HIP_vector_typeIfLj2EEffffjfiS5_IjLj3EEiiiiiiiiiiiliiliiiiil, .Lfunc_end92-_ZL15flash_attn_tileILi72ELi72ELi8ELi1ELb1EEvPKcS1_S1_S1_S1_PKiPfP15HIP_vector_typeIfLj2EEffffjfiS5_IjLj3EEiiiiiiiiiiiliiliiiiil
                                        ; -- End function
	.set _ZL15flash_attn_tileILi72ELi72ELi8ELi1ELb1EEvPKcS1_S1_S1_S1_PKiPfP15HIP_vector_typeIfLj2EEffffjfiS5_IjLj3EEiiiiiiiiiiiliiliiiiil.num_vgpr, max(0, .L_ZL14no_device_codePKciS0_iS0_.num_vgpr)
	.set _ZL15flash_attn_tileILi72ELi72ELi8ELi1ELb1EEvPKcS1_S1_S1_S1_PKiPfP15HIP_vector_typeIfLj2EEffffjfiS5_IjLj3EEiiiiiiiiiiiliiliiiiil.num_agpr, max(0, .L_ZL14no_device_codePKciS0_iS0_.num_agpr)
	.set _ZL15flash_attn_tileILi72ELi72ELi8ELi1ELb1EEvPKcS1_S1_S1_S1_PKiPfP15HIP_vector_typeIfLj2EEffffjfiS5_IjLj3EEiiiiiiiiiiiliiliiiiil.numbered_sgpr, max(33, .L_ZL14no_device_codePKciS0_iS0_.numbered_sgpr)
	.set _ZL15flash_attn_tileILi72ELi72ELi8ELi1ELb1EEvPKcS1_S1_S1_S1_PKiPfP15HIP_vector_typeIfLj2EEffffjfiS5_IjLj3EEiiiiiiiiiiiliiliiiiil.num_named_barrier, max(0, .L_ZL14no_device_codePKciS0_iS0_.num_named_barrier)
	.set _ZL15flash_attn_tileILi72ELi72ELi8ELi1ELb1EEvPKcS1_S1_S1_S1_PKiPfP15HIP_vector_typeIfLj2EEffffjfiS5_IjLj3EEiiiiiiiiiiiliiliiiiil.private_seg_size, 0+max(.L_ZL14no_device_codePKciS0_iS0_.private_seg_size)
	.set _ZL15flash_attn_tileILi72ELi72ELi8ELi1ELb1EEvPKcS1_S1_S1_S1_PKiPfP15HIP_vector_typeIfLj2EEffffjfiS5_IjLj3EEiiiiiiiiiiiliiliiiiil.uses_vcc, or(1, .L_ZL14no_device_codePKciS0_iS0_.uses_vcc)
	.set _ZL15flash_attn_tileILi72ELi72ELi8ELi1ELb1EEvPKcS1_S1_S1_S1_PKiPfP15HIP_vector_typeIfLj2EEffffjfiS5_IjLj3EEiiiiiiiiiiiliiliiiiil.uses_flat_scratch, or(0, .L_ZL14no_device_codePKciS0_iS0_.uses_flat_scratch)
	.set _ZL15flash_attn_tileILi72ELi72ELi8ELi1ELb1EEvPKcS1_S1_S1_S1_PKiPfP15HIP_vector_typeIfLj2EEffffjfiS5_IjLj3EEiiiiiiiiiiiliiliiiiil.has_dyn_sized_stack, or(0, .L_ZL14no_device_codePKciS0_iS0_.has_dyn_sized_stack)
	.set _ZL15flash_attn_tileILi72ELi72ELi8ELi1ELb1EEvPKcS1_S1_S1_S1_PKiPfP15HIP_vector_typeIfLj2EEffffjfiS5_IjLj3EEiiiiiiiiiiiliiliiiiil.has_recursion, or(0, .L_ZL14no_device_codePKciS0_iS0_.has_recursion)
	.set _ZL15flash_attn_tileILi72ELi72ELi8ELi1ELb1EEvPKcS1_S1_S1_S1_PKiPfP15HIP_vector_typeIfLj2EEffffjfiS5_IjLj3EEiiiiiiiiiiiliiliiiiil.has_indirect_call, or(0, .L_ZL14no_device_codePKciS0_iS0_.has_indirect_call)
	.section	.AMDGPU.csdata,"",@progbits
; Kernel info:
; codeLenInByte = 48
; TotalNumSgprs: 36
; NumVgprs: 40
; ScratchSize: 16
; MemoryBound: 0
; FloatMode: 240
; IeeeMode: 1
; LDSByteSize: 0 bytes/workgroup (compile time only)
; SGPRBlocks: 0
; VGPRBlocks: 4
; NumSGPRsForWavesPerEU: 36
; NumVGPRsForWavesPerEU: 40
; Occupancy: 16
; WaveLimiterHint : 1
; COMPUTE_PGM_RSRC2:SCRATCH_EN: 1
; COMPUTE_PGM_RSRC2:USER_SGPR: 6
; COMPUTE_PGM_RSRC2:TRAP_HANDLER: 0
; COMPUTE_PGM_RSRC2:TGID_X_EN: 1
; COMPUTE_PGM_RSRC2:TGID_Y_EN: 0
; COMPUTE_PGM_RSRC2:TGID_Z_EN: 0
; COMPUTE_PGM_RSRC2:TIDIG_COMP_CNT: 0
	.section	.text._ZL15flash_attn_tileILi72ELi72ELi4ELi1ELb1EEvPKcS1_S1_S1_S1_PKiPfP15HIP_vector_typeIfLj2EEffffjfiS5_IjLj3EEiiiiiiiiiiiliiliiiiil,"axG",@progbits,_ZL15flash_attn_tileILi72ELi72ELi4ELi1ELb1EEvPKcS1_S1_S1_S1_PKiPfP15HIP_vector_typeIfLj2EEffffjfiS5_IjLj3EEiiiiiiiiiiiliiliiiiil,comdat
	.globl	_ZL15flash_attn_tileILi72ELi72ELi4ELi1ELb1EEvPKcS1_S1_S1_S1_PKiPfP15HIP_vector_typeIfLj2EEffffjfiS5_IjLj3EEiiiiiiiiiiiliiliiiiil ; -- Begin function _ZL15flash_attn_tileILi72ELi72ELi4ELi1ELb1EEvPKcS1_S1_S1_S1_PKiPfP15HIP_vector_typeIfLj2EEffffjfiS5_IjLj3EEiiiiiiiiiiiliiliiiiil
	.p2align	8
	.type	_ZL15flash_attn_tileILi72ELi72ELi4ELi1ELb1EEvPKcS1_S1_S1_S1_PKiPfP15HIP_vector_typeIfLj2EEffffjfiS5_IjLj3EEiiiiiiiiiiiliiliiiiil,@function
_ZL15flash_attn_tileILi72ELi72ELi4ELi1ELb1EEvPKcS1_S1_S1_S1_PKiPfP15HIP_vector_typeIfLj2EEffffjfiS5_IjLj3EEiiiiiiiiiiiliiliiiiil: ; @_ZL15flash_attn_tileILi72ELi72ELi4ELi1ELb1EEvPKcS1_S1_S1_S1_PKiPfP15HIP_vector_typeIfLj2EEffffjfiS5_IjLj3EEiiiiiiiiiiiliiliiiiil
; %bb.0:
	s_add_u32 s0, s0, s7
	s_addc_u32 s1, s1, 0
	s_add_u32 s8, s4, 0xd0
	s_addc_u32 s9, s5, 0
	s_getpc_b64 s[4:5]
	s_add_u32 s4, s4, _ZL14no_device_codePKciS0_iS0_@rel32@lo+4
	s_addc_u32 s5, s5, _ZL14no_device_codePKciS0_iS0_@rel32@hi+12
	s_mov_b32 s32, 0
	s_swappc_b64 s[30:31], s[4:5]
	.section	.rodata,"a",@progbits
	.p2align	6, 0x0
	.amdhsa_kernel _ZL15flash_attn_tileILi72ELi72ELi4ELi1ELb1EEvPKcS1_S1_S1_S1_PKiPfP15HIP_vector_typeIfLj2EEffffjfiS5_IjLj3EEiiiiiiiiiiiliiliiiiil
		.amdhsa_group_segment_fixed_size 0
		.amdhsa_private_segment_fixed_size 16
		.amdhsa_kernarg_size 464
		.amdhsa_user_sgpr_count 6
		.amdhsa_user_sgpr_private_segment_buffer 1
		.amdhsa_user_sgpr_dispatch_ptr 0
		.amdhsa_user_sgpr_queue_ptr 0
		.amdhsa_user_sgpr_kernarg_segment_ptr 1
		.amdhsa_user_sgpr_dispatch_id 0
		.amdhsa_user_sgpr_flat_scratch_init 0
		.amdhsa_user_sgpr_private_segment_size 0
		.amdhsa_wavefront_size32 1
		.amdhsa_uses_dynamic_stack 0
		.amdhsa_system_sgpr_private_segment_wavefront_offset 1
		.amdhsa_system_sgpr_workgroup_id_x 1
		.amdhsa_system_sgpr_workgroup_id_y 0
		.amdhsa_system_sgpr_workgroup_id_z 0
		.amdhsa_system_sgpr_workgroup_info 0
		.amdhsa_system_vgpr_workitem_id 0
		.amdhsa_next_free_vgpr 40
		.amdhsa_next_free_sgpr 34
		.amdhsa_reserve_vcc 1
		.amdhsa_reserve_flat_scratch 0
		.amdhsa_float_round_mode_32 0
		.amdhsa_float_round_mode_16_64 0
		.amdhsa_float_denorm_mode_32 3
		.amdhsa_float_denorm_mode_16_64 3
		.amdhsa_dx10_clamp 1
		.amdhsa_ieee_mode 1
		.amdhsa_fp16_overflow 0
		.amdhsa_workgroup_processor_mode 1
		.amdhsa_memory_ordered 1
		.amdhsa_forward_progress 1
		.amdhsa_shared_vgpr_count 0
		.amdhsa_exception_fp_ieee_invalid_op 0
		.amdhsa_exception_fp_denorm_src 0
		.amdhsa_exception_fp_ieee_div_zero 0
		.amdhsa_exception_fp_ieee_overflow 0
		.amdhsa_exception_fp_ieee_underflow 0
		.amdhsa_exception_fp_ieee_inexact 0
		.amdhsa_exception_int_div_zero 0
	.end_amdhsa_kernel
	.section	.text._ZL15flash_attn_tileILi72ELi72ELi4ELi1ELb1EEvPKcS1_S1_S1_S1_PKiPfP15HIP_vector_typeIfLj2EEffffjfiS5_IjLj3EEiiiiiiiiiiiliiliiiiil,"axG",@progbits,_ZL15flash_attn_tileILi72ELi72ELi4ELi1ELb1EEvPKcS1_S1_S1_S1_PKiPfP15HIP_vector_typeIfLj2EEffffjfiS5_IjLj3EEiiiiiiiiiiiliiliiiiil,comdat
.Lfunc_end93:
	.size	_ZL15flash_attn_tileILi72ELi72ELi4ELi1ELb1EEvPKcS1_S1_S1_S1_PKiPfP15HIP_vector_typeIfLj2EEffffjfiS5_IjLj3EEiiiiiiiiiiiliiliiiiil, .Lfunc_end93-_ZL15flash_attn_tileILi72ELi72ELi4ELi1ELb1EEvPKcS1_S1_S1_S1_PKiPfP15HIP_vector_typeIfLj2EEffffjfiS5_IjLj3EEiiiiiiiiiiiliiliiiiil
                                        ; -- End function
	.set _ZL15flash_attn_tileILi72ELi72ELi4ELi1ELb1EEvPKcS1_S1_S1_S1_PKiPfP15HIP_vector_typeIfLj2EEffffjfiS5_IjLj3EEiiiiiiiiiiiliiliiiiil.num_vgpr, max(0, .L_ZL14no_device_codePKciS0_iS0_.num_vgpr)
	.set _ZL15flash_attn_tileILi72ELi72ELi4ELi1ELb1EEvPKcS1_S1_S1_S1_PKiPfP15HIP_vector_typeIfLj2EEffffjfiS5_IjLj3EEiiiiiiiiiiiliiliiiiil.num_agpr, max(0, .L_ZL14no_device_codePKciS0_iS0_.num_agpr)
	.set _ZL15flash_attn_tileILi72ELi72ELi4ELi1ELb1EEvPKcS1_S1_S1_S1_PKiPfP15HIP_vector_typeIfLj2EEffffjfiS5_IjLj3EEiiiiiiiiiiiliiliiiiil.numbered_sgpr, max(33, .L_ZL14no_device_codePKciS0_iS0_.numbered_sgpr)
	.set _ZL15flash_attn_tileILi72ELi72ELi4ELi1ELb1EEvPKcS1_S1_S1_S1_PKiPfP15HIP_vector_typeIfLj2EEffffjfiS5_IjLj3EEiiiiiiiiiiiliiliiiiil.num_named_barrier, max(0, .L_ZL14no_device_codePKciS0_iS0_.num_named_barrier)
	.set _ZL15flash_attn_tileILi72ELi72ELi4ELi1ELb1EEvPKcS1_S1_S1_S1_PKiPfP15HIP_vector_typeIfLj2EEffffjfiS5_IjLj3EEiiiiiiiiiiiliiliiiiil.private_seg_size, 0+max(.L_ZL14no_device_codePKciS0_iS0_.private_seg_size)
	.set _ZL15flash_attn_tileILi72ELi72ELi4ELi1ELb1EEvPKcS1_S1_S1_S1_PKiPfP15HIP_vector_typeIfLj2EEffffjfiS5_IjLj3EEiiiiiiiiiiiliiliiiiil.uses_vcc, or(1, .L_ZL14no_device_codePKciS0_iS0_.uses_vcc)
	.set _ZL15flash_attn_tileILi72ELi72ELi4ELi1ELb1EEvPKcS1_S1_S1_S1_PKiPfP15HIP_vector_typeIfLj2EEffffjfiS5_IjLj3EEiiiiiiiiiiiliiliiiiil.uses_flat_scratch, or(0, .L_ZL14no_device_codePKciS0_iS0_.uses_flat_scratch)
	.set _ZL15flash_attn_tileILi72ELi72ELi4ELi1ELb1EEvPKcS1_S1_S1_S1_PKiPfP15HIP_vector_typeIfLj2EEffffjfiS5_IjLj3EEiiiiiiiiiiiliiliiiiil.has_dyn_sized_stack, or(0, .L_ZL14no_device_codePKciS0_iS0_.has_dyn_sized_stack)
	.set _ZL15flash_attn_tileILi72ELi72ELi4ELi1ELb1EEvPKcS1_S1_S1_S1_PKiPfP15HIP_vector_typeIfLj2EEffffjfiS5_IjLj3EEiiiiiiiiiiiliiliiiiil.has_recursion, or(0, .L_ZL14no_device_codePKciS0_iS0_.has_recursion)
	.set _ZL15flash_attn_tileILi72ELi72ELi4ELi1ELb1EEvPKcS1_S1_S1_S1_PKiPfP15HIP_vector_typeIfLj2EEffffjfiS5_IjLj3EEiiiiiiiiiiiliiliiiiil.has_indirect_call, or(0, .L_ZL14no_device_codePKciS0_iS0_.has_indirect_call)
	.section	.AMDGPU.csdata,"",@progbits
; Kernel info:
; codeLenInByte = 48
; TotalNumSgprs: 36
; NumVgprs: 40
; ScratchSize: 16
; MemoryBound: 0
; FloatMode: 240
; IeeeMode: 1
; LDSByteSize: 0 bytes/workgroup (compile time only)
; SGPRBlocks: 0
; VGPRBlocks: 4
; NumSGPRsForWavesPerEU: 36
; NumVGPRsForWavesPerEU: 40
; Occupancy: 16
; WaveLimiterHint : 1
; COMPUTE_PGM_RSRC2:SCRATCH_EN: 1
; COMPUTE_PGM_RSRC2:USER_SGPR: 6
; COMPUTE_PGM_RSRC2:TRAP_HANDLER: 0
; COMPUTE_PGM_RSRC2:TGID_X_EN: 1
; COMPUTE_PGM_RSRC2:TGID_Y_EN: 0
; COMPUTE_PGM_RSRC2:TGID_Z_EN: 0
; COMPUTE_PGM_RSRC2:TIDIG_COMP_CNT: 0
	.section	.text._ZL15flash_attn_tileILi72ELi72ELi2ELi1ELb1EEvPKcS1_S1_S1_S1_PKiPfP15HIP_vector_typeIfLj2EEffffjfiS5_IjLj3EEiiiiiiiiiiiliiliiiiil,"axG",@progbits,_ZL15flash_attn_tileILi72ELi72ELi2ELi1ELb1EEvPKcS1_S1_S1_S1_PKiPfP15HIP_vector_typeIfLj2EEffffjfiS5_IjLj3EEiiiiiiiiiiiliiliiiiil,comdat
	.globl	_ZL15flash_attn_tileILi72ELi72ELi2ELi1ELb1EEvPKcS1_S1_S1_S1_PKiPfP15HIP_vector_typeIfLj2EEffffjfiS5_IjLj3EEiiiiiiiiiiiliiliiiiil ; -- Begin function _ZL15flash_attn_tileILi72ELi72ELi2ELi1ELb1EEvPKcS1_S1_S1_S1_PKiPfP15HIP_vector_typeIfLj2EEffffjfiS5_IjLj3EEiiiiiiiiiiiliiliiiiil
	.p2align	8
	.type	_ZL15flash_attn_tileILi72ELi72ELi2ELi1ELb1EEvPKcS1_S1_S1_S1_PKiPfP15HIP_vector_typeIfLj2EEffffjfiS5_IjLj3EEiiiiiiiiiiiliiliiiiil,@function
_ZL15flash_attn_tileILi72ELi72ELi2ELi1ELb1EEvPKcS1_S1_S1_S1_PKiPfP15HIP_vector_typeIfLj2EEffffjfiS5_IjLj3EEiiiiiiiiiiiliiliiiiil: ; @_ZL15flash_attn_tileILi72ELi72ELi2ELi1ELb1EEvPKcS1_S1_S1_S1_PKiPfP15HIP_vector_typeIfLj2EEffffjfiS5_IjLj3EEiiiiiiiiiiiliiliiiiil
; %bb.0:
	s_add_u32 s0, s0, s7
	s_addc_u32 s1, s1, 0
	s_add_u32 s8, s4, 0xd0
	s_addc_u32 s9, s5, 0
	s_getpc_b64 s[4:5]
	s_add_u32 s4, s4, _ZL14no_device_codePKciS0_iS0_@rel32@lo+4
	s_addc_u32 s5, s5, _ZL14no_device_codePKciS0_iS0_@rel32@hi+12
	s_mov_b32 s32, 0
	s_swappc_b64 s[30:31], s[4:5]
	.section	.rodata,"a",@progbits
	.p2align	6, 0x0
	.amdhsa_kernel _ZL15flash_attn_tileILi72ELi72ELi2ELi1ELb1EEvPKcS1_S1_S1_S1_PKiPfP15HIP_vector_typeIfLj2EEffffjfiS5_IjLj3EEiiiiiiiiiiiliiliiiiil
		.amdhsa_group_segment_fixed_size 0
		.amdhsa_private_segment_fixed_size 16
		.amdhsa_kernarg_size 464
		.amdhsa_user_sgpr_count 6
		.amdhsa_user_sgpr_private_segment_buffer 1
		.amdhsa_user_sgpr_dispatch_ptr 0
		.amdhsa_user_sgpr_queue_ptr 0
		.amdhsa_user_sgpr_kernarg_segment_ptr 1
		.amdhsa_user_sgpr_dispatch_id 0
		.amdhsa_user_sgpr_flat_scratch_init 0
		.amdhsa_user_sgpr_private_segment_size 0
		.amdhsa_wavefront_size32 1
		.amdhsa_uses_dynamic_stack 0
		.amdhsa_system_sgpr_private_segment_wavefront_offset 1
		.amdhsa_system_sgpr_workgroup_id_x 1
		.amdhsa_system_sgpr_workgroup_id_y 0
		.amdhsa_system_sgpr_workgroup_id_z 0
		.amdhsa_system_sgpr_workgroup_info 0
		.amdhsa_system_vgpr_workitem_id 0
		.amdhsa_next_free_vgpr 40
		.amdhsa_next_free_sgpr 34
		.amdhsa_reserve_vcc 1
		.amdhsa_reserve_flat_scratch 0
		.amdhsa_float_round_mode_32 0
		.amdhsa_float_round_mode_16_64 0
		.amdhsa_float_denorm_mode_32 3
		.amdhsa_float_denorm_mode_16_64 3
		.amdhsa_dx10_clamp 1
		.amdhsa_ieee_mode 1
		.amdhsa_fp16_overflow 0
		.amdhsa_workgroup_processor_mode 1
		.amdhsa_memory_ordered 1
		.amdhsa_forward_progress 1
		.amdhsa_shared_vgpr_count 0
		.amdhsa_exception_fp_ieee_invalid_op 0
		.amdhsa_exception_fp_denorm_src 0
		.amdhsa_exception_fp_ieee_div_zero 0
		.amdhsa_exception_fp_ieee_overflow 0
		.amdhsa_exception_fp_ieee_underflow 0
		.amdhsa_exception_fp_ieee_inexact 0
		.amdhsa_exception_int_div_zero 0
	.end_amdhsa_kernel
	.section	.text._ZL15flash_attn_tileILi72ELi72ELi2ELi1ELb1EEvPKcS1_S1_S1_S1_PKiPfP15HIP_vector_typeIfLj2EEffffjfiS5_IjLj3EEiiiiiiiiiiiliiliiiiil,"axG",@progbits,_ZL15flash_attn_tileILi72ELi72ELi2ELi1ELb1EEvPKcS1_S1_S1_S1_PKiPfP15HIP_vector_typeIfLj2EEffffjfiS5_IjLj3EEiiiiiiiiiiiliiliiiiil,comdat
.Lfunc_end94:
	.size	_ZL15flash_attn_tileILi72ELi72ELi2ELi1ELb1EEvPKcS1_S1_S1_S1_PKiPfP15HIP_vector_typeIfLj2EEffffjfiS5_IjLj3EEiiiiiiiiiiiliiliiiiil, .Lfunc_end94-_ZL15flash_attn_tileILi72ELi72ELi2ELi1ELb1EEvPKcS1_S1_S1_S1_PKiPfP15HIP_vector_typeIfLj2EEffffjfiS5_IjLj3EEiiiiiiiiiiiliiliiiiil
                                        ; -- End function
	.set _ZL15flash_attn_tileILi72ELi72ELi2ELi1ELb1EEvPKcS1_S1_S1_S1_PKiPfP15HIP_vector_typeIfLj2EEffffjfiS5_IjLj3EEiiiiiiiiiiiliiliiiiil.num_vgpr, max(0, .L_ZL14no_device_codePKciS0_iS0_.num_vgpr)
	.set _ZL15flash_attn_tileILi72ELi72ELi2ELi1ELb1EEvPKcS1_S1_S1_S1_PKiPfP15HIP_vector_typeIfLj2EEffffjfiS5_IjLj3EEiiiiiiiiiiiliiliiiiil.num_agpr, max(0, .L_ZL14no_device_codePKciS0_iS0_.num_agpr)
	.set _ZL15flash_attn_tileILi72ELi72ELi2ELi1ELb1EEvPKcS1_S1_S1_S1_PKiPfP15HIP_vector_typeIfLj2EEffffjfiS5_IjLj3EEiiiiiiiiiiiliiliiiiil.numbered_sgpr, max(33, .L_ZL14no_device_codePKciS0_iS0_.numbered_sgpr)
	.set _ZL15flash_attn_tileILi72ELi72ELi2ELi1ELb1EEvPKcS1_S1_S1_S1_PKiPfP15HIP_vector_typeIfLj2EEffffjfiS5_IjLj3EEiiiiiiiiiiiliiliiiiil.num_named_barrier, max(0, .L_ZL14no_device_codePKciS0_iS0_.num_named_barrier)
	.set _ZL15flash_attn_tileILi72ELi72ELi2ELi1ELb1EEvPKcS1_S1_S1_S1_PKiPfP15HIP_vector_typeIfLj2EEffffjfiS5_IjLj3EEiiiiiiiiiiiliiliiiiil.private_seg_size, 0+max(.L_ZL14no_device_codePKciS0_iS0_.private_seg_size)
	.set _ZL15flash_attn_tileILi72ELi72ELi2ELi1ELb1EEvPKcS1_S1_S1_S1_PKiPfP15HIP_vector_typeIfLj2EEffffjfiS5_IjLj3EEiiiiiiiiiiiliiliiiiil.uses_vcc, or(1, .L_ZL14no_device_codePKciS0_iS0_.uses_vcc)
	.set _ZL15flash_attn_tileILi72ELi72ELi2ELi1ELb1EEvPKcS1_S1_S1_S1_PKiPfP15HIP_vector_typeIfLj2EEffffjfiS5_IjLj3EEiiiiiiiiiiiliiliiiiil.uses_flat_scratch, or(0, .L_ZL14no_device_codePKciS0_iS0_.uses_flat_scratch)
	.set _ZL15flash_attn_tileILi72ELi72ELi2ELi1ELb1EEvPKcS1_S1_S1_S1_PKiPfP15HIP_vector_typeIfLj2EEffffjfiS5_IjLj3EEiiiiiiiiiiiliiliiiiil.has_dyn_sized_stack, or(0, .L_ZL14no_device_codePKciS0_iS0_.has_dyn_sized_stack)
	.set _ZL15flash_attn_tileILi72ELi72ELi2ELi1ELb1EEvPKcS1_S1_S1_S1_PKiPfP15HIP_vector_typeIfLj2EEffffjfiS5_IjLj3EEiiiiiiiiiiiliiliiiiil.has_recursion, or(0, .L_ZL14no_device_codePKciS0_iS0_.has_recursion)
	.set _ZL15flash_attn_tileILi72ELi72ELi2ELi1ELb1EEvPKcS1_S1_S1_S1_PKiPfP15HIP_vector_typeIfLj2EEffffjfiS5_IjLj3EEiiiiiiiiiiiliiliiiiil.has_indirect_call, or(0, .L_ZL14no_device_codePKciS0_iS0_.has_indirect_call)
	.section	.AMDGPU.csdata,"",@progbits
; Kernel info:
; codeLenInByte = 48
; TotalNumSgprs: 36
; NumVgprs: 40
; ScratchSize: 16
; MemoryBound: 0
; FloatMode: 240
; IeeeMode: 1
; LDSByteSize: 0 bytes/workgroup (compile time only)
; SGPRBlocks: 0
; VGPRBlocks: 4
; NumSGPRsForWavesPerEU: 36
; NumVGPRsForWavesPerEU: 40
; Occupancy: 16
; WaveLimiterHint : 1
; COMPUTE_PGM_RSRC2:SCRATCH_EN: 1
; COMPUTE_PGM_RSRC2:USER_SGPR: 6
; COMPUTE_PGM_RSRC2:TRAP_HANDLER: 0
; COMPUTE_PGM_RSRC2:TGID_X_EN: 1
; COMPUTE_PGM_RSRC2:TGID_Y_EN: 0
; COMPUTE_PGM_RSRC2:TGID_Z_EN: 0
; COMPUTE_PGM_RSRC2:TIDIG_COMP_CNT: 0
	.text
	.p2alignl 6, 3214868480
	.fill 48, 4, 3214868480
	.section	.AMDGPU.gpr_maximums,"",@progbits
	.set amdgpu.max_num_vgpr, 40
	.set amdgpu.max_num_agpr, 0
	.set amdgpu.max_num_sgpr, 34
	.text
	.type	.str.3,@object                  ; @.str.3
	.section	.rodata.str1.1,"aMS",@progbits,1
.str.3:
	.asciz	"/root/src/amdgpu-assembly/repos/ggml-org__llama.cpp/ggml/src/ggml-cuda/template-instances/../fattn-tile.cuh"
	.size	.str.3, 108

	.type	__FUNCTION__._ZL15flash_attn_tileILi72ELi72ELi8ELi8ELb1EEvPKcS1_S1_S1_S1_PKiPfP15HIP_vector_typeIfLj2EEffffjfiS5_IjLj3EEiiiiiiiiiiiliiliiiiil,@object ; @__FUNCTION__._ZL15flash_attn_tileILi72ELi72ELi8ELi8ELb1EEvPKcS1_S1_S1_S1_PKiPfP15HIP_vector_typeIfLj2EEffffjfiS5_IjLj3EEiiiiiiiiiiiliiliiiiil
__FUNCTION__._ZL15flash_attn_tileILi72ELi72ELi8ELi8ELb1EEvPKcS1_S1_S1_S1_PKiPfP15HIP_vector_typeIfLj2EEffffjfiS5_IjLj3EEiiiiiiiiiiiliiliiiiil:
	.asciz	"flash_attn_tile"
	.size	__FUNCTION__._ZL15flash_attn_tileILi72ELi72ELi8ELi8ELb1EEvPKcS1_S1_S1_S1_PKiPfP15HIP_vector_typeIfLj2EEffffjfiS5_IjLj3EEiiiiiiiiiiiliiliiiiil, 16

	.type	.str.5,@object                  ; @.str.5
.str.5:
	.asciz	"%s:%d: ERROR: HIP kernel %s has no device code compatible with HIP arch %d.\n"
	.size	.str.5, 77

	.type	__hip_cuid_28592e446e2f4494,@object ; @__hip_cuid_28592e446e2f4494
	.section	.bss,"aw",@nobits
	.globl	__hip_cuid_28592e446e2f4494
__hip_cuid_28592e446e2f4494:
	.byte	0                               ; 0x0
	.size	__hip_cuid_28592e446e2f4494, 1

	.ident	"AMD clang version 22.0.0git (https://github.com/RadeonOpenCompute/llvm-project roc-7.2.4 26084 f58b06dce1f9c15707c5f808fd002e18c2accf7e)"
	.section	".note.GNU-stack","",@progbits
	.addrsig
	.addrsig_sym __hip_cuid_28592e446e2f4494
	.amdgpu_metadata
---
amdhsa.kernels:
  - .args:
      - .address_space:  global
        .offset:         0
        .size:           8
        .value_kind:     global_buffer
      - .address_space:  global
        .offset:         8
        .size:           8
        .value_kind:     global_buffer
      - .address_space:  global
        .offset:         16
        .size:           8
        .value_kind:     global_buffer
      - .address_space:  global
        .offset:         24
        .size:           8
        .value_kind:     global_buffer
      - .address_space:  global
        .offset:         32
        .size:           8
        .value_kind:     global_buffer
      - .address_space:  global
        .offset:         40
        .size:           8
        .value_kind:     global_buffer
      - .address_space:  global
        .offset:         48
        .size:           8
        .value_kind:     global_buffer
      - .address_space:  global
        .offset:         56
        .size:           8
        .value_kind:     global_buffer
      - .offset:         64
        .size:           4
        .value_kind:     by_value
      - .offset:         68
        .size:           4
        .value_kind:     by_value
      - .offset:         72
        .size:           4
        .value_kind:     by_value
      - .offset:         76
        .size:           4
        .value_kind:     by_value
      - .offset:         80
        .size:           4
        .value_kind:     by_value
      - .offset:         84
        .size:           4
        .value_kind:     by_value
      - .offset:         88
        .size:           4
        .value_kind:     by_value
      - .offset:         92
        .size:           12
        .value_kind:     by_value
      - .offset:         104
        .size:           4
        .value_kind:     by_value
      - .offset:         108
        .size:           4
        .value_kind:     by_value
      - .offset:         112
        .size:           4
        .value_kind:     by_value
      - .offset:         116
        .size:           4
        .value_kind:     by_value
      - .offset:         120
        .size:           4
        .value_kind:     by_value
      - .offset:         124
        .size:           4
        .value_kind:     by_value
      - .offset:         128
        .size:           4
        .value_kind:     by_value
      - .offset:         132
        .size:           4
        .value_kind:     by_value
      - .offset:         136
        .size:           4
        .value_kind:     by_value
      - .offset:         140
        .size:           4
        .value_kind:     by_value
      - .offset:         144
        .size:           4
        .value_kind:     by_value
      - .offset:         152
        .size:           8
        .value_kind:     by_value
      - .offset:         160
        .size:           4
        .value_kind:     by_value
      - .offset:         164
        .size:           4
        .value_kind:     by_value
      - .offset:         168
        .size:           8
        .value_kind:     by_value
      - .offset:         176
        .size:           4
        .value_kind:     by_value
      - .offset:         180
        .size:           4
        .value_kind:     by_value
      - .offset:         184
        .size:           4
        .value_kind:     by_value
      - .offset:         188
        .size:           4
        .value_kind:     by_value
      - .offset:         192
        .size:           4
        .value_kind:     by_value
      - .offset:         200
        .size:           8
        .value_kind:     by_value
      - .offset:         208
        .size:           4
        .value_kind:     hidden_block_count_x
      - .offset:         212
        .size:           4
        .value_kind:     hidden_block_count_y
      - .offset:         216
        .size:           4
        .value_kind:     hidden_block_count_z
      - .offset:         220
        .size:           2
        .value_kind:     hidden_group_size_x
      - .offset:         222
        .size:           2
        .value_kind:     hidden_group_size_y
      - .offset:         224
        .size:           2
        .value_kind:     hidden_group_size_z
      - .offset:         226
        .size:           2
        .value_kind:     hidden_remainder_x
      - .offset:         228
        .size:           2
        .value_kind:     hidden_remainder_y
      - .offset:         230
        .size:           2
        .value_kind:     hidden_remainder_z
      - .offset:         248
        .size:           8
        .value_kind:     hidden_global_offset_x
      - .offset:         256
        .size:           8
        .value_kind:     hidden_global_offset_y
      - .offset:         264
        .size:           8
        .value_kind:     hidden_global_offset_z
      - .offset:         272
        .size:           2
        .value_kind:     hidden_grid_dims
    .group_segment_fixed_size: 18656
    .kernarg_segment_align: 8
    .kernarg_segment_size: 464
    .language:       OpenCL C
    .language_version:
      - 2
      - 0
    .max_flat_workgroup_size: 256
    .name:           _ZL15flash_attn_tileILi72ELi72ELi8ELi8ELb0EEvPKcS1_S1_S1_S1_PKiPfP15HIP_vector_typeIfLj2EEffffjfiS5_IjLj3EEiiiiiiiiiiiliiliiiiil
    .private_segment_fixed_size: 0
    .sgpr_count:     50
    .sgpr_spill_count: 0
    .symbol:         _ZL15flash_attn_tileILi72ELi72ELi8ELi8ELb0EEvPKcS1_S1_S1_S1_PKiPfP15HIP_vector_typeIfLj2EEffffjfiS5_IjLj3EEiiiiiiiiiiiliiliiiiil.kd
    .uniform_work_group_size: 1
    .uses_dynamic_stack: false
    .vgpr_count:     178
    .vgpr_spill_count: 0
    .wavefront_size: 32
    .workgroup_processor_mode: 1
  - .args:
      - .actual_access:  read_only
        .address_space:  global
        .offset:         0
        .size:           8
        .value_kind:     global_buffer
      - .actual_access:  write_only
        .address_space:  global
        .offset:         8
        .size:           8
        .value_kind:     global_buffer
      - .offset:         16
        .size:           4
        .value_kind:     by_value
      - .offset:         20
        .size:           4
        .value_kind:     by_value
      - .offset:         24
        .size:           4
        .value_kind:     by_value
      - .offset:         32
        .size:           4
        .value_kind:     hidden_block_count_x
      - .offset:         36
        .size:           4
        .value_kind:     hidden_block_count_y
      - .offset:         40
        .size:           4
        .value_kind:     hidden_block_count_z
      - .offset:         44
        .size:           2
        .value_kind:     hidden_group_size_x
      - .offset:         46
        .size:           2
        .value_kind:     hidden_group_size_y
      - .offset:         48
        .size:           2
        .value_kind:     hidden_group_size_z
      - .offset:         50
        .size:           2
        .value_kind:     hidden_remainder_x
      - .offset:         52
        .size:           2
        .value_kind:     hidden_remainder_y
      - .offset:         54
        .size:           2
        .value_kind:     hidden_remainder_z
      - .offset:         72
        .size:           8
        .value_kind:     hidden_global_offset_x
      - .offset:         80
        .size:           8
        .value_kind:     hidden_global_offset_y
      - .offset:         88
        .size:           8
        .value_kind:     hidden_global_offset_z
      - .offset:         96
        .size:           2
        .value_kind:     hidden_grid_dims
    .group_segment_fixed_size: 128
    .kernarg_segment_align: 8
    .kernarg_segment_size: 288
    .language:       OpenCL C
    .language_version:
      - 2
      - 0
    .max_flat_workgroup_size: 128
    .name:           _ZL25flash_attn_mask_to_KV_maxILi8EEvPK7__half2Piiii
    .private_segment_fixed_size: 0
    .sgpr_count:     29
    .sgpr_spill_count: 0
    .symbol:         _ZL25flash_attn_mask_to_KV_maxILi8EEvPK7__half2Piiii.kd
    .uniform_work_group_size: 1
    .uses_dynamic_stack: false
    .vgpr_count:     10
    .vgpr_spill_count: 0
    .wavefront_size: 32
    .workgroup_processor_mode: 1
  - .args:
      - .address_space:  global
        .offset:         0
        .size:           8
        .value_kind:     global_buffer
      - .address_space:  global
        .offset:         8
        .size:           8
        .value_kind:     global_buffer
      - .offset:         16
        .size:           4
        .value_kind:     by_value
      - .offset:         20
        .size:           4
        .value_kind:     by_value
      - .offset:         24
        .size:           4
        .value_kind:     by_value
      - .offset:         28
        .size:           4
        .value_kind:     by_value
      - .offset:         32
        .size:           4
        .value_kind:     by_value
      - .offset:         36
        .size:           4
        .value_kind:     by_value
      - .offset:         40
        .size:           12
        .value_kind:     by_value
      - .offset:         52
        .size:           12
        .value_kind:     by_value
      - .offset:         64
        .size:           12
        .value_kind:     by_value
    .group_segment_fixed_size: 0
    .kernarg_segment_align: 8
    .kernarg_segment_size: 76
    .language:       OpenCL C
    .language_version:
      - 2
      - 0
    .max_flat_workgroup_size: 72
    .name:           _ZL33flash_attn_stream_k_fixup_uniformILi72ELi8ELi8EEvPfPK15HIP_vector_typeIfLj2EEiiiiiiS1_IjLj3EES5_S5_
    .private_segment_fixed_size: 0
    .sgpr_count:     26
    .sgpr_spill_count: 0
    .symbol:         _ZL33flash_attn_stream_k_fixup_uniformILi72ELi8ELi8EEvPfPK15HIP_vector_typeIfLj2EEiiiiiiS1_IjLj3EES5_S5_.kd
    .uniform_work_group_size: 1
    .uses_dynamic_stack: false
    .vgpr_count:     15
    .vgpr_spill_count: 0
    .wavefront_size: 32
    .workgroup_processor_mode: 1
  - .args:
      - .address_space:  global
        .offset:         0
        .size:           8
        .value_kind:     global_buffer
      - .address_space:  global
        .offset:         8
        .size:           8
        .value_kind:     global_buffer
      - .offset:         16
        .size:           4
        .value_kind:     by_value
      - .offset:         20
        .size:           4
        .value_kind:     by_value
      - .offset:         24
        .size:           4
        .value_kind:     by_value
      - .offset:         28
        .size:           4
        .value_kind:     by_value
      - .offset:         32
        .size:           12
        .value_kind:     by_value
      - .offset:         44
        .size:           12
        .value_kind:     by_value
      - .offset:         56
        .size:           12
        .value_kind:     by_value
      - .offset:         68
        .size:           12
        .value_kind:     by_value
      - .offset:         80
        .size:           4
        .value_kind:     hidden_block_count_x
      - .offset:         84
        .size:           4
        .value_kind:     hidden_block_count_y
      - .offset:         88
        .size:           4
        .value_kind:     hidden_block_count_z
      - .offset:         92
        .size:           2
        .value_kind:     hidden_group_size_x
      - .offset:         94
        .size:           2
        .value_kind:     hidden_group_size_y
      - .offset:         96
        .size:           2
        .value_kind:     hidden_group_size_z
      - .offset:         98
        .size:           2
        .value_kind:     hidden_remainder_x
      - .offset:         100
        .size:           2
        .value_kind:     hidden_remainder_y
      - .offset:         102
        .size:           2
        .value_kind:     hidden_remainder_z
      - .offset:         120
        .size:           8
        .value_kind:     hidden_global_offset_x
      - .offset:         128
        .size:           8
        .value_kind:     hidden_global_offset_y
      - .offset:         136
        .size:           8
        .value_kind:     hidden_global_offset_z
      - .offset:         144
        .size:           2
        .value_kind:     hidden_grid_dims
    .group_segment_fixed_size: 0
    .kernarg_segment_align: 8
    .kernarg_segment_size: 336
    .language:       OpenCL C
    .language_version:
      - 2
      - 0
    .max_flat_workgroup_size: 72
    .name:           _ZL33flash_attn_stream_k_fixup_generalILi72ELi8ELi8EEvPfPK15HIP_vector_typeIfLj2EEiiiiS1_IjLj3EES5_S5_S5_
    .private_segment_fixed_size: 0
    .sgpr_count:     33
    .sgpr_spill_count: 0
    .symbol:         _ZL33flash_attn_stream_k_fixup_generalILi72ELi8ELi8EEvPfPK15HIP_vector_typeIfLj2EEiiiiS1_IjLj3EES5_S5_S5_.kd
    .uniform_work_group_size: 1
    .uses_dynamic_stack: false
    .vgpr_count:     17
    .vgpr_spill_count: 0
    .wavefront_size: 32
    .workgroup_processor_mode: 1
  - .args:
      - .address_space:  global
        .offset:         0
        .size:           8
        .value_kind:     global_buffer
      - .address_space:  global
        .offset:         8
        .size:           8
        .value_kind:     global_buffer
      - .address_space:  global
        .offset:         16
        .size:           8
        .value_kind:     global_buffer
      - .offset:         24
        .size:           4
        .value_kind:     by_value
      - .offset:         32
        .size:           4
        .value_kind:     hidden_block_count_x
      - .offset:         36
        .size:           4
        .value_kind:     hidden_block_count_y
      - .offset:         40
        .size:           4
        .value_kind:     hidden_block_count_z
      - .offset:         44
        .size:           2
        .value_kind:     hidden_group_size_x
      - .offset:         46
        .size:           2
        .value_kind:     hidden_group_size_y
      - .offset:         48
        .size:           2
        .value_kind:     hidden_group_size_z
      - .offset:         50
        .size:           2
        .value_kind:     hidden_remainder_x
      - .offset:         52
        .size:           2
        .value_kind:     hidden_remainder_y
      - .offset:         54
        .size:           2
        .value_kind:     hidden_remainder_z
      - .offset:         72
        .size:           8
        .value_kind:     hidden_global_offset_x
      - .offset:         80
        .size:           8
        .value_kind:     hidden_global_offset_y
      - .offset:         88
        .size:           8
        .value_kind:     hidden_global_offset_z
      - .offset:         96
        .size:           2
        .value_kind:     hidden_grid_dims
      - .offset:         152
        .size:           4
        .value_kind:     hidden_dynamic_lds_size
    .group_segment_fixed_size: 0
    .kernarg_segment_align: 8
    .kernarg_segment_size: 288
    .language:       OpenCL C
    .language_version:
      - 2
      - 0
    .max_flat_workgroup_size: 72
    .name:           _ZL26flash_attn_combine_resultsILi72EEvPKfPK15HIP_vector_typeIfLj2EEPfi
    .private_segment_fixed_size: 0
    .sgpr_count:     22
    .sgpr_spill_count: 0
    .symbol:         _ZL26flash_attn_combine_resultsILi72EEvPKfPK15HIP_vector_typeIfLj2EEPfi.kd
    .uniform_work_group_size: 1
    .uses_dynamic_stack: false
    .vgpr_count:     52
    .vgpr_spill_count: 0
    .wavefront_size: 32
    .workgroup_processor_mode: 1
  - .args:
      - .address_space:  global
        .offset:         0
        .size:           8
        .value_kind:     global_buffer
      - .address_space:  global
        .offset:         8
        .size:           8
        .value_kind:     global_buffer
      - .address_space:  global
        .offset:         16
        .size:           8
        .value_kind:     global_buffer
      - .address_space:  global
        .offset:         24
        .size:           8
        .value_kind:     global_buffer
      - .address_space:  global
        .offset:         32
        .size:           8
        .value_kind:     global_buffer
      - .address_space:  global
        .offset:         40
        .size:           8
        .value_kind:     global_buffer
      - .address_space:  global
        .offset:         48
        .size:           8
        .value_kind:     global_buffer
      - .address_space:  global
        .offset:         56
        .size:           8
        .value_kind:     global_buffer
      - .offset:         64
        .size:           4
        .value_kind:     by_value
      - .offset:         68
        .size:           4
        .value_kind:     by_value
      - .offset:         72
        .size:           4
        .value_kind:     by_value
      - .offset:         76
        .size:           4
        .value_kind:     by_value
      - .offset:         80
        .size:           4
        .value_kind:     by_value
      - .offset:         84
        .size:           4
        .value_kind:     by_value
      - .offset:         88
        .size:           4
        .value_kind:     by_value
      - .offset:         92
        .size:           12
        .value_kind:     by_value
      - .offset:         104
        .size:           4
        .value_kind:     by_value
      - .offset:         108
        .size:           4
        .value_kind:     by_value
      - .offset:         112
        .size:           4
        .value_kind:     by_value
      - .offset:         116
        .size:           4
        .value_kind:     by_value
      - .offset:         120
        .size:           4
        .value_kind:     by_value
      - .offset:         124
        .size:           4
        .value_kind:     by_value
      - .offset:         128
        .size:           4
        .value_kind:     by_value
      - .offset:         132
        .size:           4
        .value_kind:     by_value
      - .offset:         136
        .size:           4
        .value_kind:     by_value
      - .offset:         140
        .size:           4
        .value_kind:     by_value
      - .offset:         144
        .size:           4
        .value_kind:     by_value
      - .offset:         152
        .size:           8
        .value_kind:     by_value
      - .offset:         160
        .size:           4
        .value_kind:     by_value
      - .offset:         164
        .size:           4
        .value_kind:     by_value
      - .offset:         168
        .size:           8
        .value_kind:     by_value
      - .offset:         176
        .size:           4
        .value_kind:     by_value
      - .offset:         180
        .size:           4
        .value_kind:     by_value
      - .offset:         184
        .size:           4
        .value_kind:     by_value
      - .offset:         188
        .size:           4
        .value_kind:     by_value
      - .offset:         192
        .size:           4
        .value_kind:     by_value
      - .offset:         200
        .size:           8
        .value_kind:     by_value
      - .offset:         208
        .size:           4
        .value_kind:     hidden_block_count_x
      - .offset:         212
        .size:           4
        .value_kind:     hidden_block_count_y
      - .offset:         216
        .size:           4
        .value_kind:     hidden_block_count_z
      - .offset:         220
        .size:           2
        .value_kind:     hidden_group_size_x
      - .offset:         222
        .size:           2
        .value_kind:     hidden_group_size_y
      - .offset:         224
        .size:           2
        .value_kind:     hidden_group_size_z
      - .offset:         226
        .size:           2
        .value_kind:     hidden_remainder_x
      - .offset:         228
        .size:           2
        .value_kind:     hidden_remainder_y
      - .offset:         230
        .size:           2
        .value_kind:     hidden_remainder_z
      - .offset:         248
        .size:           8
        .value_kind:     hidden_global_offset_x
      - .offset:         256
        .size:           8
        .value_kind:     hidden_global_offset_y
      - .offset:         264
        .size:           8
        .value_kind:     hidden_global_offset_z
      - .offset:         272
        .size:           2
        .value_kind:     hidden_grid_dims
    .group_segment_fixed_size: 12000
    .kernarg_segment_align: 8
    .kernarg_segment_size: 464
    .language:       OpenCL C
    .language_version:
      - 2
      - 0
    .max_flat_workgroup_size: 256
    .name:           _ZL15flash_attn_tileILi72ELi72ELi4ELi8ELb0EEvPKcS1_S1_S1_S1_PKiPfP15HIP_vector_typeIfLj2EEffffjfiS5_IjLj3EEiiiiiiiiiiiliiliiiiil
    .private_segment_fixed_size: 0
    .sgpr_count:     43
    .sgpr_spill_count: 0
    .symbol:         _ZL15flash_attn_tileILi72ELi72ELi4ELi8ELb0EEvPKcS1_S1_S1_S1_PKiPfP15HIP_vector_typeIfLj2EEffffjfiS5_IjLj3EEiiiiiiiiiiiliiliiiiil.kd
    .uniform_work_group_size: 1
    .uses_dynamic_stack: false
    .vgpr_count:     168
    .vgpr_spill_count: 0
    .wavefront_size: 32
    .workgroup_processor_mode: 1
  - .args:
      - .actual_access:  read_only
        .address_space:  global
        .offset:         0
        .size:           8
        .value_kind:     global_buffer
      - .actual_access:  write_only
        .address_space:  global
        .offset:         8
        .size:           8
        .value_kind:     global_buffer
      - .offset:         16
        .size:           4
        .value_kind:     by_value
      - .offset:         20
        .size:           4
        .value_kind:     by_value
      - .offset:         24
        .size:           4
        .value_kind:     by_value
      - .offset:         32
        .size:           4
        .value_kind:     hidden_block_count_x
      - .offset:         36
        .size:           4
        .value_kind:     hidden_block_count_y
      - .offset:         40
        .size:           4
        .value_kind:     hidden_block_count_z
      - .offset:         44
        .size:           2
        .value_kind:     hidden_group_size_x
      - .offset:         46
        .size:           2
        .value_kind:     hidden_group_size_y
      - .offset:         48
        .size:           2
        .value_kind:     hidden_group_size_z
      - .offset:         50
        .size:           2
        .value_kind:     hidden_remainder_x
      - .offset:         52
        .size:           2
        .value_kind:     hidden_remainder_y
      - .offset:         54
        .size:           2
        .value_kind:     hidden_remainder_z
      - .offset:         72
        .size:           8
        .value_kind:     hidden_global_offset_x
      - .offset:         80
        .size:           8
        .value_kind:     hidden_global_offset_y
      - .offset:         88
        .size:           8
        .value_kind:     hidden_global_offset_z
      - .offset:         96
        .size:           2
        .value_kind:     hidden_grid_dims
    .group_segment_fixed_size: 128
    .kernarg_segment_align: 8
    .kernarg_segment_size: 288
    .language:       OpenCL C
    .language_version:
      - 2
      - 0
    .max_flat_workgroup_size: 128
    .name:           _ZL25flash_attn_mask_to_KV_maxILi4EEvPK7__half2Piiii
    .private_segment_fixed_size: 0
    .sgpr_count:     21
    .sgpr_spill_count: 0
    .symbol:         _ZL25flash_attn_mask_to_KV_maxILi4EEvPK7__half2Piiii.kd
    .uniform_work_group_size: 1
    .uses_dynamic_stack: false
    .vgpr_count:     10
    .vgpr_spill_count: 0
    .wavefront_size: 32
    .workgroup_processor_mode: 1
  - .args:
      - .address_space:  global
        .offset:         0
        .size:           8
        .value_kind:     global_buffer
      - .address_space:  global
        .offset:         8
        .size:           8
        .value_kind:     global_buffer
      - .offset:         16
        .size:           4
        .value_kind:     by_value
      - .offset:         20
        .size:           4
        .value_kind:     by_value
      - .offset:         24
        .size:           4
        .value_kind:     by_value
      - .offset:         28
        .size:           4
        .value_kind:     by_value
      - .offset:         32
        .size:           4
        .value_kind:     by_value
      - .offset:         36
        .size:           4
        .value_kind:     by_value
      - .offset:         40
        .size:           12
        .value_kind:     by_value
      - .offset:         52
        .size:           12
        .value_kind:     by_value
      - .offset:         64
        .size:           12
        .value_kind:     by_value
    .group_segment_fixed_size: 0
    .kernarg_segment_align: 8
    .kernarg_segment_size: 76
    .language:       OpenCL C
    .language_version:
      - 2
      - 0
    .max_flat_workgroup_size: 72
    .name:           _ZL33flash_attn_stream_k_fixup_uniformILi72ELi4ELi8EEvPfPK15HIP_vector_typeIfLj2EEiiiiiiS1_IjLj3EES5_S5_
    .private_segment_fixed_size: 0
    .sgpr_count:     26
    .sgpr_spill_count: 0
    .symbol:         _ZL33flash_attn_stream_k_fixup_uniformILi72ELi4ELi8EEvPfPK15HIP_vector_typeIfLj2EEiiiiiiS1_IjLj3EES5_S5_.kd
    .uniform_work_group_size: 1
    .uses_dynamic_stack: false
    .vgpr_count:     15
    .vgpr_spill_count: 0
    .wavefront_size: 32
    .workgroup_processor_mode: 1
  - .args:
      - .address_space:  global
        .offset:         0
        .size:           8
        .value_kind:     global_buffer
      - .address_space:  global
        .offset:         8
        .size:           8
        .value_kind:     global_buffer
      - .offset:         16
        .size:           4
        .value_kind:     by_value
      - .offset:         20
        .size:           4
        .value_kind:     by_value
      - .offset:         24
        .size:           4
        .value_kind:     by_value
      - .offset:         28
        .size:           4
        .value_kind:     by_value
      - .offset:         32
        .size:           12
        .value_kind:     by_value
      - .offset:         44
        .size:           12
        .value_kind:     by_value
      - .offset:         56
        .size:           12
        .value_kind:     by_value
      - .offset:         68
        .size:           12
        .value_kind:     by_value
      - .offset:         80
        .size:           4
        .value_kind:     hidden_block_count_x
      - .offset:         84
        .size:           4
        .value_kind:     hidden_block_count_y
      - .offset:         88
        .size:           4
        .value_kind:     hidden_block_count_z
      - .offset:         92
        .size:           2
        .value_kind:     hidden_group_size_x
      - .offset:         94
        .size:           2
        .value_kind:     hidden_group_size_y
      - .offset:         96
        .size:           2
        .value_kind:     hidden_group_size_z
      - .offset:         98
        .size:           2
        .value_kind:     hidden_remainder_x
      - .offset:         100
        .size:           2
        .value_kind:     hidden_remainder_y
      - .offset:         102
        .size:           2
        .value_kind:     hidden_remainder_z
      - .offset:         120
        .size:           8
        .value_kind:     hidden_global_offset_x
      - .offset:         128
        .size:           8
        .value_kind:     hidden_global_offset_y
      - .offset:         136
        .size:           8
        .value_kind:     hidden_global_offset_z
      - .offset:         144
        .size:           2
        .value_kind:     hidden_grid_dims
    .group_segment_fixed_size: 0
    .kernarg_segment_align: 8
    .kernarg_segment_size: 336
    .language:       OpenCL C
    .language_version:
      - 2
      - 0
    .max_flat_workgroup_size: 72
    .name:           _ZL33flash_attn_stream_k_fixup_generalILi72ELi4ELi8EEvPfPK15HIP_vector_typeIfLj2EEiiiiS1_IjLj3EES5_S5_S5_
    .private_segment_fixed_size: 0
    .sgpr_count:     33
    .sgpr_spill_count: 0
    .symbol:         _ZL33flash_attn_stream_k_fixup_generalILi72ELi4ELi8EEvPfPK15HIP_vector_typeIfLj2EEiiiiS1_IjLj3EES5_S5_S5_.kd
    .uniform_work_group_size: 1
    .uses_dynamic_stack: false
    .vgpr_count:     17
    .vgpr_spill_count: 0
    .wavefront_size: 32
    .workgroup_processor_mode: 1
  - .args:
      - .address_space:  global
        .offset:         0
        .size:           8
        .value_kind:     global_buffer
      - .address_space:  global
        .offset:         8
        .size:           8
        .value_kind:     global_buffer
      - .address_space:  global
        .offset:         16
        .size:           8
        .value_kind:     global_buffer
      - .address_space:  global
        .offset:         24
        .size:           8
        .value_kind:     global_buffer
      - .address_space:  global
        .offset:         32
        .size:           8
        .value_kind:     global_buffer
      - .address_space:  global
        .offset:         40
        .size:           8
        .value_kind:     global_buffer
      - .address_space:  global
        .offset:         48
        .size:           8
        .value_kind:     global_buffer
      - .address_space:  global
        .offset:         56
        .size:           8
        .value_kind:     global_buffer
      - .offset:         64
        .size:           4
        .value_kind:     by_value
      - .offset:         68
        .size:           4
        .value_kind:     by_value
      - .offset:         72
        .size:           4
        .value_kind:     by_value
      - .offset:         76
        .size:           4
        .value_kind:     by_value
      - .offset:         80
        .size:           4
        .value_kind:     by_value
      - .offset:         84
        .size:           4
        .value_kind:     by_value
      - .offset:         88
        .size:           4
        .value_kind:     by_value
      - .offset:         92
        .size:           12
        .value_kind:     by_value
      - .offset:         104
        .size:           4
        .value_kind:     by_value
      - .offset:         108
        .size:           4
        .value_kind:     by_value
      - .offset:         112
        .size:           4
        .value_kind:     by_value
      - .offset:         116
        .size:           4
        .value_kind:     by_value
      - .offset:         120
        .size:           4
        .value_kind:     by_value
      - .offset:         124
        .size:           4
        .value_kind:     by_value
      - .offset:         128
        .size:           4
        .value_kind:     by_value
      - .offset:         132
        .size:           4
        .value_kind:     by_value
      - .offset:         136
        .size:           4
        .value_kind:     by_value
      - .offset:         140
        .size:           4
        .value_kind:     by_value
      - .offset:         144
        .size:           4
        .value_kind:     by_value
      - .offset:         152
        .size:           8
        .value_kind:     by_value
      - .offset:         160
        .size:           4
        .value_kind:     by_value
      - .offset:         164
        .size:           4
        .value_kind:     by_value
      - .offset:         168
        .size:           8
        .value_kind:     by_value
      - .offset:         176
        .size:           4
        .value_kind:     by_value
      - .offset:         180
        .size:           4
        .value_kind:     by_value
      - .offset:         184
        .size:           4
        .value_kind:     by_value
      - .offset:         188
        .size:           4
        .value_kind:     by_value
      - .offset:         192
        .size:           4
        .value_kind:     by_value
      - .offset:         200
        .size:           8
        .value_kind:     by_value
      - .offset:         208
        .size:           4
        .value_kind:     hidden_block_count_x
      - .offset:         212
        .size:           4
        .value_kind:     hidden_block_count_y
      - .offset:         216
        .size:           4
        .value_kind:     hidden_block_count_z
      - .offset:         220
        .size:           2
        .value_kind:     hidden_group_size_x
      - .offset:         222
        .size:           2
        .value_kind:     hidden_group_size_y
      - .offset:         224
        .size:           2
        .value_kind:     hidden_group_size_z
      - .offset:         226
        .size:           2
        .value_kind:     hidden_remainder_x
      - .offset:         228
        .size:           2
        .value_kind:     hidden_remainder_y
      - .offset:         230
        .size:           2
        .value_kind:     hidden_remainder_z
      - .offset:         248
        .size:           8
        .value_kind:     hidden_global_offset_x
      - .offset:         256
        .size:           8
        .value_kind:     hidden_global_offset_y
      - .offset:         264
        .size:           8
        .value_kind:     hidden_global_offset_z
      - .offset:         272
        .size:           2
        .value_kind:     hidden_grid_dims
    .group_segment_fixed_size: 8672
    .kernarg_segment_align: 8
    .kernarg_segment_size: 464
    .language:       OpenCL C
    .language_version:
      - 2
      - 0
    .max_flat_workgroup_size: 256
    .name:           _ZL15flash_attn_tileILi72ELi72ELi2ELi8ELb0EEvPKcS1_S1_S1_S1_PKiPfP15HIP_vector_typeIfLj2EEffffjfiS5_IjLj3EEiiiiiiiiiiiliiliiiiil
    .private_segment_fixed_size: 0
    .sgpr_count:     43
    .sgpr_spill_count: 0
    .symbol:         _ZL15flash_attn_tileILi72ELi72ELi2ELi8ELb0EEvPKcS1_S1_S1_S1_PKiPfP15HIP_vector_typeIfLj2EEffffjfiS5_IjLj3EEiiiiiiiiiiiliiliiiiil.kd
    .uniform_work_group_size: 1
    .uses_dynamic_stack: false
    .vgpr_count:     128
    .vgpr_spill_count: 0
    .wavefront_size: 32
    .workgroup_processor_mode: 1
  - .args:
      - .actual_access:  read_only
        .address_space:  global
        .offset:         0
        .size:           8
        .value_kind:     global_buffer
      - .actual_access:  write_only
        .address_space:  global
        .offset:         8
        .size:           8
        .value_kind:     global_buffer
      - .offset:         16
        .size:           4
        .value_kind:     by_value
      - .offset:         20
        .size:           4
        .value_kind:     by_value
      - .offset:         24
        .size:           4
        .value_kind:     by_value
      - .offset:         32
        .size:           4
        .value_kind:     hidden_block_count_x
      - .offset:         36
        .size:           4
        .value_kind:     hidden_block_count_y
      - .offset:         40
        .size:           4
        .value_kind:     hidden_block_count_z
      - .offset:         44
        .size:           2
        .value_kind:     hidden_group_size_x
      - .offset:         46
        .size:           2
        .value_kind:     hidden_group_size_y
      - .offset:         48
        .size:           2
        .value_kind:     hidden_group_size_z
      - .offset:         50
        .size:           2
        .value_kind:     hidden_remainder_x
      - .offset:         52
        .size:           2
        .value_kind:     hidden_remainder_y
      - .offset:         54
        .size:           2
        .value_kind:     hidden_remainder_z
      - .offset:         72
        .size:           8
        .value_kind:     hidden_global_offset_x
      - .offset:         80
        .size:           8
        .value_kind:     hidden_global_offset_y
      - .offset:         88
        .size:           8
        .value_kind:     hidden_global_offset_z
      - .offset:         96
        .size:           2
        .value_kind:     hidden_grid_dims
    .group_segment_fixed_size: 128
    .kernarg_segment_align: 8
    .kernarg_segment_size: 288
    .language:       OpenCL C
    .language_version:
      - 2
      - 0
    .max_flat_workgroup_size: 128
    .name:           _ZL25flash_attn_mask_to_KV_maxILi2EEvPK7__half2Piiii
    .private_segment_fixed_size: 0
    .sgpr_count:     18
    .sgpr_spill_count: 0
    .symbol:         _ZL25flash_attn_mask_to_KV_maxILi2EEvPK7__half2Piiii.kd
    .uniform_work_group_size: 1
    .uses_dynamic_stack: false
    .vgpr_count:     8
    .vgpr_spill_count: 0
    .wavefront_size: 32
    .workgroup_processor_mode: 1
  - .args:
      - .address_space:  global
        .offset:         0
        .size:           8
        .value_kind:     global_buffer
      - .address_space:  global
        .offset:         8
        .size:           8
        .value_kind:     global_buffer
      - .offset:         16
        .size:           4
        .value_kind:     by_value
      - .offset:         20
        .size:           4
        .value_kind:     by_value
      - .offset:         24
        .size:           4
        .value_kind:     by_value
      - .offset:         28
        .size:           4
        .value_kind:     by_value
      - .offset:         32
        .size:           4
        .value_kind:     by_value
      - .offset:         36
        .size:           4
        .value_kind:     by_value
      - .offset:         40
        .size:           12
        .value_kind:     by_value
      - .offset:         52
        .size:           12
        .value_kind:     by_value
      - .offset:         64
        .size:           12
        .value_kind:     by_value
    .group_segment_fixed_size: 0
    .kernarg_segment_align: 8
    .kernarg_segment_size: 76
    .language:       OpenCL C
    .language_version:
      - 2
      - 0
    .max_flat_workgroup_size: 72
    .name:           _ZL33flash_attn_stream_k_fixup_uniformILi72ELi2ELi8EEvPfPK15HIP_vector_typeIfLj2EEiiiiiiS1_IjLj3EES5_S5_
    .private_segment_fixed_size: 0
    .sgpr_count:     26
    .sgpr_spill_count: 0
    .symbol:         _ZL33flash_attn_stream_k_fixup_uniformILi72ELi2ELi8EEvPfPK15HIP_vector_typeIfLj2EEiiiiiiS1_IjLj3EES5_S5_.kd
    .uniform_work_group_size: 1
    .uses_dynamic_stack: false
    .vgpr_count:     15
    .vgpr_spill_count: 0
    .wavefront_size: 32
    .workgroup_processor_mode: 1
  - .args:
      - .address_space:  global
        .offset:         0
        .size:           8
        .value_kind:     global_buffer
      - .address_space:  global
        .offset:         8
        .size:           8
        .value_kind:     global_buffer
      - .offset:         16
        .size:           4
        .value_kind:     by_value
      - .offset:         20
        .size:           4
        .value_kind:     by_value
      - .offset:         24
        .size:           4
        .value_kind:     by_value
      - .offset:         28
        .size:           4
        .value_kind:     by_value
      - .offset:         32
        .size:           12
        .value_kind:     by_value
      - .offset:         44
        .size:           12
        .value_kind:     by_value
      - .offset:         56
        .size:           12
        .value_kind:     by_value
      - .offset:         68
        .size:           12
        .value_kind:     by_value
      - .offset:         80
        .size:           4
        .value_kind:     hidden_block_count_x
      - .offset:         84
        .size:           4
        .value_kind:     hidden_block_count_y
      - .offset:         88
        .size:           4
        .value_kind:     hidden_block_count_z
      - .offset:         92
        .size:           2
        .value_kind:     hidden_group_size_x
      - .offset:         94
        .size:           2
        .value_kind:     hidden_group_size_y
      - .offset:         96
        .size:           2
        .value_kind:     hidden_group_size_z
      - .offset:         98
        .size:           2
        .value_kind:     hidden_remainder_x
      - .offset:         100
        .size:           2
        .value_kind:     hidden_remainder_y
      - .offset:         102
        .size:           2
        .value_kind:     hidden_remainder_z
      - .offset:         120
        .size:           8
        .value_kind:     hidden_global_offset_x
      - .offset:         128
        .size:           8
        .value_kind:     hidden_global_offset_y
      - .offset:         136
        .size:           8
        .value_kind:     hidden_global_offset_z
      - .offset:         144
        .size:           2
        .value_kind:     hidden_grid_dims
    .group_segment_fixed_size: 0
    .kernarg_segment_align: 8
    .kernarg_segment_size: 336
    .language:       OpenCL C
    .language_version:
      - 2
      - 0
    .max_flat_workgroup_size: 72
    .name:           _ZL33flash_attn_stream_k_fixup_generalILi72ELi2ELi8EEvPfPK15HIP_vector_typeIfLj2EEiiiiS1_IjLj3EES5_S5_S5_
    .private_segment_fixed_size: 0
    .sgpr_count:     33
    .sgpr_spill_count: 0
    .symbol:         _ZL33flash_attn_stream_k_fixup_generalILi72ELi2ELi8EEvPfPK15HIP_vector_typeIfLj2EEiiiiS1_IjLj3EES5_S5_S5_.kd
    .uniform_work_group_size: 1
    .uses_dynamic_stack: false
    .vgpr_count:     17
    .vgpr_spill_count: 0
    .wavefront_size: 32
    .workgroup_processor_mode: 1
  - .args:
      - .address_space:  global
        .offset:         0
        .size:           8
        .value_kind:     global_buffer
      - .address_space:  global
        .offset:         8
        .size:           8
        .value_kind:     global_buffer
      - .address_space:  global
        .offset:         16
        .size:           8
        .value_kind:     global_buffer
      - .address_space:  global
        .offset:         24
        .size:           8
        .value_kind:     global_buffer
      - .address_space:  global
        .offset:         32
        .size:           8
        .value_kind:     global_buffer
      - .address_space:  global
        .offset:         40
        .size:           8
        .value_kind:     global_buffer
      - .address_space:  global
        .offset:         48
        .size:           8
        .value_kind:     global_buffer
      - .address_space:  global
        .offset:         56
        .size:           8
        .value_kind:     global_buffer
      - .offset:         64
        .size:           4
        .value_kind:     by_value
      - .offset:         68
        .size:           4
        .value_kind:     by_value
      - .offset:         72
        .size:           4
        .value_kind:     by_value
      - .offset:         76
        .size:           4
        .value_kind:     by_value
      - .offset:         80
        .size:           4
        .value_kind:     by_value
      - .offset:         84
        .size:           4
        .value_kind:     by_value
      - .offset:         88
        .size:           4
        .value_kind:     by_value
      - .offset:         92
        .size:           12
        .value_kind:     by_value
      - .offset:         104
        .size:           4
        .value_kind:     by_value
      - .offset:         108
        .size:           4
        .value_kind:     by_value
      - .offset:         112
        .size:           4
        .value_kind:     by_value
      - .offset:         116
        .size:           4
        .value_kind:     by_value
      - .offset:         120
        .size:           4
        .value_kind:     by_value
      - .offset:         124
        .size:           4
        .value_kind:     by_value
      - .offset:         128
        .size:           4
        .value_kind:     by_value
      - .offset:         132
        .size:           4
        .value_kind:     by_value
      - .offset:         136
        .size:           4
        .value_kind:     by_value
      - .offset:         140
        .size:           4
        .value_kind:     by_value
      - .offset:         144
        .size:           4
        .value_kind:     by_value
      - .offset:         152
        .size:           8
        .value_kind:     by_value
      - .offset:         160
        .size:           4
        .value_kind:     by_value
      - .offset:         164
        .size:           4
        .value_kind:     by_value
      - .offset:         168
        .size:           8
        .value_kind:     by_value
      - .offset:         176
        .size:           4
        .value_kind:     by_value
      - .offset:         180
        .size:           4
        .value_kind:     by_value
      - .offset:         184
        .size:           4
        .value_kind:     by_value
      - .offset:         188
        .size:           4
        .value_kind:     by_value
      - .offset:         192
        .size:           4
        .value_kind:     by_value
      - .offset:         200
        .size:           8
        .value_kind:     by_value
      - .offset:         208
        .size:           4
        .value_kind:     hidden_block_count_x
      - .offset:         212
        .size:           4
        .value_kind:     hidden_block_count_y
      - .offset:         216
        .size:           4
        .value_kind:     hidden_block_count_z
      - .offset:         220
        .size:           2
        .value_kind:     hidden_group_size_x
      - .offset:         222
        .size:           2
        .value_kind:     hidden_group_size_y
      - .offset:         224
        .size:           2
        .value_kind:     hidden_group_size_z
      - .offset:         226
        .size:           2
        .value_kind:     hidden_remainder_x
      - .offset:         228
        .size:           2
        .value_kind:     hidden_remainder_y
      - .offset:         230
        .size:           2
        .value_kind:     hidden_remainder_z
      - .offset:         248
        .size:           8
        .value_kind:     hidden_global_offset_x
      - .offset:         256
        .size:           8
        .value_kind:     hidden_global_offset_y
      - .offset:         264
        .size:           8
        .value_kind:     hidden_global_offset_z
      - .offset:         272
        .size:           2
        .value_kind:     hidden_grid_dims
    .group_segment_fixed_size: 7008
    .kernarg_segment_align: 8
    .kernarg_segment_size: 464
    .language:       OpenCL C
    .language_version:
      - 2
      - 0
    .max_flat_workgroup_size: 256
    .name:           _ZL15flash_attn_tileILi72ELi72ELi1ELi8ELb0EEvPKcS1_S1_S1_S1_PKiPfP15HIP_vector_typeIfLj2EEffffjfiS5_IjLj3EEiiiiiiiiiiiliiliiiiil
    .private_segment_fixed_size: 0
    .sgpr_count:     46
    .sgpr_spill_count: 0
    .symbol:         _ZL15flash_attn_tileILi72ELi72ELi1ELi8ELb0EEvPKcS1_S1_S1_S1_PKiPfP15HIP_vector_typeIfLj2EEffffjfiS5_IjLj3EEiiiiiiiiiiiliiliiiiil.kd
    .uniform_work_group_size: 1
    .uses_dynamic_stack: false
    .vgpr_count:     62
    .vgpr_spill_count: 0
    .wavefront_size: 32
    .workgroup_processor_mode: 1
  - .args:
      - .actual_access:  read_only
        .address_space:  global
        .offset:         0
        .size:           8
        .value_kind:     global_buffer
      - .actual_access:  write_only
        .address_space:  global
        .offset:         8
        .size:           8
        .value_kind:     global_buffer
      - .offset:         16
        .size:           4
        .value_kind:     by_value
      - .offset:         20
        .size:           4
        .value_kind:     by_value
      - .offset:         24
        .size:           4
        .value_kind:     by_value
      - .offset:         32
        .size:           4
        .value_kind:     hidden_block_count_x
      - .offset:         36
        .size:           4
        .value_kind:     hidden_block_count_y
      - .offset:         40
        .size:           4
        .value_kind:     hidden_block_count_z
      - .offset:         44
        .size:           2
        .value_kind:     hidden_group_size_x
      - .offset:         46
        .size:           2
        .value_kind:     hidden_group_size_y
      - .offset:         48
        .size:           2
        .value_kind:     hidden_group_size_z
      - .offset:         50
        .size:           2
        .value_kind:     hidden_remainder_x
      - .offset:         52
        .size:           2
        .value_kind:     hidden_remainder_y
      - .offset:         54
        .size:           2
        .value_kind:     hidden_remainder_z
      - .offset:         72
        .size:           8
        .value_kind:     hidden_global_offset_x
      - .offset:         80
        .size:           8
        .value_kind:     hidden_global_offset_y
      - .offset:         88
        .size:           8
        .value_kind:     hidden_global_offset_z
      - .offset:         96
        .size:           2
        .value_kind:     hidden_grid_dims
    .group_segment_fixed_size: 128
    .kernarg_segment_align: 8
    .kernarg_segment_size: 288
    .language:       OpenCL C
    .language_version:
      - 2
      - 0
    .max_flat_workgroup_size: 128
    .name:           _ZL25flash_attn_mask_to_KV_maxILi1EEvPK7__half2Piiii
    .private_segment_fixed_size: 0
    .sgpr_count:     18
    .sgpr_spill_count: 0
    .symbol:         _ZL25flash_attn_mask_to_KV_maxILi1EEvPK7__half2Piiii.kd
    .uniform_work_group_size: 1
    .uses_dynamic_stack: false
    .vgpr_count:     8
    .vgpr_spill_count: 0
    .wavefront_size: 32
    .workgroup_processor_mode: 1
  - .args:
      - .address_space:  global
        .offset:         0
        .size:           8
        .value_kind:     global_buffer
      - .address_space:  global
        .offset:         8
        .size:           8
        .value_kind:     global_buffer
      - .offset:         16
        .size:           4
        .value_kind:     by_value
      - .offset:         20
        .size:           4
        .value_kind:     by_value
      - .offset:         24
        .size:           4
        .value_kind:     by_value
      - .offset:         28
        .size:           4
        .value_kind:     by_value
      - .offset:         32
        .size:           4
        .value_kind:     by_value
      - .offset:         36
        .size:           4
        .value_kind:     by_value
      - .offset:         40
        .size:           12
        .value_kind:     by_value
      - .offset:         52
        .size:           12
        .value_kind:     by_value
      - .offset:         64
        .size:           12
        .value_kind:     by_value
    .group_segment_fixed_size: 0
    .kernarg_segment_align: 8
    .kernarg_segment_size: 76
    .language:       OpenCL C
    .language_version:
      - 2
      - 0
    .max_flat_workgroup_size: 72
    .name:           _ZL33flash_attn_stream_k_fixup_uniformILi72ELi1ELi8EEvPfPK15HIP_vector_typeIfLj2EEiiiiiiS1_IjLj3EES5_S5_
    .private_segment_fixed_size: 0
    .sgpr_count:     26
    .sgpr_spill_count: 0
    .symbol:         _ZL33flash_attn_stream_k_fixup_uniformILi72ELi1ELi8EEvPfPK15HIP_vector_typeIfLj2EEiiiiiiS1_IjLj3EES5_S5_.kd
    .uniform_work_group_size: 1
    .uses_dynamic_stack: false
    .vgpr_count:     15
    .vgpr_spill_count: 0
    .wavefront_size: 32
    .workgroup_processor_mode: 1
  - .args:
      - .address_space:  global
        .offset:         0
        .size:           8
        .value_kind:     global_buffer
      - .address_space:  global
        .offset:         8
        .size:           8
        .value_kind:     global_buffer
      - .offset:         16
        .size:           4
        .value_kind:     by_value
      - .offset:         20
        .size:           4
        .value_kind:     by_value
      - .offset:         24
        .size:           4
        .value_kind:     by_value
      - .offset:         28
        .size:           4
        .value_kind:     by_value
      - .offset:         32
        .size:           12
        .value_kind:     by_value
      - .offset:         44
        .size:           12
        .value_kind:     by_value
      - .offset:         56
        .size:           12
        .value_kind:     by_value
      - .offset:         68
        .size:           12
        .value_kind:     by_value
      - .offset:         80
        .size:           4
        .value_kind:     hidden_block_count_x
      - .offset:         84
        .size:           4
        .value_kind:     hidden_block_count_y
      - .offset:         88
        .size:           4
        .value_kind:     hidden_block_count_z
      - .offset:         92
        .size:           2
        .value_kind:     hidden_group_size_x
      - .offset:         94
        .size:           2
        .value_kind:     hidden_group_size_y
      - .offset:         96
        .size:           2
        .value_kind:     hidden_group_size_z
      - .offset:         98
        .size:           2
        .value_kind:     hidden_remainder_x
      - .offset:         100
        .size:           2
        .value_kind:     hidden_remainder_y
      - .offset:         102
        .size:           2
        .value_kind:     hidden_remainder_z
      - .offset:         120
        .size:           8
        .value_kind:     hidden_global_offset_x
      - .offset:         128
        .size:           8
        .value_kind:     hidden_global_offset_y
      - .offset:         136
        .size:           8
        .value_kind:     hidden_global_offset_z
      - .offset:         144
        .size:           2
        .value_kind:     hidden_grid_dims
    .group_segment_fixed_size: 0
    .kernarg_segment_align: 8
    .kernarg_segment_size: 336
    .language:       OpenCL C
    .language_version:
      - 2
      - 0
    .max_flat_workgroup_size: 72
    .name:           _ZL33flash_attn_stream_k_fixup_generalILi72ELi1ELi8EEvPfPK15HIP_vector_typeIfLj2EEiiiiS1_IjLj3EES5_S5_S5_
    .private_segment_fixed_size: 0
    .sgpr_count:     33
    .sgpr_spill_count: 0
    .symbol:         _ZL33flash_attn_stream_k_fixup_generalILi72ELi1ELi8EEvPfPK15HIP_vector_typeIfLj2EEiiiiS1_IjLj3EES5_S5_S5_.kd
    .uniform_work_group_size: 1
    .uses_dynamic_stack: false
    .vgpr_count:     17
    .vgpr_spill_count: 0
    .wavefront_size: 32
    .workgroup_processor_mode: 1
  - .args:
      - .address_space:  global
        .offset:         0
        .size:           8
        .value_kind:     global_buffer
      - .address_space:  global
        .offset:         8
        .size:           8
        .value_kind:     global_buffer
      - .address_space:  global
        .offset:         16
        .size:           8
        .value_kind:     global_buffer
      - .address_space:  global
        .offset:         24
        .size:           8
        .value_kind:     global_buffer
      - .address_space:  global
        .offset:         32
        .size:           8
        .value_kind:     global_buffer
      - .address_space:  global
        .offset:         40
        .size:           8
        .value_kind:     global_buffer
      - .address_space:  global
        .offset:         48
        .size:           8
        .value_kind:     global_buffer
      - .address_space:  global
        .offset:         56
        .size:           8
        .value_kind:     global_buffer
      - .offset:         64
        .size:           4
        .value_kind:     by_value
      - .offset:         68
        .size:           4
        .value_kind:     by_value
      - .offset:         72
        .size:           4
        .value_kind:     by_value
      - .offset:         76
        .size:           4
        .value_kind:     by_value
      - .offset:         80
        .size:           4
        .value_kind:     by_value
      - .offset:         84
        .size:           4
        .value_kind:     by_value
      - .offset:         88
        .size:           4
        .value_kind:     by_value
      - .offset:         92
        .size:           12
        .value_kind:     by_value
      - .offset:         104
        .size:           4
        .value_kind:     by_value
      - .offset:         108
        .size:           4
        .value_kind:     by_value
      - .offset:         112
        .size:           4
        .value_kind:     by_value
      - .offset:         116
        .size:           4
        .value_kind:     by_value
      - .offset:         120
        .size:           4
        .value_kind:     by_value
      - .offset:         124
        .size:           4
        .value_kind:     by_value
      - .offset:         128
        .size:           4
        .value_kind:     by_value
      - .offset:         132
        .size:           4
        .value_kind:     by_value
      - .offset:         136
        .size:           4
        .value_kind:     by_value
      - .offset:         140
        .size:           4
        .value_kind:     by_value
      - .offset:         144
        .size:           4
        .value_kind:     by_value
      - .offset:         152
        .size:           8
        .value_kind:     by_value
      - .offset:         160
        .size:           4
        .value_kind:     by_value
      - .offset:         164
        .size:           4
        .value_kind:     by_value
      - .offset:         168
        .size:           8
        .value_kind:     by_value
      - .offset:         176
        .size:           4
        .value_kind:     by_value
      - .offset:         180
        .size:           4
        .value_kind:     by_value
      - .offset:         184
        .size:           4
        .value_kind:     by_value
      - .offset:         188
        .size:           4
        .value_kind:     by_value
      - .offset:         192
        .size:           4
        .value_kind:     by_value
      - .offset:         200
        .size:           8
        .value_kind:     by_value
      - .offset:         208
        .size:           4
        .value_kind:     hidden_block_count_x
      - .offset:         212
        .size:           4
        .value_kind:     hidden_block_count_y
      - .offset:         216
        .size:           4
        .value_kind:     hidden_block_count_z
      - .offset:         220
        .size:           2
        .value_kind:     hidden_group_size_x
      - .offset:         222
        .size:           2
        .value_kind:     hidden_group_size_y
      - .offset:         224
        .size:           2
        .value_kind:     hidden_group_size_z
      - .offset:         226
        .size:           2
        .value_kind:     hidden_remainder_x
      - .offset:         228
        .size:           2
        .value_kind:     hidden_remainder_y
      - .offset:         230
        .size:           2
        .value_kind:     hidden_remainder_z
      - .offset:         248
        .size:           8
        .value_kind:     hidden_global_offset_x
      - .offset:         256
        .size:           8
        .value_kind:     hidden_global_offset_y
      - .offset:         264
        .size:           8
        .value_kind:     hidden_global_offset_z
      - .offset:         272
        .size:           2
        .value_kind:     hidden_grid_dims
    .group_segment_fixed_size: 18656
    .kernarg_segment_align: 8
    .kernarg_segment_size: 464
    .language:       OpenCL C
    .language_version:
      - 2
      - 0
    .max_flat_workgroup_size: 256
    .name:           _ZL15flash_attn_tileILi72ELi72ELi16ELi4ELb0EEvPKcS1_S1_S1_S1_PKiPfP15HIP_vector_typeIfLj2EEffffjfiS5_IjLj3EEiiiiiiiiiiiliiliiiiil
    .private_segment_fixed_size: 0
    .sgpr_count:     51
    .sgpr_spill_count: 0
    .symbol:         _ZL15flash_attn_tileILi72ELi72ELi16ELi4ELb0EEvPKcS1_S1_S1_S1_PKiPfP15HIP_vector_typeIfLj2EEffffjfiS5_IjLj3EEiiiiiiiiiiiliiliiiiil.kd
    .uniform_work_group_size: 1
    .uses_dynamic_stack: false
    .vgpr_count:     183
    .vgpr_spill_count: 0
    .wavefront_size: 32
    .workgroup_processor_mode: 1
  - .args:
      - .actual_access:  read_only
        .address_space:  global
        .offset:         0
        .size:           8
        .value_kind:     global_buffer
      - .actual_access:  write_only
        .address_space:  global
        .offset:         8
        .size:           8
        .value_kind:     global_buffer
      - .offset:         16
        .size:           4
        .value_kind:     by_value
      - .offset:         20
        .size:           4
        .value_kind:     by_value
      - .offset:         24
        .size:           4
        .value_kind:     by_value
      - .offset:         32
        .size:           4
        .value_kind:     hidden_block_count_x
      - .offset:         36
        .size:           4
        .value_kind:     hidden_block_count_y
      - .offset:         40
        .size:           4
        .value_kind:     hidden_block_count_z
      - .offset:         44
        .size:           2
        .value_kind:     hidden_group_size_x
      - .offset:         46
        .size:           2
        .value_kind:     hidden_group_size_y
      - .offset:         48
        .size:           2
        .value_kind:     hidden_group_size_z
      - .offset:         50
        .size:           2
        .value_kind:     hidden_remainder_x
      - .offset:         52
        .size:           2
        .value_kind:     hidden_remainder_y
      - .offset:         54
        .size:           2
        .value_kind:     hidden_remainder_z
      - .offset:         72
        .size:           8
        .value_kind:     hidden_global_offset_x
      - .offset:         80
        .size:           8
        .value_kind:     hidden_global_offset_y
      - .offset:         88
        .size:           8
        .value_kind:     hidden_global_offset_z
      - .offset:         96
        .size:           2
        .value_kind:     hidden_grid_dims
    .group_segment_fixed_size: 128
    .kernarg_segment_align: 8
    .kernarg_segment_size: 288
    .language:       OpenCL C
    .language_version:
      - 2
      - 0
    .max_flat_workgroup_size: 128
    .name:           _ZL25flash_attn_mask_to_KV_maxILi16EEvPK7__half2Piiii
    .private_segment_fixed_size: 0
    .sgpr_count:     46
    .sgpr_spill_count: 0
    .symbol:         _ZL25flash_attn_mask_to_KV_maxILi16EEvPK7__half2Piiii.kd
    .uniform_work_group_size: 1
    .uses_dynamic_stack: false
    .vgpr_count:     10
    .vgpr_spill_count: 0
    .wavefront_size: 32
    .workgroup_processor_mode: 1
  - .args:
      - .address_space:  global
        .offset:         0
        .size:           8
        .value_kind:     global_buffer
      - .address_space:  global
        .offset:         8
        .size:           8
        .value_kind:     global_buffer
      - .offset:         16
        .size:           4
        .value_kind:     by_value
      - .offset:         20
        .size:           4
        .value_kind:     by_value
      - .offset:         24
        .size:           4
        .value_kind:     by_value
      - .offset:         28
        .size:           4
        .value_kind:     by_value
      - .offset:         32
        .size:           4
        .value_kind:     by_value
      - .offset:         36
        .size:           4
        .value_kind:     by_value
      - .offset:         40
        .size:           12
        .value_kind:     by_value
      - .offset:         52
        .size:           12
        .value_kind:     by_value
      - .offset:         64
        .size:           12
        .value_kind:     by_value
    .group_segment_fixed_size: 0
    .kernarg_segment_align: 8
    .kernarg_segment_size: 76
    .language:       OpenCL C
    .language_version:
      - 2
      - 0
    .max_flat_workgroup_size: 72
    .name:           _ZL33flash_attn_stream_k_fixup_uniformILi72ELi16ELi4EEvPfPK15HIP_vector_typeIfLj2EEiiiiiiS1_IjLj3EES5_S5_
    .private_segment_fixed_size: 0
    .sgpr_count:     26
    .sgpr_spill_count: 0
    .symbol:         _ZL33flash_attn_stream_k_fixup_uniformILi72ELi16ELi4EEvPfPK15HIP_vector_typeIfLj2EEiiiiiiS1_IjLj3EES5_S5_.kd
    .uniform_work_group_size: 1
    .uses_dynamic_stack: false
    .vgpr_count:     15
    .vgpr_spill_count: 0
    .wavefront_size: 32
    .workgroup_processor_mode: 1
  - .args:
      - .address_space:  global
        .offset:         0
        .size:           8
        .value_kind:     global_buffer
      - .address_space:  global
        .offset:         8
        .size:           8
        .value_kind:     global_buffer
      - .offset:         16
        .size:           4
        .value_kind:     by_value
      - .offset:         20
        .size:           4
        .value_kind:     by_value
      - .offset:         24
        .size:           4
        .value_kind:     by_value
      - .offset:         28
        .size:           4
        .value_kind:     by_value
      - .offset:         32
        .size:           12
        .value_kind:     by_value
      - .offset:         44
        .size:           12
        .value_kind:     by_value
      - .offset:         56
        .size:           12
        .value_kind:     by_value
      - .offset:         68
        .size:           12
        .value_kind:     by_value
      - .offset:         80
        .size:           4
        .value_kind:     hidden_block_count_x
      - .offset:         84
        .size:           4
        .value_kind:     hidden_block_count_y
      - .offset:         88
        .size:           4
        .value_kind:     hidden_block_count_z
      - .offset:         92
        .size:           2
        .value_kind:     hidden_group_size_x
      - .offset:         94
        .size:           2
        .value_kind:     hidden_group_size_y
      - .offset:         96
        .size:           2
        .value_kind:     hidden_group_size_z
      - .offset:         98
        .size:           2
        .value_kind:     hidden_remainder_x
      - .offset:         100
        .size:           2
        .value_kind:     hidden_remainder_y
      - .offset:         102
        .size:           2
        .value_kind:     hidden_remainder_z
      - .offset:         120
        .size:           8
        .value_kind:     hidden_global_offset_x
      - .offset:         128
        .size:           8
        .value_kind:     hidden_global_offset_y
      - .offset:         136
        .size:           8
        .value_kind:     hidden_global_offset_z
      - .offset:         144
        .size:           2
        .value_kind:     hidden_grid_dims
    .group_segment_fixed_size: 0
    .kernarg_segment_align: 8
    .kernarg_segment_size: 336
    .language:       OpenCL C
    .language_version:
      - 2
      - 0
    .max_flat_workgroup_size: 72
    .name:           _ZL33flash_attn_stream_k_fixup_generalILi72ELi16ELi4EEvPfPK15HIP_vector_typeIfLj2EEiiiiS1_IjLj3EES5_S5_S5_
    .private_segment_fixed_size: 0
    .sgpr_count:     33
    .sgpr_spill_count: 0
    .symbol:         _ZL33flash_attn_stream_k_fixup_generalILi72ELi16ELi4EEvPfPK15HIP_vector_typeIfLj2EEiiiiS1_IjLj3EES5_S5_S5_.kd
    .uniform_work_group_size: 1
    .uses_dynamic_stack: false
    .vgpr_count:     17
    .vgpr_spill_count: 0
    .wavefront_size: 32
    .workgroup_processor_mode: 1
  - .args:
      - .address_space:  global
        .offset:         0
        .size:           8
        .value_kind:     global_buffer
      - .address_space:  global
        .offset:         8
        .size:           8
        .value_kind:     global_buffer
      - .address_space:  global
        .offset:         16
        .size:           8
        .value_kind:     global_buffer
      - .address_space:  global
        .offset:         24
        .size:           8
        .value_kind:     global_buffer
      - .address_space:  global
        .offset:         32
        .size:           8
        .value_kind:     global_buffer
      - .address_space:  global
        .offset:         40
        .size:           8
        .value_kind:     global_buffer
      - .address_space:  global
        .offset:         48
        .size:           8
        .value_kind:     global_buffer
      - .address_space:  global
        .offset:         56
        .size:           8
        .value_kind:     global_buffer
      - .offset:         64
        .size:           4
        .value_kind:     by_value
      - .offset:         68
        .size:           4
        .value_kind:     by_value
      - .offset:         72
        .size:           4
        .value_kind:     by_value
      - .offset:         76
        .size:           4
        .value_kind:     by_value
      - .offset:         80
        .size:           4
        .value_kind:     by_value
      - .offset:         84
        .size:           4
        .value_kind:     by_value
      - .offset:         88
        .size:           4
        .value_kind:     by_value
      - .offset:         92
        .size:           12
        .value_kind:     by_value
      - .offset:         104
        .size:           4
        .value_kind:     by_value
      - .offset:         108
        .size:           4
        .value_kind:     by_value
      - .offset:         112
        .size:           4
        .value_kind:     by_value
      - .offset:         116
        .size:           4
        .value_kind:     by_value
      - .offset:         120
        .size:           4
        .value_kind:     by_value
      - .offset:         124
        .size:           4
        .value_kind:     by_value
      - .offset:         128
        .size:           4
        .value_kind:     by_value
      - .offset:         132
        .size:           4
        .value_kind:     by_value
      - .offset:         136
        .size:           4
        .value_kind:     by_value
      - .offset:         140
        .size:           4
        .value_kind:     by_value
      - .offset:         144
        .size:           4
        .value_kind:     by_value
      - .offset:         152
        .size:           8
        .value_kind:     by_value
      - .offset:         160
        .size:           4
        .value_kind:     by_value
      - .offset:         164
        .size:           4
        .value_kind:     by_value
      - .offset:         168
        .size:           8
        .value_kind:     by_value
      - .offset:         176
        .size:           4
        .value_kind:     by_value
      - .offset:         180
        .size:           4
        .value_kind:     by_value
      - .offset:         184
        .size:           4
        .value_kind:     by_value
      - .offset:         188
        .size:           4
        .value_kind:     by_value
      - .offset:         192
        .size:           4
        .value_kind:     by_value
      - .offset:         200
        .size:           8
        .value_kind:     by_value
      - .offset:         208
        .size:           4
        .value_kind:     hidden_block_count_x
      - .offset:         212
        .size:           4
        .value_kind:     hidden_block_count_y
      - .offset:         216
        .size:           4
        .value_kind:     hidden_block_count_z
      - .offset:         220
        .size:           2
        .value_kind:     hidden_group_size_x
      - .offset:         222
        .size:           2
        .value_kind:     hidden_group_size_y
      - .offset:         224
        .size:           2
        .value_kind:     hidden_group_size_z
      - .offset:         226
        .size:           2
        .value_kind:     hidden_remainder_x
      - .offset:         228
        .size:           2
        .value_kind:     hidden_remainder_y
      - .offset:         230
        .size:           2
        .value_kind:     hidden_remainder_z
      - .offset:         248
        .size:           8
        .value_kind:     hidden_global_offset_x
      - .offset:         256
        .size:           8
        .value_kind:     hidden_global_offset_y
      - .offset:         264
        .size:           8
        .value_kind:     hidden_global_offset_z
      - .offset:         272
        .size:           2
        .value_kind:     hidden_grid_dims
    .group_segment_fixed_size: 12000
    .kernarg_segment_align: 8
    .kernarg_segment_size: 464
    .language:       OpenCL C
    .language_version:
      - 2
      - 0
    .max_flat_workgroup_size: 256
    .name:           _ZL15flash_attn_tileILi72ELi72ELi8ELi4ELb0EEvPKcS1_S1_S1_S1_PKiPfP15HIP_vector_typeIfLj2EEffffjfiS5_IjLj3EEiiiiiiiiiiiliiliiiiil
    .private_segment_fixed_size: 0
    .sgpr_count:     43
    .sgpr_spill_count: 0
    .symbol:         _ZL15flash_attn_tileILi72ELi72ELi8ELi4ELb0EEvPKcS1_S1_S1_S1_PKiPfP15HIP_vector_typeIfLj2EEffffjfiS5_IjLj3EEiiiiiiiiiiiliiliiiiil.kd
    .uniform_work_group_size: 1
    .uses_dynamic_stack: false
    .vgpr_count:     166
    .vgpr_spill_count: 0
    .wavefront_size: 32
    .workgroup_processor_mode: 1
  - .args:
      - .address_space:  global
        .offset:         0
        .size:           8
        .value_kind:     global_buffer
      - .address_space:  global
        .offset:         8
        .size:           8
        .value_kind:     global_buffer
      - .offset:         16
        .size:           4
        .value_kind:     by_value
      - .offset:         20
        .size:           4
        .value_kind:     by_value
      - .offset:         24
        .size:           4
        .value_kind:     by_value
      - .offset:         28
        .size:           4
        .value_kind:     by_value
      - .offset:         32
        .size:           4
        .value_kind:     by_value
      - .offset:         36
        .size:           4
        .value_kind:     by_value
      - .offset:         40
        .size:           12
        .value_kind:     by_value
      - .offset:         52
        .size:           12
        .value_kind:     by_value
      - .offset:         64
        .size:           12
        .value_kind:     by_value
    .group_segment_fixed_size: 0
    .kernarg_segment_align: 8
    .kernarg_segment_size: 76
    .language:       OpenCL C
    .language_version:
      - 2
      - 0
    .max_flat_workgroup_size: 72
    .name:           _ZL33flash_attn_stream_k_fixup_uniformILi72ELi8ELi4EEvPfPK15HIP_vector_typeIfLj2EEiiiiiiS1_IjLj3EES5_S5_
    .private_segment_fixed_size: 0
    .sgpr_count:     26
    .sgpr_spill_count: 0
    .symbol:         _ZL33flash_attn_stream_k_fixup_uniformILi72ELi8ELi4EEvPfPK15HIP_vector_typeIfLj2EEiiiiiiS1_IjLj3EES5_S5_.kd
    .uniform_work_group_size: 1
    .uses_dynamic_stack: false
    .vgpr_count:     15
    .vgpr_spill_count: 0
    .wavefront_size: 32
    .workgroup_processor_mode: 1
  - .args:
      - .address_space:  global
        .offset:         0
        .size:           8
        .value_kind:     global_buffer
      - .address_space:  global
        .offset:         8
        .size:           8
        .value_kind:     global_buffer
      - .offset:         16
        .size:           4
        .value_kind:     by_value
      - .offset:         20
        .size:           4
        .value_kind:     by_value
      - .offset:         24
        .size:           4
        .value_kind:     by_value
      - .offset:         28
        .size:           4
        .value_kind:     by_value
      - .offset:         32
        .size:           12
        .value_kind:     by_value
      - .offset:         44
        .size:           12
        .value_kind:     by_value
      - .offset:         56
        .size:           12
        .value_kind:     by_value
      - .offset:         68
        .size:           12
        .value_kind:     by_value
      - .offset:         80
        .size:           4
        .value_kind:     hidden_block_count_x
      - .offset:         84
        .size:           4
        .value_kind:     hidden_block_count_y
      - .offset:         88
        .size:           4
        .value_kind:     hidden_block_count_z
      - .offset:         92
        .size:           2
        .value_kind:     hidden_group_size_x
      - .offset:         94
        .size:           2
        .value_kind:     hidden_group_size_y
      - .offset:         96
        .size:           2
        .value_kind:     hidden_group_size_z
      - .offset:         98
        .size:           2
        .value_kind:     hidden_remainder_x
      - .offset:         100
        .size:           2
        .value_kind:     hidden_remainder_y
      - .offset:         102
        .size:           2
        .value_kind:     hidden_remainder_z
      - .offset:         120
        .size:           8
        .value_kind:     hidden_global_offset_x
      - .offset:         128
        .size:           8
        .value_kind:     hidden_global_offset_y
      - .offset:         136
        .size:           8
        .value_kind:     hidden_global_offset_z
      - .offset:         144
        .size:           2
        .value_kind:     hidden_grid_dims
    .group_segment_fixed_size: 0
    .kernarg_segment_align: 8
    .kernarg_segment_size: 336
    .language:       OpenCL C
    .language_version:
      - 2
      - 0
    .max_flat_workgroup_size: 72
    .name:           _ZL33flash_attn_stream_k_fixup_generalILi72ELi8ELi4EEvPfPK15HIP_vector_typeIfLj2EEiiiiS1_IjLj3EES5_S5_S5_
    .private_segment_fixed_size: 0
    .sgpr_count:     33
    .sgpr_spill_count: 0
    .symbol:         _ZL33flash_attn_stream_k_fixup_generalILi72ELi8ELi4EEvPfPK15HIP_vector_typeIfLj2EEiiiiS1_IjLj3EES5_S5_S5_.kd
    .uniform_work_group_size: 1
    .uses_dynamic_stack: false
    .vgpr_count:     17
    .vgpr_spill_count: 0
    .wavefront_size: 32
    .workgroup_processor_mode: 1
  - .args:
      - .address_space:  global
        .offset:         0
        .size:           8
        .value_kind:     global_buffer
      - .address_space:  global
        .offset:         8
        .size:           8
        .value_kind:     global_buffer
      - .address_space:  global
        .offset:         16
        .size:           8
        .value_kind:     global_buffer
      - .address_space:  global
        .offset:         24
        .size:           8
        .value_kind:     global_buffer
      - .address_space:  global
        .offset:         32
        .size:           8
        .value_kind:     global_buffer
      - .address_space:  global
        .offset:         40
        .size:           8
        .value_kind:     global_buffer
      - .address_space:  global
        .offset:         48
        .size:           8
        .value_kind:     global_buffer
      - .address_space:  global
        .offset:         56
        .size:           8
        .value_kind:     global_buffer
      - .offset:         64
        .size:           4
        .value_kind:     by_value
      - .offset:         68
        .size:           4
        .value_kind:     by_value
      - .offset:         72
        .size:           4
        .value_kind:     by_value
      - .offset:         76
        .size:           4
        .value_kind:     by_value
      - .offset:         80
        .size:           4
        .value_kind:     by_value
      - .offset:         84
        .size:           4
        .value_kind:     by_value
      - .offset:         88
        .size:           4
        .value_kind:     by_value
      - .offset:         92
        .size:           12
        .value_kind:     by_value
      - .offset:         104
        .size:           4
        .value_kind:     by_value
      - .offset:         108
        .size:           4
        .value_kind:     by_value
      - .offset:         112
        .size:           4
        .value_kind:     by_value
      - .offset:         116
        .size:           4
        .value_kind:     by_value
      - .offset:         120
        .size:           4
        .value_kind:     by_value
      - .offset:         124
        .size:           4
        .value_kind:     by_value
      - .offset:         128
        .size:           4
        .value_kind:     by_value
      - .offset:         132
        .size:           4
        .value_kind:     by_value
      - .offset:         136
        .size:           4
        .value_kind:     by_value
      - .offset:         140
        .size:           4
        .value_kind:     by_value
      - .offset:         144
        .size:           4
        .value_kind:     by_value
      - .offset:         152
        .size:           8
        .value_kind:     by_value
      - .offset:         160
        .size:           4
        .value_kind:     by_value
      - .offset:         164
        .size:           4
        .value_kind:     by_value
      - .offset:         168
        .size:           8
        .value_kind:     by_value
      - .offset:         176
        .size:           4
        .value_kind:     by_value
      - .offset:         180
        .size:           4
        .value_kind:     by_value
      - .offset:         184
        .size:           4
        .value_kind:     by_value
      - .offset:         188
        .size:           4
        .value_kind:     by_value
      - .offset:         192
        .size:           4
        .value_kind:     by_value
      - .offset:         200
        .size:           8
        .value_kind:     by_value
      - .offset:         208
        .size:           4
        .value_kind:     hidden_block_count_x
      - .offset:         212
        .size:           4
        .value_kind:     hidden_block_count_y
      - .offset:         216
        .size:           4
        .value_kind:     hidden_block_count_z
      - .offset:         220
        .size:           2
        .value_kind:     hidden_group_size_x
      - .offset:         222
        .size:           2
        .value_kind:     hidden_group_size_y
      - .offset:         224
        .size:           2
        .value_kind:     hidden_group_size_z
      - .offset:         226
        .size:           2
        .value_kind:     hidden_remainder_x
      - .offset:         228
        .size:           2
        .value_kind:     hidden_remainder_y
      - .offset:         230
        .size:           2
        .value_kind:     hidden_remainder_z
      - .offset:         248
        .size:           8
        .value_kind:     hidden_global_offset_x
      - .offset:         256
        .size:           8
        .value_kind:     hidden_global_offset_y
      - .offset:         264
        .size:           8
        .value_kind:     hidden_global_offset_z
      - .offset:         272
        .size:           2
        .value_kind:     hidden_grid_dims
    .group_segment_fixed_size: 8672
    .kernarg_segment_align: 8
    .kernarg_segment_size: 464
    .language:       OpenCL C
    .language_version:
      - 2
      - 0
    .max_flat_workgroup_size: 256
    .name:           _ZL15flash_attn_tileILi72ELi72ELi4ELi4ELb0EEvPKcS1_S1_S1_S1_PKiPfP15HIP_vector_typeIfLj2EEffffjfiS5_IjLj3EEiiiiiiiiiiiliiliiiiil
    .private_segment_fixed_size: 0
    .sgpr_count:     43
    .sgpr_spill_count: 0
    .symbol:         _ZL15flash_attn_tileILi72ELi72ELi4ELi4ELb0EEvPKcS1_S1_S1_S1_PKiPfP15HIP_vector_typeIfLj2EEffffjfiS5_IjLj3EEiiiiiiiiiiiliiliiiiil.kd
    .uniform_work_group_size: 1
    .uses_dynamic_stack: false
    .vgpr_count:     128
    .vgpr_spill_count: 0
    .wavefront_size: 32
    .workgroup_processor_mode: 1
  - .args:
      - .address_space:  global
        .offset:         0
        .size:           8
        .value_kind:     global_buffer
      - .address_space:  global
        .offset:         8
        .size:           8
        .value_kind:     global_buffer
      - .offset:         16
        .size:           4
        .value_kind:     by_value
      - .offset:         20
        .size:           4
        .value_kind:     by_value
      - .offset:         24
        .size:           4
        .value_kind:     by_value
      - .offset:         28
        .size:           4
        .value_kind:     by_value
      - .offset:         32
        .size:           4
        .value_kind:     by_value
      - .offset:         36
        .size:           4
        .value_kind:     by_value
      - .offset:         40
        .size:           12
        .value_kind:     by_value
      - .offset:         52
        .size:           12
        .value_kind:     by_value
      - .offset:         64
        .size:           12
        .value_kind:     by_value
    .group_segment_fixed_size: 0
    .kernarg_segment_align: 8
    .kernarg_segment_size: 76
    .language:       OpenCL C
    .language_version:
      - 2
      - 0
    .max_flat_workgroup_size: 72
    .name:           _ZL33flash_attn_stream_k_fixup_uniformILi72ELi4ELi4EEvPfPK15HIP_vector_typeIfLj2EEiiiiiiS1_IjLj3EES5_S5_
    .private_segment_fixed_size: 0
    .sgpr_count:     26
    .sgpr_spill_count: 0
    .symbol:         _ZL33flash_attn_stream_k_fixup_uniformILi72ELi4ELi4EEvPfPK15HIP_vector_typeIfLj2EEiiiiiiS1_IjLj3EES5_S5_.kd
    .uniform_work_group_size: 1
    .uses_dynamic_stack: false
    .vgpr_count:     15
    .vgpr_spill_count: 0
    .wavefront_size: 32
    .workgroup_processor_mode: 1
  - .args:
      - .address_space:  global
        .offset:         0
        .size:           8
        .value_kind:     global_buffer
      - .address_space:  global
        .offset:         8
        .size:           8
        .value_kind:     global_buffer
      - .offset:         16
        .size:           4
        .value_kind:     by_value
      - .offset:         20
        .size:           4
        .value_kind:     by_value
      - .offset:         24
        .size:           4
        .value_kind:     by_value
      - .offset:         28
        .size:           4
        .value_kind:     by_value
      - .offset:         32
        .size:           12
        .value_kind:     by_value
      - .offset:         44
        .size:           12
        .value_kind:     by_value
      - .offset:         56
        .size:           12
        .value_kind:     by_value
      - .offset:         68
        .size:           12
        .value_kind:     by_value
      - .offset:         80
        .size:           4
        .value_kind:     hidden_block_count_x
      - .offset:         84
        .size:           4
        .value_kind:     hidden_block_count_y
      - .offset:         88
        .size:           4
        .value_kind:     hidden_block_count_z
      - .offset:         92
        .size:           2
        .value_kind:     hidden_group_size_x
      - .offset:         94
        .size:           2
        .value_kind:     hidden_group_size_y
      - .offset:         96
        .size:           2
        .value_kind:     hidden_group_size_z
      - .offset:         98
        .size:           2
        .value_kind:     hidden_remainder_x
      - .offset:         100
        .size:           2
        .value_kind:     hidden_remainder_y
      - .offset:         102
        .size:           2
        .value_kind:     hidden_remainder_z
      - .offset:         120
        .size:           8
        .value_kind:     hidden_global_offset_x
      - .offset:         128
        .size:           8
        .value_kind:     hidden_global_offset_y
      - .offset:         136
        .size:           8
        .value_kind:     hidden_global_offset_z
      - .offset:         144
        .size:           2
        .value_kind:     hidden_grid_dims
    .group_segment_fixed_size: 0
    .kernarg_segment_align: 8
    .kernarg_segment_size: 336
    .language:       OpenCL C
    .language_version:
      - 2
      - 0
    .max_flat_workgroup_size: 72
    .name:           _ZL33flash_attn_stream_k_fixup_generalILi72ELi4ELi4EEvPfPK15HIP_vector_typeIfLj2EEiiiiS1_IjLj3EES5_S5_S5_
    .private_segment_fixed_size: 0
    .sgpr_count:     33
    .sgpr_spill_count: 0
    .symbol:         _ZL33flash_attn_stream_k_fixup_generalILi72ELi4ELi4EEvPfPK15HIP_vector_typeIfLj2EEiiiiS1_IjLj3EES5_S5_S5_.kd
    .uniform_work_group_size: 1
    .uses_dynamic_stack: false
    .vgpr_count:     17
    .vgpr_spill_count: 0
    .wavefront_size: 32
    .workgroup_processor_mode: 1
  - .args:
      - .address_space:  global
        .offset:         0
        .size:           8
        .value_kind:     global_buffer
      - .address_space:  global
        .offset:         8
        .size:           8
        .value_kind:     global_buffer
      - .address_space:  global
        .offset:         16
        .size:           8
        .value_kind:     global_buffer
      - .address_space:  global
        .offset:         24
        .size:           8
        .value_kind:     global_buffer
      - .address_space:  global
        .offset:         32
        .size:           8
        .value_kind:     global_buffer
      - .address_space:  global
        .offset:         40
        .size:           8
        .value_kind:     global_buffer
      - .address_space:  global
        .offset:         48
        .size:           8
        .value_kind:     global_buffer
      - .address_space:  global
        .offset:         56
        .size:           8
        .value_kind:     global_buffer
      - .offset:         64
        .size:           4
        .value_kind:     by_value
      - .offset:         68
        .size:           4
        .value_kind:     by_value
      - .offset:         72
        .size:           4
        .value_kind:     by_value
      - .offset:         76
        .size:           4
        .value_kind:     by_value
      - .offset:         80
        .size:           4
        .value_kind:     by_value
      - .offset:         84
        .size:           4
        .value_kind:     by_value
      - .offset:         88
        .size:           4
        .value_kind:     by_value
      - .offset:         92
        .size:           12
        .value_kind:     by_value
      - .offset:         104
        .size:           4
        .value_kind:     by_value
      - .offset:         108
        .size:           4
        .value_kind:     by_value
      - .offset:         112
        .size:           4
        .value_kind:     by_value
      - .offset:         116
        .size:           4
        .value_kind:     by_value
      - .offset:         120
        .size:           4
        .value_kind:     by_value
      - .offset:         124
        .size:           4
        .value_kind:     by_value
      - .offset:         128
        .size:           4
        .value_kind:     by_value
      - .offset:         132
        .size:           4
        .value_kind:     by_value
      - .offset:         136
        .size:           4
        .value_kind:     by_value
      - .offset:         140
        .size:           4
        .value_kind:     by_value
      - .offset:         144
        .size:           4
        .value_kind:     by_value
      - .offset:         152
        .size:           8
        .value_kind:     by_value
      - .offset:         160
        .size:           4
        .value_kind:     by_value
      - .offset:         164
        .size:           4
        .value_kind:     by_value
      - .offset:         168
        .size:           8
        .value_kind:     by_value
      - .offset:         176
        .size:           4
        .value_kind:     by_value
      - .offset:         180
        .size:           4
        .value_kind:     by_value
      - .offset:         184
        .size:           4
        .value_kind:     by_value
      - .offset:         188
        .size:           4
        .value_kind:     by_value
      - .offset:         192
        .size:           4
        .value_kind:     by_value
      - .offset:         200
        .size:           8
        .value_kind:     by_value
      - .offset:         208
        .size:           4
        .value_kind:     hidden_block_count_x
      - .offset:         212
        .size:           4
        .value_kind:     hidden_block_count_y
      - .offset:         216
        .size:           4
        .value_kind:     hidden_block_count_z
      - .offset:         220
        .size:           2
        .value_kind:     hidden_group_size_x
      - .offset:         222
        .size:           2
        .value_kind:     hidden_group_size_y
      - .offset:         224
        .size:           2
        .value_kind:     hidden_group_size_z
      - .offset:         226
        .size:           2
        .value_kind:     hidden_remainder_x
      - .offset:         228
        .size:           2
        .value_kind:     hidden_remainder_y
      - .offset:         230
        .size:           2
        .value_kind:     hidden_remainder_z
      - .offset:         248
        .size:           8
        .value_kind:     hidden_global_offset_x
      - .offset:         256
        .size:           8
        .value_kind:     hidden_global_offset_y
      - .offset:         264
        .size:           8
        .value_kind:     hidden_global_offset_z
      - .offset:         272
        .size:           2
        .value_kind:     hidden_grid_dims
    .group_segment_fixed_size: 7008
    .kernarg_segment_align: 8
    .kernarg_segment_size: 464
    .language:       OpenCL C
    .language_version:
      - 2
      - 0
    .max_flat_workgroup_size: 256
    .name:           _ZL15flash_attn_tileILi72ELi72ELi2ELi4ELb0EEvPKcS1_S1_S1_S1_PKiPfP15HIP_vector_typeIfLj2EEffffjfiS5_IjLj3EEiiiiiiiiiiiliiliiiiil
    .private_segment_fixed_size: 0
    .sgpr_count:     46
    .sgpr_spill_count: 0
    .symbol:         _ZL15flash_attn_tileILi72ELi72ELi2ELi4ELb0EEvPKcS1_S1_S1_S1_PKiPfP15HIP_vector_typeIfLj2EEffffjfiS5_IjLj3EEiiiiiiiiiiiliiliiiiil.kd
    .uniform_work_group_size: 1
    .uses_dynamic_stack: false
    .vgpr_count:     62
    .vgpr_spill_count: 0
    .wavefront_size: 32
    .workgroup_processor_mode: 1
  - .args:
      - .address_space:  global
        .offset:         0
        .size:           8
        .value_kind:     global_buffer
      - .address_space:  global
        .offset:         8
        .size:           8
        .value_kind:     global_buffer
      - .offset:         16
        .size:           4
        .value_kind:     by_value
      - .offset:         20
        .size:           4
        .value_kind:     by_value
      - .offset:         24
        .size:           4
        .value_kind:     by_value
      - .offset:         28
        .size:           4
        .value_kind:     by_value
      - .offset:         32
        .size:           4
        .value_kind:     by_value
      - .offset:         36
        .size:           4
        .value_kind:     by_value
      - .offset:         40
        .size:           12
        .value_kind:     by_value
      - .offset:         52
        .size:           12
        .value_kind:     by_value
      - .offset:         64
        .size:           12
        .value_kind:     by_value
    .group_segment_fixed_size: 0
    .kernarg_segment_align: 8
    .kernarg_segment_size: 76
    .language:       OpenCL C
    .language_version:
      - 2
      - 0
    .max_flat_workgroup_size: 72
    .name:           _ZL33flash_attn_stream_k_fixup_uniformILi72ELi2ELi4EEvPfPK15HIP_vector_typeIfLj2EEiiiiiiS1_IjLj3EES5_S5_
    .private_segment_fixed_size: 0
    .sgpr_count:     26
    .sgpr_spill_count: 0
    .symbol:         _ZL33flash_attn_stream_k_fixup_uniformILi72ELi2ELi4EEvPfPK15HIP_vector_typeIfLj2EEiiiiiiS1_IjLj3EES5_S5_.kd
    .uniform_work_group_size: 1
    .uses_dynamic_stack: false
    .vgpr_count:     15
    .vgpr_spill_count: 0
    .wavefront_size: 32
    .workgroup_processor_mode: 1
  - .args:
      - .address_space:  global
        .offset:         0
        .size:           8
        .value_kind:     global_buffer
      - .address_space:  global
        .offset:         8
        .size:           8
        .value_kind:     global_buffer
      - .offset:         16
        .size:           4
        .value_kind:     by_value
      - .offset:         20
        .size:           4
        .value_kind:     by_value
      - .offset:         24
        .size:           4
        .value_kind:     by_value
      - .offset:         28
        .size:           4
        .value_kind:     by_value
      - .offset:         32
        .size:           12
        .value_kind:     by_value
      - .offset:         44
        .size:           12
        .value_kind:     by_value
      - .offset:         56
        .size:           12
        .value_kind:     by_value
      - .offset:         68
        .size:           12
        .value_kind:     by_value
      - .offset:         80
        .size:           4
        .value_kind:     hidden_block_count_x
      - .offset:         84
        .size:           4
        .value_kind:     hidden_block_count_y
      - .offset:         88
        .size:           4
        .value_kind:     hidden_block_count_z
      - .offset:         92
        .size:           2
        .value_kind:     hidden_group_size_x
      - .offset:         94
        .size:           2
        .value_kind:     hidden_group_size_y
      - .offset:         96
        .size:           2
        .value_kind:     hidden_group_size_z
      - .offset:         98
        .size:           2
        .value_kind:     hidden_remainder_x
      - .offset:         100
        .size:           2
        .value_kind:     hidden_remainder_y
      - .offset:         102
        .size:           2
        .value_kind:     hidden_remainder_z
      - .offset:         120
        .size:           8
        .value_kind:     hidden_global_offset_x
      - .offset:         128
        .size:           8
        .value_kind:     hidden_global_offset_y
      - .offset:         136
        .size:           8
        .value_kind:     hidden_global_offset_z
      - .offset:         144
        .size:           2
        .value_kind:     hidden_grid_dims
    .group_segment_fixed_size: 0
    .kernarg_segment_align: 8
    .kernarg_segment_size: 336
    .language:       OpenCL C
    .language_version:
      - 2
      - 0
    .max_flat_workgroup_size: 72
    .name:           _ZL33flash_attn_stream_k_fixup_generalILi72ELi2ELi4EEvPfPK15HIP_vector_typeIfLj2EEiiiiS1_IjLj3EES5_S5_S5_
    .private_segment_fixed_size: 0
    .sgpr_count:     33
    .sgpr_spill_count: 0
    .symbol:         _ZL33flash_attn_stream_k_fixup_generalILi72ELi2ELi4EEvPfPK15HIP_vector_typeIfLj2EEiiiiS1_IjLj3EES5_S5_S5_.kd
    .uniform_work_group_size: 1
    .uses_dynamic_stack: false
    .vgpr_count:     17
    .vgpr_spill_count: 0
    .wavefront_size: 32
    .workgroup_processor_mode: 1
  - .args:
      - .address_space:  global
        .offset:         0
        .size:           8
        .value_kind:     global_buffer
      - .address_space:  global
        .offset:         8
        .size:           8
        .value_kind:     global_buffer
      - .address_space:  global
        .offset:         16
        .size:           8
        .value_kind:     global_buffer
      - .address_space:  global
        .offset:         24
        .size:           8
        .value_kind:     global_buffer
      - .address_space:  global
        .offset:         32
        .size:           8
        .value_kind:     global_buffer
      - .address_space:  global
        .offset:         40
        .size:           8
        .value_kind:     global_buffer
      - .address_space:  global
        .offset:         48
        .size:           8
        .value_kind:     global_buffer
      - .address_space:  global
        .offset:         56
        .size:           8
        .value_kind:     global_buffer
      - .offset:         64
        .size:           4
        .value_kind:     by_value
      - .offset:         68
        .size:           4
        .value_kind:     by_value
      - .offset:         72
        .size:           4
        .value_kind:     by_value
      - .offset:         76
        .size:           4
        .value_kind:     by_value
      - .offset:         80
        .size:           4
        .value_kind:     by_value
      - .offset:         84
        .size:           4
        .value_kind:     by_value
      - .offset:         88
        .size:           4
        .value_kind:     by_value
      - .offset:         92
        .size:           12
        .value_kind:     by_value
      - .offset:         104
        .size:           4
        .value_kind:     by_value
      - .offset:         108
        .size:           4
        .value_kind:     by_value
      - .offset:         112
        .size:           4
        .value_kind:     by_value
      - .offset:         116
        .size:           4
        .value_kind:     by_value
      - .offset:         120
        .size:           4
        .value_kind:     by_value
      - .offset:         124
        .size:           4
        .value_kind:     by_value
      - .offset:         128
        .size:           4
        .value_kind:     by_value
      - .offset:         132
        .size:           4
        .value_kind:     by_value
      - .offset:         136
        .size:           4
        .value_kind:     by_value
      - .offset:         140
        .size:           4
        .value_kind:     by_value
      - .offset:         144
        .size:           4
        .value_kind:     by_value
      - .offset:         152
        .size:           8
        .value_kind:     by_value
      - .offset:         160
        .size:           4
        .value_kind:     by_value
      - .offset:         164
        .size:           4
        .value_kind:     by_value
      - .offset:         168
        .size:           8
        .value_kind:     by_value
      - .offset:         176
        .size:           4
        .value_kind:     by_value
      - .offset:         180
        .size:           4
        .value_kind:     by_value
      - .offset:         184
        .size:           4
        .value_kind:     by_value
      - .offset:         188
        .size:           4
        .value_kind:     by_value
      - .offset:         192
        .size:           4
        .value_kind:     by_value
      - .offset:         200
        .size:           8
        .value_kind:     by_value
      - .offset:         208
        .size:           4
        .value_kind:     hidden_block_count_x
      - .offset:         212
        .size:           4
        .value_kind:     hidden_block_count_y
      - .offset:         216
        .size:           4
        .value_kind:     hidden_block_count_z
      - .offset:         220
        .size:           2
        .value_kind:     hidden_group_size_x
      - .offset:         222
        .size:           2
        .value_kind:     hidden_group_size_y
      - .offset:         224
        .size:           2
        .value_kind:     hidden_group_size_z
      - .offset:         226
        .size:           2
        .value_kind:     hidden_remainder_x
      - .offset:         228
        .size:           2
        .value_kind:     hidden_remainder_y
      - .offset:         230
        .size:           2
        .value_kind:     hidden_remainder_z
      - .offset:         248
        .size:           8
        .value_kind:     hidden_global_offset_x
      - .offset:         256
        .size:           8
        .value_kind:     hidden_global_offset_y
      - .offset:         264
        .size:           8
        .value_kind:     hidden_global_offset_z
      - .offset:         272
        .size:           2
        .value_kind:     hidden_grid_dims
    .group_segment_fixed_size: 6176
    .kernarg_segment_align: 8
    .kernarg_segment_size: 464
    .language:       OpenCL C
    .language_version:
      - 2
      - 0
    .max_flat_workgroup_size: 128
    .name:           _ZL15flash_attn_tileILi72ELi72ELi1ELi4ELb0EEvPKcS1_S1_S1_S1_PKiPfP15HIP_vector_typeIfLj2EEffffjfiS5_IjLj3EEiiiiiiiiiiiliiliiiiil
    .private_segment_fixed_size: 0
    .sgpr_count:     46
    .sgpr_spill_count: 0
    .symbol:         _ZL15flash_attn_tileILi72ELi72ELi1ELi4ELb0EEvPKcS1_S1_S1_S1_PKiPfP15HIP_vector_typeIfLj2EEffffjfiS5_IjLj3EEiiiiiiiiiiiliiliiiiil.kd
    .uniform_work_group_size: 1
    .uses_dynamic_stack: false
    .vgpr_count:     64
    .vgpr_spill_count: 0
    .wavefront_size: 32
    .workgroup_processor_mode: 1
  - .args:
      - .address_space:  global
        .offset:         0
        .size:           8
        .value_kind:     global_buffer
      - .address_space:  global
        .offset:         8
        .size:           8
        .value_kind:     global_buffer
      - .offset:         16
        .size:           4
        .value_kind:     by_value
      - .offset:         20
        .size:           4
        .value_kind:     by_value
      - .offset:         24
        .size:           4
        .value_kind:     by_value
      - .offset:         28
        .size:           4
        .value_kind:     by_value
      - .offset:         32
        .size:           4
        .value_kind:     by_value
      - .offset:         36
        .size:           4
        .value_kind:     by_value
      - .offset:         40
        .size:           12
        .value_kind:     by_value
      - .offset:         52
        .size:           12
        .value_kind:     by_value
      - .offset:         64
        .size:           12
        .value_kind:     by_value
    .group_segment_fixed_size: 0
    .kernarg_segment_align: 8
    .kernarg_segment_size: 76
    .language:       OpenCL C
    .language_version:
      - 2
      - 0
    .max_flat_workgroup_size: 72
    .name:           _ZL33flash_attn_stream_k_fixup_uniformILi72ELi1ELi4EEvPfPK15HIP_vector_typeIfLj2EEiiiiiiS1_IjLj3EES5_S5_
    .private_segment_fixed_size: 0
    .sgpr_count:     26
    .sgpr_spill_count: 0
    .symbol:         _ZL33flash_attn_stream_k_fixup_uniformILi72ELi1ELi4EEvPfPK15HIP_vector_typeIfLj2EEiiiiiiS1_IjLj3EES5_S5_.kd
    .uniform_work_group_size: 1
    .uses_dynamic_stack: false
    .vgpr_count:     15
    .vgpr_spill_count: 0
    .wavefront_size: 32
    .workgroup_processor_mode: 1
  - .args:
      - .address_space:  global
        .offset:         0
        .size:           8
        .value_kind:     global_buffer
      - .address_space:  global
        .offset:         8
        .size:           8
        .value_kind:     global_buffer
      - .offset:         16
        .size:           4
        .value_kind:     by_value
      - .offset:         20
        .size:           4
        .value_kind:     by_value
      - .offset:         24
        .size:           4
        .value_kind:     by_value
      - .offset:         28
        .size:           4
        .value_kind:     by_value
      - .offset:         32
        .size:           12
        .value_kind:     by_value
      - .offset:         44
        .size:           12
        .value_kind:     by_value
      - .offset:         56
        .size:           12
        .value_kind:     by_value
      - .offset:         68
        .size:           12
        .value_kind:     by_value
      - .offset:         80
        .size:           4
        .value_kind:     hidden_block_count_x
      - .offset:         84
        .size:           4
        .value_kind:     hidden_block_count_y
      - .offset:         88
        .size:           4
        .value_kind:     hidden_block_count_z
      - .offset:         92
        .size:           2
        .value_kind:     hidden_group_size_x
      - .offset:         94
        .size:           2
        .value_kind:     hidden_group_size_y
      - .offset:         96
        .size:           2
        .value_kind:     hidden_group_size_z
      - .offset:         98
        .size:           2
        .value_kind:     hidden_remainder_x
      - .offset:         100
        .size:           2
        .value_kind:     hidden_remainder_y
      - .offset:         102
        .size:           2
        .value_kind:     hidden_remainder_z
      - .offset:         120
        .size:           8
        .value_kind:     hidden_global_offset_x
      - .offset:         128
        .size:           8
        .value_kind:     hidden_global_offset_y
      - .offset:         136
        .size:           8
        .value_kind:     hidden_global_offset_z
      - .offset:         144
        .size:           2
        .value_kind:     hidden_grid_dims
    .group_segment_fixed_size: 0
    .kernarg_segment_align: 8
    .kernarg_segment_size: 336
    .language:       OpenCL C
    .language_version:
      - 2
      - 0
    .max_flat_workgroup_size: 72
    .name:           _ZL33flash_attn_stream_k_fixup_generalILi72ELi1ELi4EEvPfPK15HIP_vector_typeIfLj2EEiiiiS1_IjLj3EES5_S5_S5_
    .private_segment_fixed_size: 0
    .sgpr_count:     33
    .sgpr_spill_count: 0
    .symbol:         _ZL33flash_attn_stream_k_fixup_generalILi72ELi1ELi4EEvPfPK15HIP_vector_typeIfLj2EEiiiiS1_IjLj3EES5_S5_S5_.kd
    .uniform_work_group_size: 1
    .uses_dynamic_stack: false
    .vgpr_count:     17
    .vgpr_spill_count: 0
    .wavefront_size: 32
    .workgroup_processor_mode: 1
  - .args:
      - .address_space:  global
        .offset:         0
        .size:           8
        .value_kind:     global_buffer
      - .address_space:  global
        .offset:         8
        .size:           8
        .value_kind:     global_buffer
      - .address_space:  global
        .offset:         16
        .size:           8
        .value_kind:     global_buffer
      - .address_space:  global
        .offset:         24
        .size:           8
        .value_kind:     global_buffer
      - .address_space:  global
        .offset:         32
        .size:           8
        .value_kind:     global_buffer
      - .address_space:  global
        .offset:         40
        .size:           8
        .value_kind:     global_buffer
      - .address_space:  global
        .offset:         48
        .size:           8
        .value_kind:     global_buffer
      - .address_space:  global
        .offset:         56
        .size:           8
        .value_kind:     global_buffer
      - .offset:         64
        .size:           4
        .value_kind:     by_value
      - .offset:         68
        .size:           4
        .value_kind:     by_value
      - .offset:         72
        .size:           4
        .value_kind:     by_value
      - .offset:         76
        .size:           4
        .value_kind:     by_value
      - .offset:         80
        .size:           4
        .value_kind:     by_value
      - .offset:         84
        .size:           4
        .value_kind:     by_value
      - .offset:         88
        .size:           4
        .value_kind:     by_value
      - .offset:         92
        .size:           12
        .value_kind:     by_value
      - .offset:         104
        .size:           4
        .value_kind:     by_value
      - .offset:         108
        .size:           4
        .value_kind:     by_value
      - .offset:         112
        .size:           4
        .value_kind:     by_value
      - .offset:         116
        .size:           4
        .value_kind:     by_value
      - .offset:         120
        .size:           4
        .value_kind:     by_value
      - .offset:         124
        .size:           4
        .value_kind:     by_value
      - .offset:         128
        .size:           4
        .value_kind:     by_value
      - .offset:         132
        .size:           4
        .value_kind:     by_value
      - .offset:         136
        .size:           4
        .value_kind:     by_value
      - .offset:         140
        .size:           4
        .value_kind:     by_value
      - .offset:         144
        .size:           4
        .value_kind:     by_value
      - .offset:         152
        .size:           8
        .value_kind:     by_value
      - .offset:         160
        .size:           4
        .value_kind:     by_value
      - .offset:         164
        .size:           4
        .value_kind:     by_value
      - .offset:         168
        .size:           8
        .value_kind:     by_value
      - .offset:         176
        .size:           4
        .value_kind:     by_value
      - .offset:         180
        .size:           4
        .value_kind:     by_value
      - .offset:         184
        .size:           4
        .value_kind:     by_value
      - .offset:         188
        .size:           4
        .value_kind:     by_value
      - .offset:         192
        .size:           4
        .value_kind:     by_value
      - .offset:         200
        .size:           8
        .value_kind:     by_value
      - .offset:         208
        .size:           4
        .value_kind:     hidden_block_count_x
      - .offset:         212
        .size:           4
        .value_kind:     hidden_block_count_y
      - .offset:         216
        .size:           4
        .value_kind:     hidden_block_count_z
      - .offset:         220
        .size:           2
        .value_kind:     hidden_group_size_x
      - .offset:         222
        .size:           2
        .value_kind:     hidden_group_size_y
      - .offset:         224
        .size:           2
        .value_kind:     hidden_group_size_z
      - .offset:         226
        .size:           2
        .value_kind:     hidden_remainder_x
      - .offset:         228
        .size:           2
        .value_kind:     hidden_remainder_y
      - .offset:         230
        .size:           2
        .value_kind:     hidden_remainder_z
      - .offset:         248
        .size:           8
        .value_kind:     hidden_global_offset_x
      - .offset:         256
        .size:           8
        .value_kind:     hidden_global_offset_y
      - .offset:         264
        .size:           8
        .value_kind:     hidden_global_offset_z
      - .offset:         272
        .size:           2
        .value_kind:     hidden_grid_dims
    .group_segment_fixed_size: 18656
    .kernarg_segment_align: 8
    .kernarg_segment_size: 464
    .language:       OpenCL C
    .language_version:
      - 2
      - 0
    .max_flat_workgroup_size: 256
    .name:           _ZL15flash_attn_tileILi72ELi72ELi32ELi2ELb0EEvPKcS1_S1_S1_S1_PKiPfP15HIP_vector_typeIfLj2EEffffjfiS5_IjLj3EEiiiiiiiiiiiliiliiiiil
    .private_segment_fixed_size: 0
    .sgpr_count:     50
    .sgpr_spill_count: 0
    .symbol:         _ZL15flash_attn_tileILi72ELi72ELi32ELi2ELb0EEvPKcS1_S1_S1_S1_PKiPfP15HIP_vector_typeIfLj2EEffffjfiS5_IjLj3EEiiiiiiiiiiiliiliiiiil.kd
    .uniform_work_group_size: 1
    .uses_dynamic_stack: false
    .vgpr_count:     187
    .vgpr_spill_count: 0
    .wavefront_size: 32
    .workgroup_processor_mode: 1
  - .args:
      - .actual_access:  read_only
        .address_space:  global
        .offset:         0
        .size:           8
        .value_kind:     global_buffer
      - .actual_access:  write_only
        .address_space:  global
        .offset:         8
        .size:           8
        .value_kind:     global_buffer
      - .offset:         16
        .size:           4
        .value_kind:     by_value
      - .offset:         20
        .size:           4
        .value_kind:     by_value
      - .offset:         24
        .size:           4
        .value_kind:     by_value
      - .offset:         32
        .size:           4
        .value_kind:     hidden_block_count_x
      - .offset:         36
        .size:           4
        .value_kind:     hidden_block_count_y
      - .offset:         40
        .size:           4
        .value_kind:     hidden_block_count_z
      - .offset:         44
        .size:           2
        .value_kind:     hidden_group_size_x
      - .offset:         46
        .size:           2
        .value_kind:     hidden_group_size_y
      - .offset:         48
        .size:           2
        .value_kind:     hidden_group_size_z
      - .offset:         50
        .size:           2
        .value_kind:     hidden_remainder_x
      - .offset:         52
        .size:           2
        .value_kind:     hidden_remainder_y
      - .offset:         54
        .size:           2
        .value_kind:     hidden_remainder_z
      - .offset:         72
        .size:           8
        .value_kind:     hidden_global_offset_x
      - .offset:         80
        .size:           8
        .value_kind:     hidden_global_offset_y
      - .offset:         88
        .size:           8
        .value_kind:     hidden_global_offset_z
      - .offset:         96
        .size:           2
        .value_kind:     hidden_grid_dims
    .group_segment_fixed_size: 128
    .kernarg_segment_align: 8
    .kernarg_segment_size: 288
    .language:       OpenCL C
    .language_version:
      - 2
      - 0
    .max_flat_workgroup_size: 128
    .name:           _ZL25flash_attn_mask_to_KV_maxILi32EEvPK7__half2Piiii
    .private_segment_fixed_size: 0
    .sgpr_count:     78
    .sgpr_spill_count: 0
    .symbol:         _ZL25flash_attn_mask_to_KV_maxILi32EEvPK7__half2Piiii.kd
    .uniform_work_group_size: 1
    .uses_dynamic_stack: false
    .vgpr_count:     10
    .vgpr_spill_count: 0
    .wavefront_size: 32
    .workgroup_processor_mode: 1
  - .args:
      - .address_space:  global
        .offset:         0
        .size:           8
        .value_kind:     global_buffer
      - .address_space:  global
        .offset:         8
        .size:           8
        .value_kind:     global_buffer
      - .offset:         16
        .size:           4
        .value_kind:     by_value
      - .offset:         20
        .size:           4
        .value_kind:     by_value
      - .offset:         24
        .size:           4
        .value_kind:     by_value
      - .offset:         28
        .size:           4
        .value_kind:     by_value
      - .offset:         32
        .size:           4
        .value_kind:     by_value
      - .offset:         36
        .size:           4
        .value_kind:     by_value
      - .offset:         40
        .size:           12
        .value_kind:     by_value
      - .offset:         52
        .size:           12
        .value_kind:     by_value
      - .offset:         64
        .size:           12
        .value_kind:     by_value
    .group_segment_fixed_size: 0
    .kernarg_segment_align: 8
    .kernarg_segment_size: 76
    .language:       OpenCL C
    .language_version:
      - 2
      - 0
    .max_flat_workgroup_size: 72
    .name:           _ZL33flash_attn_stream_k_fixup_uniformILi72ELi32ELi2EEvPfPK15HIP_vector_typeIfLj2EEiiiiiiS1_IjLj3EES5_S5_
    .private_segment_fixed_size: 0
    .sgpr_count:     26
    .sgpr_spill_count: 0
    .symbol:         _ZL33flash_attn_stream_k_fixup_uniformILi72ELi32ELi2EEvPfPK15HIP_vector_typeIfLj2EEiiiiiiS1_IjLj3EES5_S5_.kd
    .uniform_work_group_size: 1
    .uses_dynamic_stack: false
    .vgpr_count:     15
    .vgpr_spill_count: 0
    .wavefront_size: 32
    .workgroup_processor_mode: 1
  - .args:
      - .address_space:  global
        .offset:         0
        .size:           8
        .value_kind:     global_buffer
      - .address_space:  global
        .offset:         8
        .size:           8
        .value_kind:     global_buffer
      - .offset:         16
        .size:           4
        .value_kind:     by_value
      - .offset:         20
        .size:           4
        .value_kind:     by_value
      - .offset:         24
        .size:           4
        .value_kind:     by_value
      - .offset:         28
        .size:           4
        .value_kind:     by_value
      - .offset:         32
        .size:           12
        .value_kind:     by_value
      - .offset:         44
        .size:           12
        .value_kind:     by_value
      - .offset:         56
        .size:           12
        .value_kind:     by_value
      - .offset:         68
        .size:           12
        .value_kind:     by_value
      - .offset:         80
        .size:           4
        .value_kind:     hidden_block_count_x
      - .offset:         84
        .size:           4
        .value_kind:     hidden_block_count_y
      - .offset:         88
        .size:           4
        .value_kind:     hidden_block_count_z
      - .offset:         92
        .size:           2
        .value_kind:     hidden_group_size_x
      - .offset:         94
        .size:           2
        .value_kind:     hidden_group_size_y
      - .offset:         96
        .size:           2
        .value_kind:     hidden_group_size_z
      - .offset:         98
        .size:           2
        .value_kind:     hidden_remainder_x
      - .offset:         100
        .size:           2
        .value_kind:     hidden_remainder_y
      - .offset:         102
        .size:           2
        .value_kind:     hidden_remainder_z
      - .offset:         120
        .size:           8
        .value_kind:     hidden_global_offset_x
      - .offset:         128
        .size:           8
        .value_kind:     hidden_global_offset_y
      - .offset:         136
        .size:           8
        .value_kind:     hidden_global_offset_z
      - .offset:         144
        .size:           2
        .value_kind:     hidden_grid_dims
    .group_segment_fixed_size: 0
    .kernarg_segment_align: 8
    .kernarg_segment_size: 336
    .language:       OpenCL C
    .language_version:
      - 2
      - 0
    .max_flat_workgroup_size: 72
    .name:           _ZL33flash_attn_stream_k_fixup_generalILi72ELi32ELi2EEvPfPK15HIP_vector_typeIfLj2EEiiiiS1_IjLj3EES5_S5_S5_
    .private_segment_fixed_size: 0
    .sgpr_count:     33
    .sgpr_spill_count: 0
    .symbol:         _ZL33flash_attn_stream_k_fixup_generalILi72ELi32ELi2EEvPfPK15HIP_vector_typeIfLj2EEiiiiS1_IjLj3EES5_S5_S5_.kd
    .uniform_work_group_size: 1
    .uses_dynamic_stack: false
    .vgpr_count:     17
    .vgpr_spill_count: 0
    .wavefront_size: 32
    .workgroup_processor_mode: 1
  - .args:
      - .address_space:  global
        .offset:         0
        .size:           8
        .value_kind:     global_buffer
      - .address_space:  global
        .offset:         8
        .size:           8
        .value_kind:     global_buffer
      - .address_space:  global
        .offset:         16
        .size:           8
        .value_kind:     global_buffer
      - .address_space:  global
        .offset:         24
        .size:           8
        .value_kind:     global_buffer
      - .address_space:  global
        .offset:         32
        .size:           8
        .value_kind:     global_buffer
      - .address_space:  global
        .offset:         40
        .size:           8
        .value_kind:     global_buffer
      - .address_space:  global
        .offset:         48
        .size:           8
        .value_kind:     global_buffer
      - .address_space:  global
        .offset:         56
        .size:           8
        .value_kind:     global_buffer
      - .offset:         64
        .size:           4
        .value_kind:     by_value
      - .offset:         68
        .size:           4
        .value_kind:     by_value
      - .offset:         72
        .size:           4
        .value_kind:     by_value
      - .offset:         76
        .size:           4
        .value_kind:     by_value
      - .offset:         80
        .size:           4
        .value_kind:     by_value
      - .offset:         84
        .size:           4
        .value_kind:     by_value
      - .offset:         88
        .size:           4
        .value_kind:     by_value
      - .offset:         92
        .size:           12
        .value_kind:     by_value
      - .offset:         104
        .size:           4
        .value_kind:     by_value
      - .offset:         108
        .size:           4
        .value_kind:     by_value
      - .offset:         112
        .size:           4
        .value_kind:     by_value
      - .offset:         116
        .size:           4
        .value_kind:     by_value
      - .offset:         120
        .size:           4
        .value_kind:     by_value
      - .offset:         124
        .size:           4
        .value_kind:     by_value
      - .offset:         128
        .size:           4
        .value_kind:     by_value
      - .offset:         132
        .size:           4
        .value_kind:     by_value
      - .offset:         136
        .size:           4
        .value_kind:     by_value
      - .offset:         140
        .size:           4
        .value_kind:     by_value
      - .offset:         144
        .size:           4
        .value_kind:     by_value
      - .offset:         152
        .size:           8
        .value_kind:     by_value
      - .offset:         160
        .size:           4
        .value_kind:     by_value
      - .offset:         164
        .size:           4
        .value_kind:     by_value
      - .offset:         168
        .size:           8
        .value_kind:     by_value
      - .offset:         176
        .size:           4
        .value_kind:     by_value
      - .offset:         180
        .size:           4
        .value_kind:     by_value
      - .offset:         184
        .size:           4
        .value_kind:     by_value
      - .offset:         188
        .size:           4
        .value_kind:     by_value
      - .offset:         192
        .size:           4
        .value_kind:     by_value
      - .offset:         200
        .size:           8
        .value_kind:     by_value
      - .offset:         208
        .size:           4
        .value_kind:     hidden_block_count_x
      - .offset:         212
        .size:           4
        .value_kind:     hidden_block_count_y
      - .offset:         216
        .size:           4
        .value_kind:     hidden_block_count_z
      - .offset:         220
        .size:           2
        .value_kind:     hidden_group_size_x
      - .offset:         222
        .size:           2
        .value_kind:     hidden_group_size_y
      - .offset:         224
        .size:           2
        .value_kind:     hidden_group_size_z
      - .offset:         226
        .size:           2
        .value_kind:     hidden_remainder_x
      - .offset:         228
        .size:           2
        .value_kind:     hidden_remainder_y
      - .offset:         230
        .size:           2
        .value_kind:     hidden_remainder_z
      - .offset:         248
        .size:           8
        .value_kind:     hidden_global_offset_x
      - .offset:         256
        .size:           8
        .value_kind:     hidden_global_offset_y
      - .offset:         264
        .size:           8
        .value_kind:     hidden_global_offset_z
      - .offset:         272
        .size:           2
        .value_kind:     hidden_grid_dims
    .group_segment_fixed_size: 12000
    .kernarg_segment_align: 8
    .kernarg_segment_size: 464
    .language:       OpenCL C
    .language_version:
      - 2
      - 0
    .max_flat_workgroup_size: 256
    .name:           _ZL15flash_attn_tileILi72ELi72ELi16ELi2ELb0EEvPKcS1_S1_S1_S1_PKiPfP15HIP_vector_typeIfLj2EEffffjfiS5_IjLj3EEiiiiiiiiiiiliiliiiiil
    .private_segment_fixed_size: 0
    .sgpr_count:     50
    .sgpr_spill_count: 0
    .symbol:         _ZL15flash_attn_tileILi72ELi72ELi16ELi2ELb0EEvPKcS1_S1_S1_S1_PKiPfP15HIP_vector_typeIfLj2EEffffjfiS5_IjLj3EEiiiiiiiiiiiliiliiiiil.kd
    .uniform_work_group_size: 1
    .uses_dynamic_stack: false
    .vgpr_count:     201
    .vgpr_spill_count: 0
    .wavefront_size: 32
    .workgroup_processor_mode: 1
  - .args:
      - .address_space:  global
        .offset:         0
        .size:           8
        .value_kind:     global_buffer
      - .address_space:  global
        .offset:         8
        .size:           8
        .value_kind:     global_buffer
      - .offset:         16
        .size:           4
        .value_kind:     by_value
      - .offset:         20
        .size:           4
        .value_kind:     by_value
      - .offset:         24
        .size:           4
        .value_kind:     by_value
      - .offset:         28
        .size:           4
        .value_kind:     by_value
      - .offset:         32
        .size:           4
        .value_kind:     by_value
      - .offset:         36
        .size:           4
        .value_kind:     by_value
      - .offset:         40
        .size:           12
        .value_kind:     by_value
      - .offset:         52
        .size:           12
        .value_kind:     by_value
      - .offset:         64
        .size:           12
        .value_kind:     by_value
    .group_segment_fixed_size: 0
    .kernarg_segment_align: 8
    .kernarg_segment_size: 76
    .language:       OpenCL C
    .language_version:
      - 2
      - 0
    .max_flat_workgroup_size: 72
    .name:           _ZL33flash_attn_stream_k_fixup_uniformILi72ELi16ELi2EEvPfPK15HIP_vector_typeIfLj2EEiiiiiiS1_IjLj3EES5_S5_
    .private_segment_fixed_size: 0
    .sgpr_count:     26
    .sgpr_spill_count: 0
    .symbol:         _ZL33flash_attn_stream_k_fixup_uniformILi72ELi16ELi2EEvPfPK15HIP_vector_typeIfLj2EEiiiiiiS1_IjLj3EES5_S5_.kd
    .uniform_work_group_size: 1
    .uses_dynamic_stack: false
    .vgpr_count:     15
    .vgpr_spill_count: 0
    .wavefront_size: 32
    .workgroup_processor_mode: 1
  - .args:
      - .address_space:  global
        .offset:         0
        .size:           8
        .value_kind:     global_buffer
      - .address_space:  global
        .offset:         8
        .size:           8
        .value_kind:     global_buffer
      - .offset:         16
        .size:           4
        .value_kind:     by_value
      - .offset:         20
        .size:           4
        .value_kind:     by_value
      - .offset:         24
        .size:           4
        .value_kind:     by_value
      - .offset:         28
        .size:           4
        .value_kind:     by_value
      - .offset:         32
        .size:           12
        .value_kind:     by_value
      - .offset:         44
        .size:           12
        .value_kind:     by_value
      - .offset:         56
        .size:           12
        .value_kind:     by_value
      - .offset:         68
        .size:           12
        .value_kind:     by_value
      - .offset:         80
        .size:           4
        .value_kind:     hidden_block_count_x
      - .offset:         84
        .size:           4
        .value_kind:     hidden_block_count_y
      - .offset:         88
        .size:           4
        .value_kind:     hidden_block_count_z
      - .offset:         92
        .size:           2
        .value_kind:     hidden_group_size_x
      - .offset:         94
        .size:           2
        .value_kind:     hidden_group_size_y
      - .offset:         96
        .size:           2
        .value_kind:     hidden_group_size_z
      - .offset:         98
        .size:           2
        .value_kind:     hidden_remainder_x
      - .offset:         100
        .size:           2
        .value_kind:     hidden_remainder_y
      - .offset:         102
        .size:           2
        .value_kind:     hidden_remainder_z
      - .offset:         120
        .size:           8
        .value_kind:     hidden_global_offset_x
      - .offset:         128
        .size:           8
        .value_kind:     hidden_global_offset_y
      - .offset:         136
        .size:           8
        .value_kind:     hidden_global_offset_z
      - .offset:         144
        .size:           2
        .value_kind:     hidden_grid_dims
    .group_segment_fixed_size: 0
    .kernarg_segment_align: 8
    .kernarg_segment_size: 336
    .language:       OpenCL C
    .language_version:
      - 2
      - 0
    .max_flat_workgroup_size: 72
    .name:           _ZL33flash_attn_stream_k_fixup_generalILi72ELi16ELi2EEvPfPK15HIP_vector_typeIfLj2EEiiiiS1_IjLj3EES5_S5_S5_
    .private_segment_fixed_size: 0
    .sgpr_count:     33
    .sgpr_spill_count: 0
    .symbol:         _ZL33flash_attn_stream_k_fixup_generalILi72ELi16ELi2EEvPfPK15HIP_vector_typeIfLj2EEiiiiS1_IjLj3EES5_S5_S5_.kd
    .uniform_work_group_size: 1
    .uses_dynamic_stack: false
    .vgpr_count:     17
    .vgpr_spill_count: 0
    .wavefront_size: 32
    .workgroup_processor_mode: 1
  - .args:
      - .address_space:  global
        .offset:         0
        .size:           8
        .value_kind:     global_buffer
      - .address_space:  global
        .offset:         8
        .size:           8
        .value_kind:     global_buffer
      - .address_space:  global
        .offset:         16
        .size:           8
        .value_kind:     global_buffer
      - .address_space:  global
        .offset:         24
        .size:           8
        .value_kind:     global_buffer
      - .address_space:  global
        .offset:         32
        .size:           8
        .value_kind:     global_buffer
      - .address_space:  global
        .offset:         40
        .size:           8
        .value_kind:     global_buffer
      - .address_space:  global
        .offset:         48
        .size:           8
        .value_kind:     global_buffer
      - .address_space:  global
        .offset:         56
        .size:           8
        .value_kind:     global_buffer
      - .offset:         64
        .size:           4
        .value_kind:     by_value
      - .offset:         68
        .size:           4
        .value_kind:     by_value
      - .offset:         72
        .size:           4
        .value_kind:     by_value
      - .offset:         76
        .size:           4
        .value_kind:     by_value
      - .offset:         80
        .size:           4
        .value_kind:     by_value
      - .offset:         84
        .size:           4
        .value_kind:     by_value
      - .offset:         88
        .size:           4
        .value_kind:     by_value
      - .offset:         92
        .size:           12
        .value_kind:     by_value
      - .offset:         104
        .size:           4
        .value_kind:     by_value
      - .offset:         108
        .size:           4
        .value_kind:     by_value
      - .offset:         112
        .size:           4
        .value_kind:     by_value
      - .offset:         116
        .size:           4
        .value_kind:     by_value
      - .offset:         120
        .size:           4
        .value_kind:     by_value
      - .offset:         124
        .size:           4
        .value_kind:     by_value
      - .offset:         128
        .size:           4
        .value_kind:     by_value
      - .offset:         132
        .size:           4
        .value_kind:     by_value
      - .offset:         136
        .size:           4
        .value_kind:     by_value
      - .offset:         140
        .size:           4
        .value_kind:     by_value
      - .offset:         144
        .size:           4
        .value_kind:     by_value
      - .offset:         152
        .size:           8
        .value_kind:     by_value
      - .offset:         160
        .size:           4
        .value_kind:     by_value
      - .offset:         164
        .size:           4
        .value_kind:     by_value
      - .offset:         168
        .size:           8
        .value_kind:     by_value
      - .offset:         176
        .size:           4
        .value_kind:     by_value
      - .offset:         180
        .size:           4
        .value_kind:     by_value
      - .offset:         184
        .size:           4
        .value_kind:     by_value
      - .offset:         188
        .size:           4
        .value_kind:     by_value
      - .offset:         192
        .size:           4
        .value_kind:     by_value
      - .offset:         200
        .size:           8
        .value_kind:     by_value
      - .offset:         208
        .size:           4
        .value_kind:     hidden_block_count_x
      - .offset:         212
        .size:           4
        .value_kind:     hidden_block_count_y
      - .offset:         216
        .size:           4
        .value_kind:     hidden_block_count_z
      - .offset:         220
        .size:           2
        .value_kind:     hidden_group_size_x
      - .offset:         222
        .size:           2
        .value_kind:     hidden_group_size_y
      - .offset:         224
        .size:           2
        .value_kind:     hidden_group_size_z
      - .offset:         226
        .size:           2
        .value_kind:     hidden_remainder_x
      - .offset:         228
        .size:           2
        .value_kind:     hidden_remainder_y
      - .offset:         230
        .size:           2
        .value_kind:     hidden_remainder_z
      - .offset:         248
        .size:           8
        .value_kind:     hidden_global_offset_x
      - .offset:         256
        .size:           8
        .value_kind:     hidden_global_offset_y
      - .offset:         264
        .size:           8
        .value_kind:     hidden_global_offset_z
      - .offset:         272
        .size:           2
        .value_kind:     hidden_grid_dims
    .group_segment_fixed_size: 8672
    .kernarg_segment_align: 8
    .kernarg_segment_size: 464
    .language:       OpenCL C
    .language_version:
      - 2
      - 0
    .max_flat_workgroup_size: 256
    .name:           _ZL15flash_attn_tileILi72ELi72ELi8ELi2ELb0EEvPKcS1_S1_S1_S1_PKiPfP15HIP_vector_typeIfLj2EEffffjfiS5_IjLj3EEiiiiiiiiiiiliiliiiiil
    .private_segment_fixed_size: 0
    .sgpr_count:     43
    .sgpr_spill_count: 0
    .symbol:         _ZL15flash_attn_tileILi72ELi72ELi8ELi2ELb0EEvPKcS1_S1_S1_S1_PKiPfP15HIP_vector_typeIfLj2EEffffjfiS5_IjLj3EEiiiiiiiiiiiliiliiiiil.kd
    .uniform_work_group_size: 1
    .uses_dynamic_stack: false
    .vgpr_count:     127
    .vgpr_spill_count: 0
    .wavefront_size: 32
    .workgroup_processor_mode: 1
  - .args:
      - .address_space:  global
        .offset:         0
        .size:           8
        .value_kind:     global_buffer
      - .address_space:  global
        .offset:         8
        .size:           8
        .value_kind:     global_buffer
      - .offset:         16
        .size:           4
        .value_kind:     by_value
      - .offset:         20
        .size:           4
        .value_kind:     by_value
      - .offset:         24
        .size:           4
        .value_kind:     by_value
      - .offset:         28
        .size:           4
        .value_kind:     by_value
      - .offset:         32
        .size:           4
        .value_kind:     by_value
      - .offset:         36
        .size:           4
        .value_kind:     by_value
      - .offset:         40
        .size:           12
        .value_kind:     by_value
      - .offset:         52
        .size:           12
        .value_kind:     by_value
      - .offset:         64
        .size:           12
        .value_kind:     by_value
    .group_segment_fixed_size: 0
    .kernarg_segment_align: 8
    .kernarg_segment_size: 76
    .language:       OpenCL C
    .language_version:
      - 2
      - 0
    .max_flat_workgroup_size: 72
    .name:           _ZL33flash_attn_stream_k_fixup_uniformILi72ELi8ELi2EEvPfPK15HIP_vector_typeIfLj2EEiiiiiiS1_IjLj3EES5_S5_
    .private_segment_fixed_size: 0
    .sgpr_count:     26
    .sgpr_spill_count: 0
    .symbol:         _ZL33flash_attn_stream_k_fixup_uniformILi72ELi8ELi2EEvPfPK15HIP_vector_typeIfLj2EEiiiiiiS1_IjLj3EES5_S5_.kd
    .uniform_work_group_size: 1
    .uses_dynamic_stack: false
    .vgpr_count:     15
    .vgpr_spill_count: 0
    .wavefront_size: 32
    .workgroup_processor_mode: 1
  - .args:
      - .address_space:  global
        .offset:         0
        .size:           8
        .value_kind:     global_buffer
      - .address_space:  global
        .offset:         8
        .size:           8
        .value_kind:     global_buffer
      - .offset:         16
        .size:           4
        .value_kind:     by_value
      - .offset:         20
        .size:           4
        .value_kind:     by_value
      - .offset:         24
        .size:           4
        .value_kind:     by_value
      - .offset:         28
        .size:           4
        .value_kind:     by_value
      - .offset:         32
        .size:           12
        .value_kind:     by_value
      - .offset:         44
        .size:           12
        .value_kind:     by_value
      - .offset:         56
        .size:           12
        .value_kind:     by_value
      - .offset:         68
        .size:           12
        .value_kind:     by_value
      - .offset:         80
        .size:           4
        .value_kind:     hidden_block_count_x
      - .offset:         84
        .size:           4
        .value_kind:     hidden_block_count_y
      - .offset:         88
        .size:           4
        .value_kind:     hidden_block_count_z
      - .offset:         92
        .size:           2
        .value_kind:     hidden_group_size_x
      - .offset:         94
        .size:           2
        .value_kind:     hidden_group_size_y
      - .offset:         96
        .size:           2
        .value_kind:     hidden_group_size_z
      - .offset:         98
        .size:           2
        .value_kind:     hidden_remainder_x
      - .offset:         100
        .size:           2
        .value_kind:     hidden_remainder_y
      - .offset:         102
        .size:           2
        .value_kind:     hidden_remainder_z
      - .offset:         120
        .size:           8
        .value_kind:     hidden_global_offset_x
      - .offset:         128
        .size:           8
        .value_kind:     hidden_global_offset_y
      - .offset:         136
        .size:           8
        .value_kind:     hidden_global_offset_z
      - .offset:         144
        .size:           2
        .value_kind:     hidden_grid_dims
    .group_segment_fixed_size: 0
    .kernarg_segment_align: 8
    .kernarg_segment_size: 336
    .language:       OpenCL C
    .language_version:
      - 2
      - 0
    .max_flat_workgroup_size: 72
    .name:           _ZL33flash_attn_stream_k_fixup_generalILi72ELi8ELi2EEvPfPK15HIP_vector_typeIfLj2EEiiiiS1_IjLj3EES5_S5_S5_
    .private_segment_fixed_size: 0
    .sgpr_count:     33
    .sgpr_spill_count: 0
    .symbol:         _ZL33flash_attn_stream_k_fixup_generalILi72ELi8ELi2EEvPfPK15HIP_vector_typeIfLj2EEiiiiS1_IjLj3EES5_S5_S5_.kd
    .uniform_work_group_size: 1
    .uses_dynamic_stack: false
    .vgpr_count:     17
    .vgpr_spill_count: 0
    .wavefront_size: 32
    .workgroup_processor_mode: 1
  - .args:
      - .address_space:  global
        .offset:         0
        .size:           8
        .value_kind:     global_buffer
      - .address_space:  global
        .offset:         8
        .size:           8
        .value_kind:     global_buffer
      - .address_space:  global
        .offset:         16
        .size:           8
        .value_kind:     global_buffer
      - .address_space:  global
        .offset:         24
        .size:           8
        .value_kind:     global_buffer
      - .address_space:  global
        .offset:         32
        .size:           8
        .value_kind:     global_buffer
      - .address_space:  global
        .offset:         40
        .size:           8
        .value_kind:     global_buffer
      - .address_space:  global
        .offset:         48
        .size:           8
        .value_kind:     global_buffer
      - .address_space:  global
        .offset:         56
        .size:           8
        .value_kind:     global_buffer
      - .offset:         64
        .size:           4
        .value_kind:     by_value
      - .offset:         68
        .size:           4
        .value_kind:     by_value
      - .offset:         72
        .size:           4
        .value_kind:     by_value
      - .offset:         76
        .size:           4
        .value_kind:     by_value
      - .offset:         80
        .size:           4
        .value_kind:     by_value
      - .offset:         84
        .size:           4
        .value_kind:     by_value
      - .offset:         88
        .size:           4
        .value_kind:     by_value
      - .offset:         92
        .size:           12
        .value_kind:     by_value
      - .offset:         104
        .size:           4
        .value_kind:     by_value
      - .offset:         108
        .size:           4
        .value_kind:     by_value
      - .offset:         112
        .size:           4
        .value_kind:     by_value
      - .offset:         116
        .size:           4
        .value_kind:     by_value
      - .offset:         120
        .size:           4
        .value_kind:     by_value
      - .offset:         124
        .size:           4
        .value_kind:     by_value
      - .offset:         128
        .size:           4
        .value_kind:     by_value
      - .offset:         132
        .size:           4
        .value_kind:     by_value
      - .offset:         136
        .size:           4
        .value_kind:     by_value
      - .offset:         140
        .size:           4
        .value_kind:     by_value
      - .offset:         144
        .size:           4
        .value_kind:     by_value
      - .offset:         152
        .size:           8
        .value_kind:     by_value
      - .offset:         160
        .size:           4
        .value_kind:     by_value
      - .offset:         164
        .size:           4
        .value_kind:     by_value
      - .offset:         168
        .size:           8
        .value_kind:     by_value
      - .offset:         176
        .size:           4
        .value_kind:     by_value
      - .offset:         180
        .size:           4
        .value_kind:     by_value
      - .offset:         184
        .size:           4
        .value_kind:     by_value
      - .offset:         188
        .size:           4
        .value_kind:     by_value
      - .offset:         192
        .size:           4
        .value_kind:     by_value
      - .offset:         200
        .size:           8
        .value_kind:     by_value
      - .offset:         208
        .size:           4
        .value_kind:     hidden_block_count_x
      - .offset:         212
        .size:           4
        .value_kind:     hidden_block_count_y
      - .offset:         216
        .size:           4
        .value_kind:     hidden_block_count_z
      - .offset:         220
        .size:           2
        .value_kind:     hidden_group_size_x
      - .offset:         222
        .size:           2
        .value_kind:     hidden_group_size_y
      - .offset:         224
        .size:           2
        .value_kind:     hidden_group_size_z
      - .offset:         226
        .size:           2
        .value_kind:     hidden_remainder_x
      - .offset:         228
        .size:           2
        .value_kind:     hidden_remainder_y
      - .offset:         230
        .size:           2
        .value_kind:     hidden_remainder_z
      - .offset:         248
        .size:           8
        .value_kind:     hidden_global_offset_x
      - .offset:         256
        .size:           8
        .value_kind:     hidden_global_offset_y
      - .offset:         264
        .size:           8
        .value_kind:     hidden_global_offset_z
      - .offset:         272
        .size:           2
        .value_kind:     hidden_grid_dims
    .group_segment_fixed_size: 7008
    .kernarg_segment_align: 8
    .kernarg_segment_size: 464
    .language:       OpenCL C
    .language_version:
      - 2
      - 0
    .max_flat_workgroup_size: 256
    .name:           _ZL15flash_attn_tileILi72ELi72ELi4ELi2ELb0EEvPKcS1_S1_S1_S1_PKiPfP15HIP_vector_typeIfLj2EEffffjfiS5_IjLj3EEiiiiiiiiiiiliiliiiiil
    .private_segment_fixed_size: 0
    .sgpr_count:     46
    .sgpr_spill_count: 0
    .symbol:         _ZL15flash_attn_tileILi72ELi72ELi4ELi2ELb0EEvPKcS1_S1_S1_S1_PKiPfP15HIP_vector_typeIfLj2EEffffjfiS5_IjLj3EEiiiiiiiiiiiliiliiiiil.kd
    .uniform_work_group_size: 1
    .uses_dynamic_stack: false
    .vgpr_count:     62
    .vgpr_spill_count: 0
    .wavefront_size: 32
    .workgroup_processor_mode: 1
  - .args:
      - .address_space:  global
        .offset:         0
        .size:           8
        .value_kind:     global_buffer
      - .address_space:  global
        .offset:         8
        .size:           8
        .value_kind:     global_buffer
      - .offset:         16
        .size:           4
        .value_kind:     by_value
      - .offset:         20
        .size:           4
        .value_kind:     by_value
      - .offset:         24
        .size:           4
        .value_kind:     by_value
      - .offset:         28
        .size:           4
        .value_kind:     by_value
      - .offset:         32
        .size:           4
        .value_kind:     by_value
      - .offset:         36
        .size:           4
        .value_kind:     by_value
      - .offset:         40
        .size:           12
        .value_kind:     by_value
      - .offset:         52
        .size:           12
        .value_kind:     by_value
      - .offset:         64
        .size:           12
        .value_kind:     by_value
    .group_segment_fixed_size: 0
    .kernarg_segment_align: 8
    .kernarg_segment_size: 76
    .language:       OpenCL C
    .language_version:
      - 2
      - 0
    .max_flat_workgroup_size: 72
    .name:           _ZL33flash_attn_stream_k_fixup_uniformILi72ELi4ELi2EEvPfPK15HIP_vector_typeIfLj2EEiiiiiiS1_IjLj3EES5_S5_
    .private_segment_fixed_size: 0
    .sgpr_count:     26
    .sgpr_spill_count: 0
    .symbol:         _ZL33flash_attn_stream_k_fixup_uniformILi72ELi4ELi2EEvPfPK15HIP_vector_typeIfLj2EEiiiiiiS1_IjLj3EES5_S5_.kd
    .uniform_work_group_size: 1
    .uses_dynamic_stack: false
    .vgpr_count:     15
    .vgpr_spill_count: 0
    .wavefront_size: 32
    .workgroup_processor_mode: 1
  - .args:
      - .address_space:  global
        .offset:         0
        .size:           8
        .value_kind:     global_buffer
      - .address_space:  global
        .offset:         8
        .size:           8
        .value_kind:     global_buffer
      - .offset:         16
        .size:           4
        .value_kind:     by_value
      - .offset:         20
        .size:           4
        .value_kind:     by_value
      - .offset:         24
        .size:           4
        .value_kind:     by_value
      - .offset:         28
        .size:           4
        .value_kind:     by_value
      - .offset:         32
        .size:           12
        .value_kind:     by_value
      - .offset:         44
        .size:           12
        .value_kind:     by_value
      - .offset:         56
        .size:           12
        .value_kind:     by_value
      - .offset:         68
        .size:           12
        .value_kind:     by_value
      - .offset:         80
        .size:           4
        .value_kind:     hidden_block_count_x
      - .offset:         84
        .size:           4
        .value_kind:     hidden_block_count_y
      - .offset:         88
        .size:           4
        .value_kind:     hidden_block_count_z
      - .offset:         92
        .size:           2
        .value_kind:     hidden_group_size_x
      - .offset:         94
        .size:           2
        .value_kind:     hidden_group_size_y
      - .offset:         96
        .size:           2
        .value_kind:     hidden_group_size_z
      - .offset:         98
        .size:           2
        .value_kind:     hidden_remainder_x
      - .offset:         100
        .size:           2
        .value_kind:     hidden_remainder_y
      - .offset:         102
        .size:           2
        .value_kind:     hidden_remainder_z
      - .offset:         120
        .size:           8
        .value_kind:     hidden_global_offset_x
      - .offset:         128
        .size:           8
        .value_kind:     hidden_global_offset_y
      - .offset:         136
        .size:           8
        .value_kind:     hidden_global_offset_z
      - .offset:         144
        .size:           2
        .value_kind:     hidden_grid_dims
    .group_segment_fixed_size: 0
    .kernarg_segment_align: 8
    .kernarg_segment_size: 336
    .language:       OpenCL C
    .language_version:
      - 2
      - 0
    .max_flat_workgroup_size: 72
    .name:           _ZL33flash_attn_stream_k_fixup_generalILi72ELi4ELi2EEvPfPK15HIP_vector_typeIfLj2EEiiiiS1_IjLj3EES5_S5_S5_
    .private_segment_fixed_size: 0
    .sgpr_count:     33
    .sgpr_spill_count: 0
    .symbol:         _ZL33flash_attn_stream_k_fixup_generalILi72ELi4ELi2EEvPfPK15HIP_vector_typeIfLj2EEiiiiS1_IjLj3EES5_S5_S5_.kd
    .uniform_work_group_size: 1
    .uses_dynamic_stack: false
    .vgpr_count:     17
    .vgpr_spill_count: 0
    .wavefront_size: 32
    .workgroup_processor_mode: 1
  - .args:
      - .address_space:  global
        .offset:         0
        .size:           8
        .value_kind:     global_buffer
      - .address_space:  global
        .offset:         8
        .size:           8
        .value_kind:     global_buffer
      - .address_space:  global
        .offset:         16
        .size:           8
        .value_kind:     global_buffer
      - .address_space:  global
        .offset:         24
        .size:           8
        .value_kind:     global_buffer
      - .address_space:  global
        .offset:         32
        .size:           8
        .value_kind:     global_buffer
      - .address_space:  global
        .offset:         40
        .size:           8
        .value_kind:     global_buffer
      - .address_space:  global
        .offset:         48
        .size:           8
        .value_kind:     global_buffer
      - .address_space:  global
        .offset:         56
        .size:           8
        .value_kind:     global_buffer
      - .offset:         64
        .size:           4
        .value_kind:     by_value
      - .offset:         68
        .size:           4
        .value_kind:     by_value
      - .offset:         72
        .size:           4
        .value_kind:     by_value
      - .offset:         76
        .size:           4
        .value_kind:     by_value
      - .offset:         80
        .size:           4
        .value_kind:     by_value
      - .offset:         84
        .size:           4
        .value_kind:     by_value
      - .offset:         88
        .size:           4
        .value_kind:     by_value
      - .offset:         92
        .size:           12
        .value_kind:     by_value
      - .offset:         104
        .size:           4
        .value_kind:     by_value
      - .offset:         108
        .size:           4
        .value_kind:     by_value
      - .offset:         112
        .size:           4
        .value_kind:     by_value
      - .offset:         116
        .size:           4
        .value_kind:     by_value
      - .offset:         120
        .size:           4
        .value_kind:     by_value
      - .offset:         124
        .size:           4
        .value_kind:     by_value
      - .offset:         128
        .size:           4
        .value_kind:     by_value
      - .offset:         132
        .size:           4
        .value_kind:     by_value
      - .offset:         136
        .size:           4
        .value_kind:     by_value
      - .offset:         140
        .size:           4
        .value_kind:     by_value
      - .offset:         144
        .size:           4
        .value_kind:     by_value
      - .offset:         152
        .size:           8
        .value_kind:     by_value
      - .offset:         160
        .size:           4
        .value_kind:     by_value
      - .offset:         164
        .size:           4
        .value_kind:     by_value
      - .offset:         168
        .size:           8
        .value_kind:     by_value
      - .offset:         176
        .size:           4
        .value_kind:     by_value
      - .offset:         180
        .size:           4
        .value_kind:     by_value
      - .offset:         184
        .size:           4
        .value_kind:     by_value
      - .offset:         188
        .size:           4
        .value_kind:     by_value
      - .offset:         192
        .size:           4
        .value_kind:     by_value
      - .offset:         200
        .size:           8
        .value_kind:     by_value
      - .offset:         208
        .size:           4
        .value_kind:     hidden_block_count_x
      - .offset:         212
        .size:           4
        .value_kind:     hidden_block_count_y
      - .offset:         216
        .size:           4
        .value_kind:     hidden_block_count_z
      - .offset:         220
        .size:           2
        .value_kind:     hidden_group_size_x
      - .offset:         222
        .size:           2
        .value_kind:     hidden_group_size_y
      - .offset:         224
        .size:           2
        .value_kind:     hidden_group_size_z
      - .offset:         226
        .size:           2
        .value_kind:     hidden_remainder_x
      - .offset:         228
        .size:           2
        .value_kind:     hidden_remainder_y
      - .offset:         230
        .size:           2
        .value_kind:     hidden_remainder_z
      - .offset:         248
        .size:           8
        .value_kind:     hidden_global_offset_x
      - .offset:         256
        .size:           8
        .value_kind:     hidden_global_offset_y
      - .offset:         264
        .size:           8
        .value_kind:     hidden_global_offset_z
      - .offset:         272
        .size:           2
        .value_kind:     hidden_grid_dims
    .group_segment_fixed_size: 6176
    .kernarg_segment_align: 8
    .kernarg_segment_size: 464
    .language:       OpenCL C
    .language_version:
      - 2
      - 0
    .max_flat_workgroup_size: 128
    .name:           _ZL15flash_attn_tileILi72ELi72ELi2ELi2ELb0EEvPKcS1_S1_S1_S1_PKiPfP15HIP_vector_typeIfLj2EEffffjfiS5_IjLj3EEiiiiiiiiiiiliiliiiiil
    .private_segment_fixed_size: 0
    .sgpr_count:     46
    .sgpr_spill_count: 0
    .symbol:         _ZL15flash_attn_tileILi72ELi72ELi2ELi2ELb0EEvPKcS1_S1_S1_S1_PKiPfP15HIP_vector_typeIfLj2EEffffjfiS5_IjLj3EEiiiiiiiiiiiliiliiiiil.kd
    .uniform_work_group_size: 1
    .uses_dynamic_stack: false
    .vgpr_count:     64
    .vgpr_spill_count: 0
    .wavefront_size: 32
    .workgroup_processor_mode: 1
  - .args:
      - .address_space:  global
        .offset:         0
        .size:           8
        .value_kind:     global_buffer
      - .address_space:  global
        .offset:         8
        .size:           8
        .value_kind:     global_buffer
      - .offset:         16
        .size:           4
        .value_kind:     by_value
      - .offset:         20
        .size:           4
        .value_kind:     by_value
      - .offset:         24
        .size:           4
        .value_kind:     by_value
      - .offset:         28
        .size:           4
        .value_kind:     by_value
      - .offset:         32
        .size:           4
        .value_kind:     by_value
      - .offset:         36
        .size:           4
        .value_kind:     by_value
      - .offset:         40
        .size:           12
        .value_kind:     by_value
      - .offset:         52
        .size:           12
        .value_kind:     by_value
      - .offset:         64
        .size:           12
        .value_kind:     by_value
    .group_segment_fixed_size: 0
    .kernarg_segment_align: 8
    .kernarg_segment_size: 76
    .language:       OpenCL C
    .language_version:
      - 2
      - 0
    .max_flat_workgroup_size: 72
    .name:           _ZL33flash_attn_stream_k_fixup_uniformILi72ELi2ELi2EEvPfPK15HIP_vector_typeIfLj2EEiiiiiiS1_IjLj3EES5_S5_
    .private_segment_fixed_size: 0
    .sgpr_count:     26
    .sgpr_spill_count: 0
    .symbol:         _ZL33flash_attn_stream_k_fixup_uniformILi72ELi2ELi2EEvPfPK15HIP_vector_typeIfLj2EEiiiiiiS1_IjLj3EES5_S5_.kd
    .uniform_work_group_size: 1
    .uses_dynamic_stack: false
    .vgpr_count:     15
    .vgpr_spill_count: 0
    .wavefront_size: 32
    .workgroup_processor_mode: 1
  - .args:
      - .address_space:  global
        .offset:         0
        .size:           8
        .value_kind:     global_buffer
      - .address_space:  global
        .offset:         8
        .size:           8
        .value_kind:     global_buffer
      - .offset:         16
        .size:           4
        .value_kind:     by_value
      - .offset:         20
        .size:           4
        .value_kind:     by_value
      - .offset:         24
        .size:           4
        .value_kind:     by_value
      - .offset:         28
        .size:           4
        .value_kind:     by_value
      - .offset:         32
        .size:           12
        .value_kind:     by_value
      - .offset:         44
        .size:           12
        .value_kind:     by_value
      - .offset:         56
        .size:           12
        .value_kind:     by_value
      - .offset:         68
        .size:           12
        .value_kind:     by_value
      - .offset:         80
        .size:           4
        .value_kind:     hidden_block_count_x
      - .offset:         84
        .size:           4
        .value_kind:     hidden_block_count_y
      - .offset:         88
        .size:           4
        .value_kind:     hidden_block_count_z
      - .offset:         92
        .size:           2
        .value_kind:     hidden_group_size_x
      - .offset:         94
        .size:           2
        .value_kind:     hidden_group_size_y
      - .offset:         96
        .size:           2
        .value_kind:     hidden_group_size_z
      - .offset:         98
        .size:           2
        .value_kind:     hidden_remainder_x
      - .offset:         100
        .size:           2
        .value_kind:     hidden_remainder_y
      - .offset:         102
        .size:           2
        .value_kind:     hidden_remainder_z
      - .offset:         120
        .size:           8
        .value_kind:     hidden_global_offset_x
      - .offset:         128
        .size:           8
        .value_kind:     hidden_global_offset_y
      - .offset:         136
        .size:           8
        .value_kind:     hidden_global_offset_z
      - .offset:         144
        .size:           2
        .value_kind:     hidden_grid_dims
    .group_segment_fixed_size: 0
    .kernarg_segment_align: 8
    .kernarg_segment_size: 336
    .language:       OpenCL C
    .language_version:
      - 2
      - 0
    .max_flat_workgroup_size: 72
    .name:           _ZL33flash_attn_stream_k_fixup_generalILi72ELi2ELi2EEvPfPK15HIP_vector_typeIfLj2EEiiiiS1_IjLj3EES5_S5_S5_
    .private_segment_fixed_size: 0
    .sgpr_count:     33
    .sgpr_spill_count: 0
    .symbol:         _ZL33flash_attn_stream_k_fixup_generalILi72ELi2ELi2EEvPfPK15HIP_vector_typeIfLj2EEiiiiS1_IjLj3EES5_S5_S5_.kd
    .uniform_work_group_size: 1
    .uses_dynamic_stack: false
    .vgpr_count:     17
    .vgpr_spill_count: 0
    .wavefront_size: 32
    .workgroup_processor_mode: 1
  - .args:
      - .address_space:  global
        .offset:         0
        .size:           8
        .value_kind:     global_buffer
      - .address_space:  global
        .offset:         8
        .size:           8
        .value_kind:     global_buffer
      - .address_space:  global
        .offset:         16
        .size:           8
        .value_kind:     global_buffer
      - .address_space:  global
        .offset:         24
        .size:           8
        .value_kind:     global_buffer
      - .address_space:  global
        .offset:         32
        .size:           8
        .value_kind:     global_buffer
      - .address_space:  global
        .offset:         40
        .size:           8
        .value_kind:     global_buffer
      - .address_space:  global
        .offset:         48
        .size:           8
        .value_kind:     global_buffer
      - .address_space:  global
        .offset:         56
        .size:           8
        .value_kind:     global_buffer
      - .offset:         64
        .size:           4
        .value_kind:     by_value
      - .offset:         68
        .size:           4
        .value_kind:     by_value
      - .offset:         72
        .size:           4
        .value_kind:     by_value
      - .offset:         76
        .size:           4
        .value_kind:     by_value
      - .offset:         80
        .size:           4
        .value_kind:     by_value
      - .offset:         84
        .size:           4
        .value_kind:     by_value
      - .offset:         88
        .size:           4
        .value_kind:     by_value
      - .offset:         92
        .size:           12
        .value_kind:     by_value
      - .offset:         104
        .size:           4
        .value_kind:     by_value
      - .offset:         108
        .size:           4
        .value_kind:     by_value
      - .offset:         112
        .size:           4
        .value_kind:     by_value
      - .offset:         116
        .size:           4
        .value_kind:     by_value
      - .offset:         120
        .size:           4
        .value_kind:     by_value
      - .offset:         124
        .size:           4
        .value_kind:     by_value
      - .offset:         128
        .size:           4
        .value_kind:     by_value
      - .offset:         132
        .size:           4
        .value_kind:     by_value
      - .offset:         136
        .size:           4
        .value_kind:     by_value
      - .offset:         140
        .size:           4
        .value_kind:     by_value
      - .offset:         144
        .size:           4
        .value_kind:     by_value
      - .offset:         152
        .size:           8
        .value_kind:     by_value
      - .offset:         160
        .size:           4
        .value_kind:     by_value
      - .offset:         164
        .size:           4
        .value_kind:     by_value
      - .offset:         168
        .size:           8
        .value_kind:     by_value
      - .offset:         176
        .size:           4
        .value_kind:     by_value
      - .offset:         180
        .size:           4
        .value_kind:     by_value
      - .offset:         184
        .size:           4
        .value_kind:     by_value
      - .offset:         188
        .size:           4
        .value_kind:     by_value
      - .offset:         192
        .size:           4
        .value_kind:     by_value
      - .offset:         200
        .size:           8
        .value_kind:     by_value
      - .offset:         208
        .size:           4
        .value_kind:     hidden_block_count_x
      - .offset:         212
        .size:           4
        .value_kind:     hidden_block_count_y
      - .offset:         216
        .size:           4
        .value_kind:     hidden_block_count_z
      - .offset:         220
        .size:           2
        .value_kind:     hidden_group_size_x
      - .offset:         222
        .size:           2
        .value_kind:     hidden_group_size_y
      - .offset:         224
        .size:           2
        .value_kind:     hidden_group_size_z
      - .offset:         226
        .size:           2
        .value_kind:     hidden_remainder_x
      - .offset:         228
        .size:           2
        .value_kind:     hidden_remainder_y
      - .offset:         230
        .size:           2
        .value_kind:     hidden_remainder_z
      - .offset:         248
        .size:           8
        .value_kind:     hidden_global_offset_x
      - .offset:         256
        .size:           8
        .value_kind:     hidden_global_offset_y
      - .offset:         264
        .size:           8
        .value_kind:     hidden_global_offset_z
      - .offset:         272
        .size:           2
        .value_kind:     hidden_grid_dims
    .group_segment_fixed_size: 5760
    .kernarg_segment_align: 8
    .kernarg_segment_size: 464
    .language:       OpenCL C
    .language_version:
      - 2
      - 0
    .max_flat_workgroup_size: 64
    .name:           _ZL15flash_attn_tileILi72ELi72ELi1ELi2ELb0EEvPKcS1_S1_S1_S1_PKiPfP15HIP_vector_typeIfLj2EEffffjfiS5_IjLj3EEiiiiiiiiiiiliiliiiiil
    .private_segment_fixed_size: 0
    .sgpr_count:     46
    .sgpr_spill_count: 0
    .symbol:         _ZL15flash_attn_tileILi72ELi72ELi1ELi2ELb0EEvPKcS1_S1_S1_S1_PKiPfP15HIP_vector_typeIfLj2EEffffjfiS5_IjLj3EEiiiiiiiiiiiliiliiiiil.kd
    .uniform_work_group_size: 1
    .uses_dynamic_stack: false
    .vgpr_count:     77
    .vgpr_spill_count: 0
    .wavefront_size: 32
    .workgroup_processor_mode: 1
  - .args:
      - .address_space:  global
        .offset:         0
        .size:           8
        .value_kind:     global_buffer
      - .address_space:  global
        .offset:         8
        .size:           8
        .value_kind:     global_buffer
      - .offset:         16
        .size:           4
        .value_kind:     by_value
      - .offset:         20
        .size:           4
        .value_kind:     by_value
      - .offset:         24
        .size:           4
        .value_kind:     by_value
      - .offset:         28
        .size:           4
        .value_kind:     by_value
      - .offset:         32
        .size:           4
        .value_kind:     by_value
      - .offset:         36
        .size:           4
        .value_kind:     by_value
      - .offset:         40
        .size:           12
        .value_kind:     by_value
      - .offset:         52
        .size:           12
        .value_kind:     by_value
      - .offset:         64
        .size:           12
        .value_kind:     by_value
    .group_segment_fixed_size: 0
    .kernarg_segment_align: 8
    .kernarg_segment_size: 76
    .language:       OpenCL C
    .language_version:
      - 2
      - 0
    .max_flat_workgroup_size: 72
    .name:           _ZL33flash_attn_stream_k_fixup_uniformILi72ELi1ELi2EEvPfPK15HIP_vector_typeIfLj2EEiiiiiiS1_IjLj3EES5_S5_
    .private_segment_fixed_size: 0
    .sgpr_count:     26
    .sgpr_spill_count: 0
    .symbol:         _ZL33flash_attn_stream_k_fixup_uniformILi72ELi1ELi2EEvPfPK15HIP_vector_typeIfLj2EEiiiiiiS1_IjLj3EES5_S5_.kd
    .uniform_work_group_size: 1
    .uses_dynamic_stack: false
    .vgpr_count:     15
    .vgpr_spill_count: 0
    .wavefront_size: 32
    .workgroup_processor_mode: 1
  - .args:
      - .address_space:  global
        .offset:         0
        .size:           8
        .value_kind:     global_buffer
      - .address_space:  global
        .offset:         8
        .size:           8
        .value_kind:     global_buffer
      - .offset:         16
        .size:           4
        .value_kind:     by_value
      - .offset:         20
        .size:           4
        .value_kind:     by_value
      - .offset:         24
        .size:           4
        .value_kind:     by_value
      - .offset:         28
        .size:           4
        .value_kind:     by_value
      - .offset:         32
        .size:           12
        .value_kind:     by_value
      - .offset:         44
        .size:           12
        .value_kind:     by_value
      - .offset:         56
        .size:           12
        .value_kind:     by_value
      - .offset:         68
        .size:           12
        .value_kind:     by_value
      - .offset:         80
        .size:           4
        .value_kind:     hidden_block_count_x
      - .offset:         84
        .size:           4
        .value_kind:     hidden_block_count_y
      - .offset:         88
        .size:           4
        .value_kind:     hidden_block_count_z
      - .offset:         92
        .size:           2
        .value_kind:     hidden_group_size_x
      - .offset:         94
        .size:           2
        .value_kind:     hidden_group_size_y
      - .offset:         96
        .size:           2
        .value_kind:     hidden_group_size_z
      - .offset:         98
        .size:           2
        .value_kind:     hidden_remainder_x
      - .offset:         100
        .size:           2
        .value_kind:     hidden_remainder_y
      - .offset:         102
        .size:           2
        .value_kind:     hidden_remainder_z
      - .offset:         120
        .size:           8
        .value_kind:     hidden_global_offset_x
      - .offset:         128
        .size:           8
        .value_kind:     hidden_global_offset_y
      - .offset:         136
        .size:           8
        .value_kind:     hidden_global_offset_z
      - .offset:         144
        .size:           2
        .value_kind:     hidden_grid_dims
    .group_segment_fixed_size: 0
    .kernarg_segment_align: 8
    .kernarg_segment_size: 336
    .language:       OpenCL C
    .language_version:
      - 2
      - 0
    .max_flat_workgroup_size: 72
    .name:           _ZL33flash_attn_stream_k_fixup_generalILi72ELi1ELi2EEvPfPK15HIP_vector_typeIfLj2EEiiiiS1_IjLj3EES5_S5_S5_
    .private_segment_fixed_size: 0
    .sgpr_count:     33
    .sgpr_spill_count: 0
    .symbol:         _ZL33flash_attn_stream_k_fixup_generalILi72ELi1ELi2EEvPfPK15HIP_vector_typeIfLj2EEiiiiS1_IjLj3EES5_S5_S5_.kd
    .uniform_work_group_size: 1
    .uses_dynamic_stack: false
    .vgpr_count:     17
    .vgpr_spill_count: 0
    .wavefront_size: 32
    .workgroup_processor_mode: 1
  - .args:
      - .address_space:  global
        .offset:         0
        .size:           8
        .value_kind:     global_buffer
      - .address_space:  global
        .offset:         8
        .size:           8
        .value_kind:     global_buffer
      - .address_space:  global
        .offset:         16
        .size:           8
        .value_kind:     global_buffer
      - .address_space:  global
        .offset:         24
        .size:           8
        .value_kind:     global_buffer
      - .address_space:  global
        .offset:         32
        .size:           8
        .value_kind:     global_buffer
      - .address_space:  global
        .offset:         40
        .size:           8
        .value_kind:     global_buffer
      - .address_space:  global
        .offset:         48
        .size:           8
        .value_kind:     global_buffer
      - .address_space:  global
        .offset:         56
        .size:           8
        .value_kind:     global_buffer
      - .offset:         64
        .size:           4
        .value_kind:     by_value
      - .offset:         68
        .size:           4
        .value_kind:     by_value
      - .offset:         72
        .size:           4
        .value_kind:     by_value
      - .offset:         76
        .size:           4
        .value_kind:     by_value
      - .offset:         80
        .size:           4
        .value_kind:     by_value
      - .offset:         84
        .size:           4
        .value_kind:     by_value
      - .offset:         88
        .size:           4
        .value_kind:     by_value
      - .offset:         92
        .size:           12
        .value_kind:     by_value
      - .offset:         104
        .size:           4
        .value_kind:     by_value
      - .offset:         108
        .size:           4
        .value_kind:     by_value
      - .offset:         112
        .size:           4
        .value_kind:     by_value
      - .offset:         116
        .size:           4
        .value_kind:     by_value
      - .offset:         120
        .size:           4
        .value_kind:     by_value
      - .offset:         124
        .size:           4
        .value_kind:     by_value
      - .offset:         128
        .size:           4
        .value_kind:     by_value
      - .offset:         132
        .size:           4
        .value_kind:     by_value
      - .offset:         136
        .size:           4
        .value_kind:     by_value
      - .offset:         140
        .size:           4
        .value_kind:     by_value
      - .offset:         144
        .size:           4
        .value_kind:     by_value
      - .offset:         152
        .size:           8
        .value_kind:     by_value
      - .offset:         160
        .size:           4
        .value_kind:     by_value
      - .offset:         164
        .size:           4
        .value_kind:     by_value
      - .offset:         168
        .size:           8
        .value_kind:     by_value
      - .offset:         176
        .size:           4
        .value_kind:     by_value
      - .offset:         180
        .size:           4
        .value_kind:     by_value
      - .offset:         184
        .size:           4
        .value_kind:     by_value
      - .offset:         188
        .size:           4
        .value_kind:     by_value
      - .offset:         192
        .size:           4
        .value_kind:     by_value
      - .offset:         200
        .size:           8
        .value_kind:     by_value
      - .offset:         208
        .size:           4
        .value_kind:     hidden_block_count_x
      - .offset:         212
        .size:           4
        .value_kind:     hidden_block_count_y
      - .offset:         216
        .size:           4
        .value_kind:     hidden_block_count_z
      - .offset:         220
        .size:           2
        .value_kind:     hidden_group_size_x
      - .offset:         222
        .size:           2
        .value_kind:     hidden_group_size_y
      - .offset:         224
        .size:           2
        .value_kind:     hidden_group_size_z
      - .offset:         226
        .size:           2
        .value_kind:     hidden_remainder_x
      - .offset:         228
        .size:           2
        .value_kind:     hidden_remainder_y
      - .offset:         230
        .size:           2
        .value_kind:     hidden_remainder_z
      - .offset:         248
        .size:           8
        .value_kind:     hidden_global_offset_x
      - .offset:         256
        .size:           8
        .value_kind:     hidden_global_offset_y
      - .offset:         264
        .size:           8
        .value_kind:     hidden_global_offset_z
      - .offset:         272
        .size:           2
        .value_kind:     hidden_grid_dims
    .group_segment_fixed_size: 18656
    .kernarg_segment_align: 8
    .kernarg_segment_size: 464
    .language:       OpenCL C
    .language_version:
      - 2
      - 0
    .max_flat_workgroup_size: 256
    .name:           _ZL15flash_attn_tileILi72ELi72ELi64ELi1ELb0EEvPKcS1_S1_S1_S1_PKiPfP15HIP_vector_typeIfLj2EEffffjfiS5_IjLj3EEiiiiiiiiiiiliiliiiiil
    .private_segment_fixed_size: 32
    .sgpr_count:     60
    .sgpr_spill_count: 0
    .symbol:         _ZL15flash_attn_tileILi72ELi72ELi64ELi1ELb0EEvPKcS1_S1_S1_S1_PKiPfP15HIP_vector_typeIfLj2EEffffjfiS5_IjLj3EEiiiiiiiiiiiliiliiiiil.kd
    .uniform_work_group_size: 1
    .uses_dynamic_stack: false
    .vgpr_count:     195
    .vgpr_spill_count: 0
    .wavefront_size: 32
    .workgroup_processor_mode: 1
  - .args:
      - .actual_access:  read_only
        .address_space:  global
        .offset:         0
        .size:           8
        .value_kind:     global_buffer
      - .actual_access:  write_only
        .address_space:  global
        .offset:         8
        .size:           8
        .value_kind:     global_buffer
      - .offset:         16
        .size:           4
        .value_kind:     by_value
      - .offset:         20
        .size:           4
        .value_kind:     by_value
      - .offset:         24
        .size:           4
        .value_kind:     by_value
      - .offset:         32
        .size:           4
        .value_kind:     hidden_block_count_x
      - .offset:         36
        .size:           4
        .value_kind:     hidden_block_count_y
      - .offset:         40
        .size:           4
        .value_kind:     hidden_block_count_z
      - .offset:         44
        .size:           2
        .value_kind:     hidden_group_size_x
      - .offset:         46
        .size:           2
        .value_kind:     hidden_group_size_y
      - .offset:         48
        .size:           2
        .value_kind:     hidden_group_size_z
      - .offset:         50
        .size:           2
        .value_kind:     hidden_remainder_x
      - .offset:         52
        .size:           2
        .value_kind:     hidden_remainder_y
      - .offset:         54
        .size:           2
        .value_kind:     hidden_remainder_z
      - .offset:         72
        .size:           8
        .value_kind:     hidden_global_offset_x
      - .offset:         80
        .size:           8
        .value_kind:     hidden_global_offset_y
      - .offset:         88
        .size:           8
        .value_kind:     hidden_global_offset_z
      - .offset:         96
        .size:           2
        .value_kind:     hidden_grid_dims
    .group_segment_fixed_size: 128
    .kernarg_segment_align: 8
    .kernarg_segment_size: 288
    .language:       OpenCL C
    .language_version:
      - 2
      - 0
    .max_flat_workgroup_size: 128
    .name:           _ZL25flash_attn_mask_to_KV_maxILi64EEvPK7__half2Piiii
    .private_segment_fixed_size: 0
    .sgpr_count:     107
    .sgpr_spill_count: 37
    .symbol:         _ZL25flash_attn_mask_to_KV_maxILi64EEvPK7__half2Piiii.kd
    .uniform_work_group_size: 1
    .uses_dynamic_stack: false
    .vgpr_count:     12
    .vgpr_spill_count: 0
    .wavefront_size: 32
    .workgroup_processor_mode: 1
  - .args:
      - .address_space:  global
        .offset:         0
        .size:           8
        .value_kind:     global_buffer
      - .address_space:  global
        .offset:         8
        .size:           8
        .value_kind:     global_buffer
      - .offset:         16
        .size:           4
        .value_kind:     by_value
      - .offset:         20
        .size:           4
        .value_kind:     by_value
      - .offset:         24
        .size:           4
        .value_kind:     by_value
      - .offset:         28
        .size:           4
        .value_kind:     by_value
      - .offset:         32
        .size:           4
        .value_kind:     by_value
      - .offset:         36
        .size:           4
        .value_kind:     by_value
      - .offset:         40
        .size:           12
        .value_kind:     by_value
      - .offset:         52
        .size:           12
        .value_kind:     by_value
      - .offset:         64
        .size:           12
        .value_kind:     by_value
    .group_segment_fixed_size: 0
    .kernarg_segment_align: 8
    .kernarg_segment_size: 76
    .language:       OpenCL C
    .language_version:
      - 2
      - 0
    .max_flat_workgroup_size: 72
    .name:           _ZL33flash_attn_stream_k_fixup_uniformILi72ELi64ELi1EEvPfPK15HIP_vector_typeIfLj2EEiiiiiiS1_IjLj3EES5_S5_
    .private_segment_fixed_size: 0
    .sgpr_count:     26
    .sgpr_spill_count: 0
    .symbol:         _ZL33flash_attn_stream_k_fixup_uniformILi72ELi64ELi1EEvPfPK15HIP_vector_typeIfLj2EEiiiiiiS1_IjLj3EES5_S5_.kd
    .uniform_work_group_size: 1
    .uses_dynamic_stack: false
    .vgpr_count:     15
    .vgpr_spill_count: 0
    .wavefront_size: 32
    .workgroup_processor_mode: 1
  - .args:
      - .address_space:  global
        .offset:         0
        .size:           8
        .value_kind:     global_buffer
      - .address_space:  global
        .offset:         8
        .size:           8
        .value_kind:     global_buffer
      - .offset:         16
        .size:           4
        .value_kind:     by_value
      - .offset:         20
        .size:           4
        .value_kind:     by_value
      - .offset:         24
        .size:           4
        .value_kind:     by_value
      - .offset:         28
        .size:           4
        .value_kind:     by_value
      - .offset:         32
        .size:           12
        .value_kind:     by_value
      - .offset:         44
        .size:           12
        .value_kind:     by_value
      - .offset:         56
        .size:           12
        .value_kind:     by_value
      - .offset:         68
        .size:           12
        .value_kind:     by_value
      - .offset:         80
        .size:           4
        .value_kind:     hidden_block_count_x
      - .offset:         84
        .size:           4
        .value_kind:     hidden_block_count_y
      - .offset:         88
        .size:           4
        .value_kind:     hidden_block_count_z
      - .offset:         92
        .size:           2
        .value_kind:     hidden_group_size_x
      - .offset:         94
        .size:           2
        .value_kind:     hidden_group_size_y
      - .offset:         96
        .size:           2
        .value_kind:     hidden_group_size_z
      - .offset:         98
        .size:           2
        .value_kind:     hidden_remainder_x
      - .offset:         100
        .size:           2
        .value_kind:     hidden_remainder_y
      - .offset:         102
        .size:           2
        .value_kind:     hidden_remainder_z
      - .offset:         120
        .size:           8
        .value_kind:     hidden_global_offset_x
      - .offset:         128
        .size:           8
        .value_kind:     hidden_global_offset_y
      - .offset:         136
        .size:           8
        .value_kind:     hidden_global_offset_z
      - .offset:         144
        .size:           2
        .value_kind:     hidden_grid_dims
    .group_segment_fixed_size: 0
    .kernarg_segment_align: 8
    .kernarg_segment_size: 336
    .language:       OpenCL C
    .language_version:
      - 2
      - 0
    .max_flat_workgroup_size: 72
    .name:           _ZL33flash_attn_stream_k_fixup_generalILi72ELi64ELi1EEvPfPK15HIP_vector_typeIfLj2EEiiiiS1_IjLj3EES5_S5_S5_
    .private_segment_fixed_size: 0
    .sgpr_count:     33
    .sgpr_spill_count: 0
    .symbol:         _ZL33flash_attn_stream_k_fixup_generalILi72ELi64ELi1EEvPfPK15HIP_vector_typeIfLj2EEiiiiS1_IjLj3EES5_S5_S5_.kd
    .uniform_work_group_size: 1
    .uses_dynamic_stack: false
    .vgpr_count:     17
    .vgpr_spill_count: 0
    .wavefront_size: 32
    .workgroup_processor_mode: 1
  - .args:
      - .address_space:  global
        .offset:         0
        .size:           8
        .value_kind:     global_buffer
      - .address_space:  global
        .offset:         8
        .size:           8
        .value_kind:     global_buffer
      - .address_space:  global
        .offset:         16
        .size:           8
        .value_kind:     global_buffer
      - .address_space:  global
        .offset:         24
        .size:           8
        .value_kind:     global_buffer
      - .address_space:  global
        .offset:         32
        .size:           8
        .value_kind:     global_buffer
      - .address_space:  global
        .offset:         40
        .size:           8
        .value_kind:     global_buffer
      - .address_space:  global
        .offset:         48
        .size:           8
        .value_kind:     global_buffer
      - .address_space:  global
        .offset:         56
        .size:           8
        .value_kind:     global_buffer
      - .offset:         64
        .size:           4
        .value_kind:     by_value
      - .offset:         68
        .size:           4
        .value_kind:     by_value
      - .offset:         72
        .size:           4
        .value_kind:     by_value
      - .offset:         76
        .size:           4
        .value_kind:     by_value
      - .offset:         80
        .size:           4
        .value_kind:     by_value
      - .offset:         84
        .size:           4
        .value_kind:     by_value
      - .offset:         88
        .size:           4
        .value_kind:     by_value
      - .offset:         92
        .size:           12
        .value_kind:     by_value
      - .offset:         104
        .size:           4
        .value_kind:     by_value
      - .offset:         108
        .size:           4
        .value_kind:     by_value
      - .offset:         112
        .size:           4
        .value_kind:     by_value
      - .offset:         116
        .size:           4
        .value_kind:     by_value
      - .offset:         120
        .size:           4
        .value_kind:     by_value
      - .offset:         124
        .size:           4
        .value_kind:     by_value
      - .offset:         128
        .size:           4
        .value_kind:     by_value
      - .offset:         132
        .size:           4
        .value_kind:     by_value
      - .offset:         136
        .size:           4
        .value_kind:     by_value
      - .offset:         140
        .size:           4
        .value_kind:     by_value
      - .offset:         144
        .size:           4
        .value_kind:     by_value
      - .offset:         152
        .size:           8
        .value_kind:     by_value
      - .offset:         160
        .size:           4
        .value_kind:     by_value
      - .offset:         164
        .size:           4
        .value_kind:     by_value
      - .offset:         168
        .size:           8
        .value_kind:     by_value
      - .offset:         176
        .size:           4
        .value_kind:     by_value
      - .offset:         180
        .size:           4
        .value_kind:     by_value
      - .offset:         184
        .size:           4
        .value_kind:     by_value
      - .offset:         188
        .size:           4
        .value_kind:     by_value
      - .offset:         192
        .size:           4
        .value_kind:     by_value
      - .offset:         200
        .size:           8
        .value_kind:     by_value
      - .offset:         208
        .size:           4
        .value_kind:     hidden_block_count_x
      - .offset:         212
        .size:           4
        .value_kind:     hidden_block_count_y
      - .offset:         216
        .size:           4
        .value_kind:     hidden_block_count_z
      - .offset:         220
        .size:           2
        .value_kind:     hidden_group_size_x
      - .offset:         222
        .size:           2
        .value_kind:     hidden_group_size_y
      - .offset:         224
        .size:           2
        .value_kind:     hidden_group_size_z
      - .offset:         226
        .size:           2
        .value_kind:     hidden_remainder_x
      - .offset:         228
        .size:           2
        .value_kind:     hidden_remainder_y
      - .offset:         230
        .size:           2
        .value_kind:     hidden_remainder_z
      - .offset:         248
        .size:           8
        .value_kind:     hidden_global_offset_x
      - .offset:         256
        .size:           8
        .value_kind:     hidden_global_offset_y
      - .offset:         264
        .size:           8
        .value_kind:     hidden_global_offset_z
      - .offset:         272
        .size:           2
        .value_kind:     hidden_grid_dims
    .group_segment_fixed_size: 12000
    .kernarg_segment_align: 8
    .kernarg_segment_size: 464
    .language:       OpenCL C
    .language_version:
      - 2
      - 0
    .max_flat_workgroup_size: 256
    .name:           _ZL15flash_attn_tileILi72ELi72ELi32ELi1ELb0EEvPKcS1_S1_S1_S1_PKiPfP15HIP_vector_typeIfLj2EEffffjfiS5_IjLj3EEiiiiiiiiiiiliiliiiiil
    .private_segment_fixed_size: 32
    .sgpr_count:     54
    .sgpr_spill_count: 0
    .symbol:         _ZL15flash_attn_tileILi72ELi72ELi32ELi1ELb0EEvPKcS1_S1_S1_S1_PKiPfP15HIP_vector_typeIfLj2EEffffjfiS5_IjLj3EEiiiiiiiiiiiliiliiiiil.kd
    .uniform_work_group_size: 1
    .uses_dynamic_stack: false
    .vgpr_count:     218
    .vgpr_spill_count: 0
    .wavefront_size: 32
    .workgroup_processor_mode: 1
  - .args:
      - .address_space:  global
        .offset:         0
        .size:           8
        .value_kind:     global_buffer
      - .address_space:  global
        .offset:         8
        .size:           8
        .value_kind:     global_buffer
      - .offset:         16
        .size:           4
        .value_kind:     by_value
      - .offset:         20
        .size:           4
        .value_kind:     by_value
      - .offset:         24
        .size:           4
        .value_kind:     by_value
      - .offset:         28
        .size:           4
        .value_kind:     by_value
      - .offset:         32
        .size:           4
        .value_kind:     by_value
      - .offset:         36
        .size:           4
        .value_kind:     by_value
      - .offset:         40
        .size:           12
        .value_kind:     by_value
      - .offset:         52
        .size:           12
        .value_kind:     by_value
      - .offset:         64
        .size:           12
        .value_kind:     by_value
    .group_segment_fixed_size: 0
    .kernarg_segment_align: 8
    .kernarg_segment_size: 76
    .language:       OpenCL C
    .language_version:
      - 2
      - 0
    .max_flat_workgroup_size: 72
    .name:           _ZL33flash_attn_stream_k_fixup_uniformILi72ELi32ELi1EEvPfPK15HIP_vector_typeIfLj2EEiiiiiiS1_IjLj3EES5_S5_
    .private_segment_fixed_size: 0
    .sgpr_count:     26
    .sgpr_spill_count: 0
    .symbol:         _ZL33flash_attn_stream_k_fixup_uniformILi72ELi32ELi1EEvPfPK15HIP_vector_typeIfLj2EEiiiiiiS1_IjLj3EES5_S5_.kd
    .uniform_work_group_size: 1
    .uses_dynamic_stack: false
    .vgpr_count:     15
    .vgpr_spill_count: 0
    .wavefront_size: 32
    .workgroup_processor_mode: 1
  - .args:
      - .address_space:  global
        .offset:         0
        .size:           8
        .value_kind:     global_buffer
      - .address_space:  global
        .offset:         8
        .size:           8
        .value_kind:     global_buffer
      - .offset:         16
        .size:           4
        .value_kind:     by_value
      - .offset:         20
        .size:           4
        .value_kind:     by_value
      - .offset:         24
        .size:           4
        .value_kind:     by_value
      - .offset:         28
        .size:           4
        .value_kind:     by_value
      - .offset:         32
        .size:           12
        .value_kind:     by_value
      - .offset:         44
        .size:           12
        .value_kind:     by_value
      - .offset:         56
        .size:           12
        .value_kind:     by_value
      - .offset:         68
        .size:           12
        .value_kind:     by_value
      - .offset:         80
        .size:           4
        .value_kind:     hidden_block_count_x
      - .offset:         84
        .size:           4
        .value_kind:     hidden_block_count_y
      - .offset:         88
        .size:           4
        .value_kind:     hidden_block_count_z
      - .offset:         92
        .size:           2
        .value_kind:     hidden_group_size_x
      - .offset:         94
        .size:           2
        .value_kind:     hidden_group_size_y
      - .offset:         96
        .size:           2
        .value_kind:     hidden_group_size_z
      - .offset:         98
        .size:           2
        .value_kind:     hidden_remainder_x
      - .offset:         100
        .size:           2
        .value_kind:     hidden_remainder_y
      - .offset:         102
        .size:           2
        .value_kind:     hidden_remainder_z
      - .offset:         120
        .size:           8
        .value_kind:     hidden_global_offset_x
      - .offset:         128
        .size:           8
        .value_kind:     hidden_global_offset_y
      - .offset:         136
        .size:           8
        .value_kind:     hidden_global_offset_z
      - .offset:         144
        .size:           2
        .value_kind:     hidden_grid_dims
    .group_segment_fixed_size: 0
    .kernarg_segment_align: 8
    .kernarg_segment_size: 336
    .language:       OpenCL C
    .language_version:
      - 2
      - 0
    .max_flat_workgroup_size: 72
    .name:           _ZL33flash_attn_stream_k_fixup_generalILi72ELi32ELi1EEvPfPK15HIP_vector_typeIfLj2EEiiiiS1_IjLj3EES5_S5_S5_
    .private_segment_fixed_size: 0
    .sgpr_count:     33
    .sgpr_spill_count: 0
    .symbol:         _ZL33flash_attn_stream_k_fixup_generalILi72ELi32ELi1EEvPfPK15HIP_vector_typeIfLj2EEiiiiS1_IjLj3EES5_S5_S5_.kd
    .uniform_work_group_size: 1
    .uses_dynamic_stack: false
    .vgpr_count:     17
    .vgpr_spill_count: 0
    .wavefront_size: 32
    .workgroup_processor_mode: 1
  - .args:
      - .address_space:  global
        .offset:         0
        .size:           8
        .value_kind:     global_buffer
      - .address_space:  global
        .offset:         8
        .size:           8
        .value_kind:     global_buffer
      - .address_space:  global
        .offset:         16
        .size:           8
        .value_kind:     global_buffer
      - .address_space:  global
        .offset:         24
        .size:           8
        .value_kind:     global_buffer
      - .address_space:  global
        .offset:         32
        .size:           8
        .value_kind:     global_buffer
      - .address_space:  global
        .offset:         40
        .size:           8
        .value_kind:     global_buffer
      - .address_space:  global
        .offset:         48
        .size:           8
        .value_kind:     global_buffer
      - .address_space:  global
        .offset:         56
        .size:           8
        .value_kind:     global_buffer
      - .offset:         64
        .size:           4
        .value_kind:     by_value
      - .offset:         68
        .size:           4
        .value_kind:     by_value
      - .offset:         72
        .size:           4
        .value_kind:     by_value
      - .offset:         76
        .size:           4
        .value_kind:     by_value
      - .offset:         80
        .size:           4
        .value_kind:     by_value
      - .offset:         84
        .size:           4
        .value_kind:     by_value
      - .offset:         88
        .size:           4
        .value_kind:     by_value
      - .offset:         92
        .size:           12
        .value_kind:     by_value
      - .offset:         104
        .size:           4
        .value_kind:     by_value
      - .offset:         108
        .size:           4
        .value_kind:     by_value
      - .offset:         112
        .size:           4
        .value_kind:     by_value
      - .offset:         116
        .size:           4
        .value_kind:     by_value
      - .offset:         120
        .size:           4
        .value_kind:     by_value
      - .offset:         124
        .size:           4
        .value_kind:     by_value
      - .offset:         128
        .size:           4
        .value_kind:     by_value
      - .offset:         132
        .size:           4
        .value_kind:     by_value
      - .offset:         136
        .size:           4
        .value_kind:     by_value
      - .offset:         140
        .size:           4
        .value_kind:     by_value
      - .offset:         144
        .size:           4
        .value_kind:     by_value
      - .offset:         152
        .size:           8
        .value_kind:     by_value
      - .offset:         160
        .size:           4
        .value_kind:     by_value
      - .offset:         164
        .size:           4
        .value_kind:     by_value
      - .offset:         168
        .size:           8
        .value_kind:     by_value
      - .offset:         176
        .size:           4
        .value_kind:     by_value
      - .offset:         180
        .size:           4
        .value_kind:     by_value
      - .offset:         184
        .size:           4
        .value_kind:     by_value
      - .offset:         188
        .size:           4
        .value_kind:     by_value
      - .offset:         192
        .size:           4
        .value_kind:     by_value
      - .offset:         200
        .size:           8
        .value_kind:     by_value
      - .offset:         208
        .size:           4
        .value_kind:     hidden_block_count_x
      - .offset:         212
        .size:           4
        .value_kind:     hidden_block_count_y
      - .offset:         216
        .size:           4
        .value_kind:     hidden_block_count_z
      - .offset:         220
        .size:           2
        .value_kind:     hidden_group_size_x
      - .offset:         222
        .size:           2
        .value_kind:     hidden_group_size_y
      - .offset:         224
        .size:           2
        .value_kind:     hidden_group_size_z
      - .offset:         226
        .size:           2
        .value_kind:     hidden_remainder_x
      - .offset:         228
        .size:           2
        .value_kind:     hidden_remainder_y
      - .offset:         230
        .size:           2
        .value_kind:     hidden_remainder_z
      - .offset:         248
        .size:           8
        .value_kind:     hidden_global_offset_x
      - .offset:         256
        .size:           8
        .value_kind:     hidden_global_offset_y
      - .offset:         264
        .size:           8
        .value_kind:     hidden_global_offset_z
      - .offset:         272
        .size:           2
        .value_kind:     hidden_grid_dims
    .group_segment_fixed_size: 8672
    .kernarg_segment_align: 8
    .kernarg_segment_size: 464
    .language:       OpenCL C
    .language_version:
      - 2
      - 0
    .max_flat_workgroup_size: 256
    .name:           _ZL15flash_attn_tileILi72ELi72ELi16ELi1ELb0EEvPKcS1_S1_S1_S1_PKiPfP15HIP_vector_typeIfLj2EEffffjfiS5_IjLj3EEiiiiiiiiiiiliiliiiiil
    .private_segment_fixed_size: 32
    .sgpr_count:     54
    .sgpr_spill_count: 0
    .symbol:         _ZL15flash_attn_tileILi72ELi72ELi16ELi1ELb0EEvPKcS1_S1_S1_S1_PKiPfP15HIP_vector_typeIfLj2EEffffjfiS5_IjLj3EEiiiiiiiiiiiliiliiiiil.kd
    .uniform_work_group_size: 1
    .uses_dynamic_stack: false
    .vgpr_count:     142
    .vgpr_spill_count: 0
    .wavefront_size: 32
    .workgroup_processor_mode: 1
  - .args:
      - .address_space:  global
        .offset:         0
        .size:           8
        .value_kind:     global_buffer
      - .address_space:  global
        .offset:         8
        .size:           8
        .value_kind:     global_buffer
      - .offset:         16
        .size:           4
        .value_kind:     by_value
      - .offset:         20
        .size:           4
        .value_kind:     by_value
      - .offset:         24
        .size:           4
        .value_kind:     by_value
      - .offset:         28
        .size:           4
        .value_kind:     by_value
      - .offset:         32
        .size:           4
        .value_kind:     by_value
      - .offset:         36
        .size:           4
        .value_kind:     by_value
      - .offset:         40
        .size:           12
        .value_kind:     by_value
      - .offset:         52
        .size:           12
        .value_kind:     by_value
      - .offset:         64
        .size:           12
        .value_kind:     by_value
    .group_segment_fixed_size: 0
    .kernarg_segment_align: 8
    .kernarg_segment_size: 76
    .language:       OpenCL C
    .language_version:
      - 2
      - 0
    .max_flat_workgroup_size: 72
    .name:           _ZL33flash_attn_stream_k_fixup_uniformILi72ELi16ELi1EEvPfPK15HIP_vector_typeIfLj2EEiiiiiiS1_IjLj3EES5_S5_
    .private_segment_fixed_size: 0
    .sgpr_count:     26
    .sgpr_spill_count: 0
    .symbol:         _ZL33flash_attn_stream_k_fixup_uniformILi72ELi16ELi1EEvPfPK15HIP_vector_typeIfLj2EEiiiiiiS1_IjLj3EES5_S5_.kd
    .uniform_work_group_size: 1
    .uses_dynamic_stack: false
    .vgpr_count:     15
    .vgpr_spill_count: 0
    .wavefront_size: 32
    .workgroup_processor_mode: 1
  - .args:
      - .address_space:  global
        .offset:         0
        .size:           8
        .value_kind:     global_buffer
      - .address_space:  global
        .offset:         8
        .size:           8
        .value_kind:     global_buffer
      - .offset:         16
        .size:           4
        .value_kind:     by_value
      - .offset:         20
        .size:           4
        .value_kind:     by_value
      - .offset:         24
        .size:           4
        .value_kind:     by_value
      - .offset:         28
        .size:           4
        .value_kind:     by_value
      - .offset:         32
        .size:           12
        .value_kind:     by_value
      - .offset:         44
        .size:           12
        .value_kind:     by_value
      - .offset:         56
        .size:           12
        .value_kind:     by_value
      - .offset:         68
        .size:           12
        .value_kind:     by_value
      - .offset:         80
        .size:           4
        .value_kind:     hidden_block_count_x
      - .offset:         84
        .size:           4
        .value_kind:     hidden_block_count_y
      - .offset:         88
        .size:           4
        .value_kind:     hidden_block_count_z
      - .offset:         92
        .size:           2
        .value_kind:     hidden_group_size_x
      - .offset:         94
        .size:           2
        .value_kind:     hidden_group_size_y
      - .offset:         96
        .size:           2
        .value_kind:     hidden_group_size_z
      - .offset:         98
        .size:           2
        .value_kind:     hidden_remainder_x
      - .offset:         100
        .size:           2
        .value_kind:     hidden_remainder_y
      - .offset:         102
        .size:           2
        .value_kind:     hidden_remainder_z
      - .offset:         120
        .size:           8
        .value_kind:     hidden_global_offset_x
      - .offset:         128
        .size:           8
        .value_kind:     hidden_global_offset_y
      - .offset:         136
        .size:           8
        .value_kind:     hidden_global_offset_z
      - .offset:         144
        .size:           2
        .value_kind:     hidden_grid_dims
    .group_segment_fixed_size: 0
    .kernarg_segment_align: 8
    .kernarg_segment_size: 336
    .language:       OpenCL C
    .language_version:
      - 2
      - 0
    .max_flat_workgroup_size: 72
    .name:           _ZL33flash_attn_stream_k_fixup_generalILi72ELi16ELi1EEvPfPK15HIP_vector_typeIfLj2EEiiiiS1_IjLj3EES5_S5_S5_
    .private_segment_fixed_size: 0
    .sgpr_count:     33
    .sgpr_spill_count: 0
    .symbol:         _ZL33flash_attn_stream_k_fixup_generalILi72ELi16ELi1EEvPfPK15HIP_vector_typeIfLj2EEiiiiS1_IjLj3EES5_S5_S5_.kd
    .uniform_work_group_size: 1
    .uses_dynamic_stack: false
    .vgpr_count:     17
    .vgpr_spill_count: 0
    .wavefront_size: 32
    .workgroup_processor_mode: 1
  - .args:
      - .address_space:  global
        .offset:         0
        .size:           8
        .value_kind:     global_buffer
      - .address_space:  global
        .offset:         8
        .size:           8
        .value_kind:     global_buffer
      - .address_space:  global
        .offset:         16
        .size:           8
        .value_kind:     global_buffer
      - .address_space:  global
        .offset:         24
        .size:           8
        .value_kind:     global_buffer
      - .address_space:  global
        .offset:         32
        .size:           8
        .value_kind:     global_buffer
      - .address_space:  global
        .offset:         40
        .size:           8
        .value_kind:     global_buffer
      - .address_space:  global
        .offset:         48
        .size:           8
        .value_kind:     global_buffer
      - .address_space:  global
        .offset:         56
        .size:           8
        .value_kind:     global_buffer
      - .offset:         64
        .size:           4
        .value_kind:     by_value
      - .offset:         68
        .size:           4
        .value_kind:     by_value
      - .offset:         72
        .size:           4
        .value_kind:     by_value
      - .offset:         76
        .size:           4
        .value_kind:     by_value
      - .offset:         80
        .size:           4
        .value_kind:     by_value
      - .offset:         84
        .size:           4
        .value_kind:     by_value
      - .offset:         88
        .size:           4
        .value_kind:     by_value
      - .offset:         92
        .size:           12
        .value_kind:     by_value
      - .offset:         104
        .size:           4
        .value_kind:     by_value
      - .offset:         108
        .size:           4
        .value_kind:     by_value
      - .offset:         112
        .size:           4
        .value_kind:     by_value
      - .offset:         116
        .size:           4
        .value_kind:     by_value
      - .offset:         120
        .size:           4
        .value_kind:     by_value
      - .offset:         124
        .size:           4
        .value_kind:     by_value
      - .offset:         128
        .size:           4
        .value_kind:     by_value
      - .offset:         132
        .size:           4
        .value_kind:     by_value
      - .offset:         136
        .size:           4
        .value_kind:     by_value
      - .offset:         140
        .size:           4
        .value_kind:     by_value
      - .offset:         144
        .size:           4
        .value_kind:     by_value
      - .offset:         152
        .size:           8
        .value_kind:     by_value
      - .offset:         160
        .size:           4
        .value_kind:     by_value
      - .offset:         164
        .size:           4
        .value_kind:     by_value
      - .offset:         168
        .size:           8
        .value_kind:     by_value
      - .offset:         176
        .size:           4
        .value_kind:     by_value
      - .offset:         180
        .size:           4
        .value_kind:     by_value
      - .offset:         184
        .size:           4
        .value_kind:     by_value
      - .offset:         188
        .size:           4
        .value_kind:     by_value
      - .offset:         192
        .size:           4
        .value_kind:     by_value
      - .offset:         200
        .size:           8
        .value_kind:     by_value
      - .offset:         208
        .size:           4
        .value_kind:     hidden_block_count_x
      - .offset:         212
        .size:           4
        .value_kind:     hidden_block_count_y
      - .offset:         216
        .size:           4
        .value_kind:     hidden_block_count_z
      - .offset:         220
        .size:           2
        .value_kind:     hidden_group_size_x
      - .offset:         222
        .size:           2
        .value_kind:     hidden_group_size_y
      - .offset:         224
        .size:           2
        .value_kind:     hidden_group_size_z
      - .offset:         226
        .size:           2
        .value_kind:     hidden_remainder_x
      - .offset:         228
        .size:           2
        .value_kind:     hidden_remainder_y
      - .offset:         230
        .size:           2
        .value_kind:     hidden_remainder_z
      - .offset:         248
        .size:           8
        .value_kind:     hidden_global_offset_x
      - .offset:         256
        .size:           8
        .value_kind:     hidden_global_offset_y
      - .offset:         264
        .size:           8
        .value_kind:     hidden_global_offset_z
      - .offset:         272
        .size:           2
        .value_kind:     hidden_grid_dims
    .group_segment_fixed_size: 7008
    .kernarg_segment_align: 8
    .kernarg_segment_size: 464
    .language:       OpenCL C
    .language_version:
      - 2
      - 0
    .max_flat_workgroup_size: 256
    .name:           _ZL15flash_attn_tileILi72ELi72ELi8ELi1ELb0EEvPKcS1_S1_S1_S1_PKiPfP15HIP_vector_typeIfLj2EEffffjfiS5_IjLj3EEiiiiiiiiiiiliiliiiiil
    .private_segment_fixed_size: 32
    .sgpr_count:     54
    .sgpr_spill_count: 0
    .symbol:         _ZL15flash_attn_tileILi72ELi72ELi8ELi1ELb0EEvPKcS1_S1_S1_S1_PKiPfP15HIP_vector_typeIfLj2EEffffjfiS5_IjLj3EEiiiiiiiiiiiliiliiiiil.kd
    .uniform_work_group_size: 1
    .uses_dynamic_stack: false
    .vgpr_count:     63
    .vgpr_spill_count: 0
    .wavefront_size: 32
    .workgroup_processor_mode: 1
  - .args:
      - .address_space:  global
        .offset:         0
        .size:           8
        .value_kind:     global_buffer
      - .address_space:  global
        .offset:         8
        .size:           8
        .value_kind:     global_buffer
      - .offset:         16
        .size:           4
        .value_kind:     by_value
      - .offset:         20
        .size:           4
        .value_kind:     by_value
      - .offset:         24
        .size:           4
        .value_kind:     by_value
      - .offset:         28
        .size:           4
        .value_kind:     by_value
      - .offset:         32
        .size:           4
        .value_kind:     by_value
      - .offset:         36
        .size:           4
        .value_kind:     by_value
      - .offset:         40
        .size:           12
        .value_kind:     by_value
      - .offset:         52
        .size:           12
        .value_kind:     by_value
      - .offset:         64
        .size:           12
        .value_kind:     by_value
    .group_segment_fixed_size: 0
    .kernarg_segment_align: 8
    .kernarg_segment_size: 76
    .language:       OpenCL C
    .language_version:
      - 2
      - 0
    .max_flat_workgroup_size: 72
    .name:           _ZL33flash_attn_stream_k_fixup_uniformILi72ELi8ELi1EEvPfPK15HIP_vector_typeIfLj2EEiiiiiiS1_IjLj3EES5_S5_
    .private_segment_fixed_size: 0
    .sgpr_count:     26
    .sgpr_spill_count: 0
    .symbol:         _ZL33flash_attn_stream_k_fixup_uniformILi72ELi8ELi1EEvPfPK15HIP_vector_typeIfLj2EEiiiiiiS1_IjLj3EES5_S5_.kd
    .uniform_work_group_size: 1
    .uses_dynamic_stack: false
    .vgpr_count:     15
    .vgpr_spill_count: 0
    .wavefront_size: 32
    .workgroup_processor_mode: 1
  - .args:
      - .address_space:  global
        .offset:         0
        .size:           8
        .value_kind:     global_buffer
      - .address_space:  global
        .offset:         8
        .size:           8
        .value_kind:     global_buffer
      - .offset:         16
        .size:           4
        .value_kind:     by_value
      - .offset:         20
        .size:           4
        .value_kind:     by_value
      - .offset:         24
        .size:           4
        .value_kind:     by_value
      - .offset:         28
        .size:           4
        .value_kind:     by_value
      - .offset:         32
        .size:           12
        .value_kind:     by_value
      - .offset:         44
        .size:           12
        .value_kind:     by_value
      - .offset:         56
        .size:           12
        .value_kind:     by_value
      - .offset:         68
        .size:           12
        .value_kind:     by_value
      - .offset:         80
        .size:           4
        .value_kind:     hidden_block_count_x
      - .offset:         84
        .size:           4
        .value_kind:     hidden_block_count_y
      - .offset:         88
        .size:           4
        .value_kind:     hidden_block_count_z
      - .offset:         92
        .size:           2
        .value_kind:     hidden_group_size_x
      - .offset:         94
        .size:           2
        .value_kind:     hidden_group_size_y
      - .offset:         96
        .size:           2
        .value_kind:     hidden_group_size_z
      - .offset:         98
        .size:           2
        .value_kind:     hidden_remainder_x
      - .offset:         100
        .size:           2
        .value_kind:     hidden_remainder_y
      - .offset:         102
        .size:           2
        .value_kind:     hidden_remainder_z
      - .offset:         120
        .size:           8
        .value_kind:     hidden_global_offset_x
      - .offset:         128
        .size:           8
        .value_kind:     hidden_global_offset_y
      - .offset:         136
        .size:           8
        .value_kind:     hidden_global_offset_z
      - .offset:         144
        .size:           2
        .value_kind:     hidden_grid_dims
    .group_segment_fixed_size: 0
    .kernarg_segment_align: 8
    .kernarg_segment_size: 336
    .language:       OpenCL C
    .language_version:
      - 2
      - 0
    .max_flat_workgroup_size: 72
    .name:           _ZL33flash_attn_stream_k_fixup_generalILi72ELi8ELi1EEvPfPK15HIP_vector_typeIfLj2EEiiiiS1_IjLj3EES5_S5_S5_
    .private_segment_fixed_size: 0
    .sgpr_count:     33
    .sgpr_spill_count: 0
    .symbol:         _ZL33flash_attn_stream_k_fixup_generalILi72ELi8ELi1EEvPfPK15HIP_vector_typeIfLj2EEiiiiS1_IjLj3EES5_S5_S5_.kd
    .uniform_work_group_size: 1
    .uses_dynamic_stack: false
    .vgpr_count:     17
    .vgpr_spill_count: 0
    .wavefront_size: 32
    .workgroup_processor_mode: 1
  - .args:
      - .address_space:  global
        .offset:         0
        .size:           8
        .value_kind:     global_buffer
      - .address_space:  global
        .offset:         8
        .size:           8
        .value_kind:     global_buffer
      - .address_space:  global
        .offset:         16
        .size:           8
        .value_kind:     global_buffer
      - .address_space:  global
        .offset:         24
        .size:           8
        .value_kind:     global_buffer
      - .address_space:  global
        .offset:         32
        .size:           8
        .value_kind:     global_buffer
      - .address_space:  global
        .offset:         40
        .size:           8
        .value_kind:     global_buffer
      - .address_space:  global
        .offset:         48
        .size:           8
        .value_kind:     global_buffer
      - .address_space:  global
        .offset:         56
        .size:           8
        .value_kind:     global_buffer
      - .offset:         64
        .size:           4
        .value_kind:     by_value
      - .offset:         68
        .size:           4
        .value_kind:     by_value
      - .offset:         72
        .size:           4
        .value_kind:     by_value
      - .offset:         76
        .size:           4
        .value_kind:     by_value
      - .offset:         80
        .size:           4
        .value_kind:     by_value
      - .offset:         84
        .size:           4
        .value_kind:     by_value
      - .offset:         88
        .size:           4
        .value_kind:     by_value
      - .offset:         92
        .size:           12
        .value_kind:     by_value
      - .offset:         104
        .size:           4
        .value_kind:     by_value
      - .offset:         108
        .size:           4
        .value_kind:     by_value
      - .offset:         112
        .size:           4
        .value_kind:     by_value
      - .offset:         116
        .size:           4
        .value_kind:     by_value
      - .offset:         120
        .size:           4
        .value_kind:     by_value
      - .offset:         124
        .size:           4
        .value_kind:     by_value
      - .offset:         128
        .size:           4
        .value_kind:     by_value
      - .offset:         132
        .size:           4
        .value_kind:     by_value
      - .offset:         136
        .size:           4
        .value_kind:     by_value
      - .offset:         140
        .size:           4
        .value_kind:     by_value
      - .offset:         144
        .size:           4
        .value_kind:     by_value
      - .offset:         152
        .size:           8
        .value_kind:     by_value
      - .offset:         160
        .size:           4
        .value_kind:     by_value
      - .offset:         164
        .size:           4
        .value_kind:     by_value
      - .offset:         168
        .size:           8
        .value_kind:     by_value
      - .offset:         176
        .size:           4
        .value_kind:     by_value
      - .offset:         180
        .size:           4
        .value_kind:     by_value
      - .offset:         184
        .size:           4
        .value_kind:     by_value
      - .offset:         188
        .size:           4
        .value_kind:     by_value
      - .offset:         192
        .size:           4
        .value_kind:     by_value
      - .offset:         200
        .size:           8
        .value_kind:     by_value
      - .offset:         208
        .size:           4
        .value_kind:     hidden_block_count_x
      - .offset:         212
        .size:           4
        .value_kind:     hidden_block_count_y
      - .offset:         216
        .size:           4
        .value_kind:     hidden_block_count_z
      - .offset:         220
        .size:           2
        .value_kind:     hidden_group_size_x
      - .offset:         222
        .size:           2
        .value_kind:     hidden_group_size_y
      - .offset:         224
        .size:           2
        .value_kind:     hidden_group_size_z
      - .offset:         226
        .size:           2
        .value_kind:     hidden_remainder_x
      - .offset:         228
        .size:           2
        .value_kind:     hidden_remainder_y
      - .offset:         230
        .size:           2
        .value_kind:     hidden_remainder_z
      - .offset:         248
        .size:           8
        .value_kind:     hidden_global_offset_x
      - .offset:         256
        .size:           8
        .value_kind:     hidden_global_offset_y
      - .offset:         264
        .size:           8
        .value_kind:     hidden_global_offset_z
      - .offset:         272
        .size:           2
        .value_kind:     hidden_grid_dims
    .group_segment_fixed_size: 6176
    .kernarg_segment_align: 8
    .kernarg_segment_size: 464
    .language:       OpenCL C
    .language_version:
      - 2
      - 0
    .max_flat_workgroup_size: 128
    .name:           _ZL15flash_attn_tileILi72ELi72ELi4ELi1ELb0EEvPKcS1_S1_S1_S1_PKiPfP15HIP_vector_typeIfLj2EEffffjfiS5_IjLj3EEiiiiiiiiiiiliiliiiiil
    .private_segment_fixed_size: 32
    .sgpr_count:     54
    .sgpr_spill_count: 0
    .symbol:         _ZL15flash_attn_tileILi72ELi72ELi4ELi1ELb0EEvPKcS1_S1_S1_S1_PKiPfP15HIP_vector_typeIfLj2EEffffjfiS5_IjLj3EEiiiiiiiiiiiliiliiiiil.kd
    .uniform_work_group_size: 1
    .uses_dynamic_stack: false
    .vgpr_count:     63
    .vgpr_spill_count: 0
    .wavefront_size: 32
    .workgroup_processor_mode: 1
  - .args:
      - .address_space:  global
        .offset:         0
        .size:           8
        .value_kind:     global_buffer
      - .address_space:  global
        .offset:         8
        .size:           8
        .value_kind:     global_buffer
      - .offset:         16
        .size:           4
        .value_kind:     by_value
      - .offset:         20
        .size:           4
        .value_kind:     by_value
      - .offset:         24
        .size:           4
        .value_kind:     by_value
      - .offset:         28
        .size:           4
        .value_kind:     by_value
      - .offset:         32
        .size:           4
        .value_kind:     by_value
      - .offset:         36
        .size:           4
        .value_kind:     by_value
      - .offset:         40
        .size:           12
        .value_kind:     by_value
      - .offset:         52
        .size:           12
        .value_kind:     by_value
      - .offset:         64
        .size:           12
        .value_kind:     by_value
    .group_segment_fixed_size: 0
    .kernarg_segment_align: 8
    .kernarg_segment_size: 76
    .language:       OpenCL C
    .language_version:
      - 2
      - 0
    .max_flat_workgroup_size: 72
    .name:           _ZL33flash_attn_stream_k_fixup_uniformILi72ELi4ELi1EEvPfPK15HIP_vector_typeIfLj2EEiiiiiiS1_IjLj3EES5_S5_
    .private_segment_fixed_size: 0
    .sgpr_count:     26
    .sgpr_spill_count: 0
    .symbol:         _ZL33flash_attn_stream_k_fixup_uniformILi72ELi4ELi1EEvPfPK15HIP_vector_typeIfLj2EEiiiiiiS1_IjLj3EES5_S5_.kd
    .uniform_work_group_size: 1
    .uses_dynamic_stack: false
    .vgpr_count:     15
    .vgpr_spill_count: 0
    .wavefront_size: 32
    .workgroup_processor_mode: 1
  - .args:
      - .address_space:  global
        .offset:         0
        .size:           8
        .value_kind:     global_buffer
      - .address_space:  global
        .offset:         8
        .size:           8
        .value_kind:     global_buffer
      - .offset:         16
        .size:           4
        .value_kind:     by_value
      - .offset:         20
        .size:           4
        .value_kind:     by_value
      - .offset:         24
        .size:           4
        .value_kind:     by_value
      - .offset:         28
        .size:           4
        .value_kind:     by_value
      - .offset:         32
        .size:           12
        .value_kind:     by_value
      - .offset:         44
        .size:           12
        .value_kind:     by_value
      - .offset:         56
        .size:           12
        .value_kind:     by_value
      - .offset:         68
        .size:           12
        .value_kind:     by_value
      - .offset:         80
        .size:           4
        .value_kind:     hidden_block_count_x
      - .offset:         84
        .size:           4
        .value_kind:     hidden_block_count_y
      - .offset:         88
        .size:           4
        .value_kind:     hidden_block_count_z
      - .offset:         92
        .size:           2
        .value_kind:     hidden_group_size_x
      - .offset:         94
        .size:           2
        .value_kind:     hidden_group_size_y
      - .offset:         96
        .size:           2
        .value_kind:     hidden_group_size_z
      - .offset:         98
        .size:           2
        .value_kind:     hidden_remainder_x
      - .offset:         100
        .size:           2
        .value_kind:     hidden_remainder_y
      - .offset:         102
        .size:           2
        .value_kind:     hidden_remainder_z
      - .offset:         120
        .size:           8
        .value_kind:     hidden_global_offset_x
      - .offset:         128
        .size:           8
        .value_kind:     hidden_global_offset_y
      - .offset:         136
        .size:           8
        .value_kind:     hidden_global_offset_z
      - .offset:         144
        .size:           2
        .value_kind:     hidden_grid_dims
    .group_segment_fixed_size: 0
    .kernarg_segment_align: 8
    .kernarg_segment_size: 336
    .language:       OpenCL C
    .language_version:
      - 2
      - 0
    .max_flat_workgroup_size: 72
    .name:           _ZL33flash_attn_stream_k_fixup_generalILi72ELi4ELi1EEvPfPK15HIP_vector_typeIfLj2EEiiiiS1_IjLj3EES5_S5_S5_
    .private_segment_fixed_size: 0
    .sgpr_count:     33
    .sgpr_spill_count: 0
    .symbol:         _ZL33flash_attn_stream_k_fixup_generalILi72ELi4ELi1EEvPfPK15HIP_vector_typeIfLj2EEiiiiS1_IjLj3EES5_S5_S5_.kd
    .uniform_work_group_size: 1
    .uses_dynamic_stack: false
    .vgpr_count:     17
    .vgpr_spill_count: 0
    .wavefront_size: 32
    .workgroup_processor_mode: 1
  - .args:
      - .address_space:  global
        .offset:         0
        .size:           8
        .value_kind:     global_buffer
      - .address_space:  global
        .offset:         8
        .size:           8
        .value_kind:     global_buffer
      - .address_space:  global
        .offset:         16
        .size:           8
        .value_kind:     global_buffer
      - .address_space:  global
        .offset:         24
        .size:           8
        .value_kind:     global_buffer
      - .address_space:  global
        .offset:         32
        .size:           8
        .value_kind:     global_buffer
      - .address_space:  global
        .offset:         40
        .size:           8
        .value_kind:     global_buffer
      - .address_space:  global
        .offset:         48
        .size:           8
        .value_kind:     global_buffer
      - .address_space:  global
        .offset:         56
        .size:           8
        .value_kind:     global_buffer
      - .offset:         64
        .size:           4
        .value_kind:     by_value
      - .offset:         68
        .size:           4
        .value_kind:     by_value
      - .offset:         72
        .size:           4
        .value_kind:     by_value
      - .offset:         76
        .size:           4
        .value_kind:     by_value
      - .offset:         80
        .size:           4
        .value_kind:     by_value
      - .offset:         84
        .size:           4
        .value_kind:     by_value
      - .offset:         88
        .size:           4
        .value_kind:     by_value
      - .offset:         92
        .size:           12
        .value_kind:     by_value
      - .offset:         104
        .size:           4
        .value_kind:     by_value
      - .offset:         108
        .size:           4
        .value_kind:     by_value
      - .offset:         112
        .size:           4
        .value_kind:     by_value
      - .offset:         116
        .size:           4
        .value_kind:     by_value
      - .offset:         120
        .size:           4
        .value_kind:     by_value
      - .offset:         124
        .size:           4
        .value_kind:     by_value
      - .offset:         128
        .size:           4
        .value_kind:     by_value
      - .offset:         132
        .size:           4
        .value_kind:     by_value
      - .offset:         136
        .size:           4
        .value_kind:     by_value
      - .offset:         140
        .size:           4
        .value_kind:     by_value
      - .offset:         144
        .size:           4
        .value_kind:     by_value
      - .offset:         152
        .size:           8
        .value_kind:     by_value
      - .offset:         160
        .size:           4
        .value_kind:     by_value
      - .offset:         164
        .size:           4
        .value_kind:     by_value
      - .offset:         168
        .size:           8
        .value_kind:     by_value
      - .offset:         176
        .size:           4
        .value_kind:     by_value
      - .offset:         180
        .size:           4
        .value_kind:     by_value
      - .offset:         184
        .size:           4
        .value_kind:     by_value
      - .offset:         188
        .size:           4
        .value_kind:     by_value
      - .offset:         192
        .size:           4
        .value_kind:     by_value
      - .offset:         200
        .size:           8
        .value_kind:     by_value
      - .offset:         208
        .size:           4
        .value_kind:     hidden_block_count_x
      - .offset:         212
        .size:           4
        .value_kind:     hidden_block_count_y
      - .offset:         216
        .size:           4
        .value_kind:     hidden_block_count_z
      - .offset:         220
        .size:           2
        .value_kind:     hidden_group_size_x
      - .offset:         222
        .size:           2
        .value_kind:     hidden_group_size_y
      - .offset:         224
        .size:           2
        .value_kind:     hidden_group_size_z
      - .offset:         226
        .size:           2
        .value_kind:     hidden_remainder_x
      - .offset:         228
        .size:           2
        .value_kind:     hidden_remainder_y
      - .offset:         230
        .size:           2
        .value_kind:     hidden_remainder_z
      - .offset:         248
        .size:           8
        .value_kind:     hidden_global_offset_x
      - .offset:         256
        .size:           8
        .value_kind:     hidden_global_offset_y
      - .offset:         264
        .size:           8
        .value_kind:     hidden_global_offset_z
      - .offset:         272
        .size:           2
        .value_kind:     hidden_grid_dims
    .group_segment_fixed_size: 5760
    .kernarg_segment_align: 8
    .kernarg_segment_size: 464
    .language:       OpenCL C
    .language_version:
      - 2
      - 0
    .max_flat_workgroup_size: 64
    .name:           _ZL15flash_attn_tileILi72ELi72ELi2ELi1ELb0EEvPKcS1_S1_S1_S1_PKiPfP15HIP_vector_typeIfLj2EEffffjfiS5_IjLj3EEiiiiiiiiiiiliiliiiiil
    .private_segment_fixed_size: 32
    .sgpr_count:     54
    .sgpr_spill_count: 0
    .symbol:         _ZL15flash_attn_tileILi72ELi72ELi2ELi1ELb0EEvPKcS1_S1_S1_S1_PKiPfP15HIP_vector_typeIfLj2EEffffjfiS5_IjLj3EEiiiiiiiiiiiliiliiiiil.kd
    .uniform_work_group_size: 1
    .uses_dynamic_stack: false
    .vgpr_count:     76
    .vgpr_spill_count: 0
    .wavefront_size: 32
    .workgroup_processor_mode: 1
  - .args:
      - .address_space:  global
        .offset:         0
        .size:           8
        .value_kind:     global_buffer
      - .address_space:  global
        .offset:         8
        .size:           8
        .value_kind:     global_buffer
      - .offset:         16
        .size:           4
        .value_kind:     by_value
      - .offset:         20
        .size:           4
        .value_kind:     by_value
      - .offset:         24
        .size:           4
        .value_kind:     by_value
      - .offset:         28
        .size:           4
        .value_kind:     by_value
      - .offset:         32
        .size:           4
        .value_kind:     by_value
      - .offset:         36
        .size:           4
        .value_kind:     by_value
      - .offset:         40
        .size:           12
        .value_kind:     by_value
      - .offset:         52
        .size:           12
        .value_kind:     by_value
      - .offset:         64
        .size:           12
        .value_kind:     by_value
    .group_segment_fixed_size: 0
    .kernarg_segment_align: 8
    .kernarg_segment_size: 76
    .language:       OpenCL C
    .language_version:
      - 2
      - 0
    .max_flat_workgroup_size: 72
    .name:           _ZL33flash_attn_stream_k_fixup_uniformILi72ELi2ELi1EEvPfPK15HIP_vector_typeIfLj2EEiiiiiiS1_IjLj3EES5_S5_
    .private_segment_fixed_size: 0
    .sgpr_count:     26
    .sgpr_spill_count: 0
    .symbol:         _ZL33flash_attn_stream_k_fixup_uniformILi72ELi2ELi1EEvPfPK15HIP_vector_typeIfLj2EEiiiiiiS1_IjLj3EES5_S5_.kd
    .uniform_work_group_size: 1
    .uses_dynamic_stack: false
    .vgpr_count:     15
    .vgpr_spill_count: 0
    .wavefront_size: 32
    .workgroup_processor_mode: 1
  - .args:
      - .address_space:  global
        .offset:         0
        .size:           8
        .value_kind:     global_buffer
      - .address_space:  global
        .offset:         8
        .size:           8
        .value_kind:     global_buffer
      - .offset:         16
        .size:           4
        .value_kind:     by_value
      - .offset:         20
        .size:           4
        .value_kind:     by_value
      - .offset:         24
        .size:           4
        .value_kind:     by_value
      - .offset:         28
        .size:           4
        .value_kind:     by_value
      - .offset:         32
        .size:           12
        .value_kind:     by_value
      - .offset:         44
        .size:           12
        .value_kind:     by_value
      - .offset:         56
        .size:           12
        .value_kind:     by_value
      - .offset:         68
        .size:           12
        .value_kind:     by_value
      - .offset:         80
        .size:           4
        .value_kind:     hidden_block_count_x
      - .offset:         84
        .size:           4
        .value_kind:     hidden_block_count_y
      - .offset:         88
        .size:           4
        .value_kind:     hidden_block_count_z
      - .offset:         92
        .size:           2
        .value_kind:     hidden_group_size_x
      - .offset:         94
        .size:           2
        .value_kind:     hidden_group_size_y
      - .offset:         96
        .size:           2
        .value_kind:     hidden_group_size_z
      - .offset:         98
        .size:           2
        .value_kind:     hidden_remainder_x
      - .offset:         100
        .size:           2
        .value_kind:     hidden_remainder_y
      - .offset:         102
        .size:           2
        .value_kind:     hidden_remainder_z
      - .offset:         120
        .size:           8
        .value_kind:     hidden_global_offset_x
      - .offset:         128
        .size:           8
        .value_kind:     hidden_global_offset_y
      - .offset:         136
        .size:           8
        .value_kind:     hidden_global_offset_z
      - .offset:         144
        .size:           2
        .value_kind:     hidden_grid_dims
    .group_segment_fixed_size: 0
    .kernarg_segment_align: 8
    .kernarg_segment_size: 336
    .language:       OpenCL C
    .language_version:
      - 2
      - 0
    .max_flat_workgroup_size: 72
    .name:           _ZL33flash_attn_stream_k_fixup_generalILi72ELi2ELi1EEvPfPK15HIP_vector_typeIfLj2EEiiiiS1_IjLj3EES5_S5_S5_
    .private_segment_fixed_size: 0
    .sgpr_count:     33
    .sgpr_spill_count: 0
    .symbol:         _ZL33flash_attn_stream_k_fixup_generalILi72ELi2ELi1EEvPfPK15HIP_vector_typeIfLj2EEiiiiS1_IjLj3EES5_S5_S5_.kd
    .uniform_work_group_size: 1
    .uses_dynamic_stack: false
    .vgpr_count:     17
    .vgpr_spill_count: 0
    .wavefront_size: 32
    .workgroup_processor_mode: 1
  - .args:
      - .address_space:  global
        .offset:         0
        .size:           8
        .value_kind:     global_buffer
      - .address_space:  global
        .offset:         8
        .size:           8
        .value_kind:     global_buffer
      - .address_space:  global
        .offset:         16
        .size:           8
        .value_kind:     global_buffer
      - .address_space:  global
        .offset:         24
        .size:           8
        .value_kind:     global_buffer
      - .address_space:  global
        .offset:         32
        .size:           8
        .value_kind:     global_buffer
      - .address_space:  global
        .offset:         40
        .size:           8
        .value_kind:     global_buffer
      - .address_space:  global
        .offset:         48
        .size:           8
        .value_kind:     global_buffer
      - .address_space:  global
        .offset:         56
        .size:           8
        .value_kind:     global_buffer
      - .offset:         64
        .size:           4
        .value_kind:     by_value
      - .offset:         68
        .size:           4
        .value_kind:     by_value
      - .offset:         72
        .size:           4
        .value_kind:     by_value
      - .offset:         76
        .size:           4
        .value_kind:     by_value
      - .offset:         80
        .size:           4
        .value_kind:     by_value
      - .offset:         84
        .size:           4
        .value_kind:     by_value
      - .offset:         88
        .size:           4
        .value_kind:     by_value
      - .offset:         92
        .size:           12
        .value_kind:     by_value
      - .offset:         104
        .size:           4
        .value_kind:     by_value
      - .offset:         108
        .size:           4
        .value_kind:     by_value
      - .offset:         112
        .size:           4
        .value_kind:     by_value
      - .offset:         116
        .size:           4
        .value_kind:     by_value
      - .offset:         120
        .size:           4
        .value_kind:     by_value
      - .offset:         124
        .size:           4
        .value_kind:     by_value
      - .offset:         128
        .size:           4
        .value_kind:     by_value
      - .offset:         132
        .size:           4
        .value_kind:     by_value
      - .offset:         136
        .size:           4
        .value_kind:     by_value
      - .offset:         140
        .size:           4
        .value_kind:     by_value
      - .offset:         144
        .size:           4
        .value_kind:     by_value
      - .offset:         152
        .size:           8
        .value_kind:     by_value
      - .offset:         160
        .size:           4
        .value_kind:     by_value
      - .offset:         164
        .size:           4
        .value_kind:     by_value
      - .offset:         168
        .size:           8
        .value_kind:     by_value
      - .offset:         176
        .size:           4
        .value_kind:     by_value
      - .offset:         180
        .size:           4
        .value_kind:     by_value
      - .offset:         184
        .size:           4
        .value_kind:     by_value
      - .offset:         188
        .size:           4
        .value_kind:     by_value
      - .offset:         192
        .size:           4
        .value_kind:     by_value
      - .offset:         200
        .size:           8
        .value_kind:     by_value
      - .offset:         208
        .size:           4
        .value_kind:     hidden_block_count_x
      - .offset:         212
        .size:           4
        .value_kind:     hidden_block_count_y
      - .offset:         216
        .size:           4
        .value_kind:     hidden_block_count_z
      - .offset:         220
        .size:           2
        .value_kind:     hidden_group_size_x
      - .offset:         222
        .size:           2
        .value_kind:     hidden_group_size_y
      - .offset:         224
        .size:           2
        .value_kind:     hidden_group_size_z
      - .offset:         226
        .size:           2
        .value_kind:     hidden_remainder_x
      - .offset:         228
        .size:           2
        .value_kind:     hidden_remainder_y
      - .offset:         230
        .size:           2
        .value_kind:     hidden_remainder_z
      - .offset:         248
        .size:           8
        .value_kind:     hidden_global_offset_x
      - .offset:         256
        .size:           8
        .value_kind:     hidden_global_offset_y
      - .offset:         264
        .size:           8
        .value_kind:     hidden_global_offset_z
      - .offset:         272
        .size:           2
        .value_kind:     hidden_grid_dims
      - .offset:         288
        .size:           8
        .value_kind:     hidden_hostcall_buffer
    .group_segment_fixed_size: 0
    .kernarg_segment_align: 8
    .kernarg_segment_size: 464
    .language:       OpenCL C
    .language_version:
      - 2
      - 0
    .max_flat_workgroup_size: 256
    .name:           _ZL15flash_attn_tileILi72ELi72ELi8ELi8ELb1EEvPKcS1_S1_S1_S1_PKiPfP15HIP_vector_typeIfLj2EEffffjfiS5_IjLj3EEiiiiiiiiiiiliiliiiiil
    .private_segment_fixed_size: 16
    .sgpr_count:     36
    .sgpr_spill_count: 0
    .symbol:         _ZL15flash_attn_tileILi72ELi72ELi8ELi8ELb1EEvPKcS1_S1_S1_S1_PKiPfP15HIP_vector_typeIfLj2EEffffjfiS5_IjLj3EEiiiiiiiiiiiliiliiiiil.kd
    .uniform_work_group_size: 1
    .uses_dynamic_stack: false
    .vgpr_count:     40
    .vgpr_spill_count: 0
    .wavefront_size: 32
    .workgroup_processor_mode: 1
  - .args:
      - .address_space:  global
        .offset:         0
        .size:           8
        .value_kind:     global_buffer
      - .address_space:  global
        .offset:         8
        .size:           8
        .value_kind:     global_buffer
      - .address_space:  global
        .offset:         16
        .size:           8
        .value_kind:     global_buffer
      - .address_space:  global
        .offset:         24
        .size:           8
        .value_kind:     global_buffer
      - .address_space:  global
        .offset:         32
        .size:           8
        .value_kind:     global_buffer
      - .address_space:  global
        .offset:         40
        .size:           8
        .value_kind:     global_buffer
      - .address_space:  global
        .offset:         48
        .size:           8
        .value_kind:     global_buffer
      - .address_space:  global
        .offset:         56
        .size:           8
        .value_kind:     global_buffer
      - .offset:         64
        .size:           4
        .value_kind:     by_value
      - .offset:         68
        .size:           4
        .value_kind:     by_value
      - .offset:         72
        .size:           4
        .value_kind:     by_value
      - .offset:         76
        .size:           4
        .value_kind:     by_value
      - .offset:         80
        .size:           4
        .value_kind:     by_value
      - .offset:         84
        .size:           4
        .value_kind:     by_value
      - .offset:         88
        .size:           4
        .value_kind:     by_value
      - .offset:         92
        .size:           12
        .value_kind:     by_value
      - .offset:         104
        .size:           4
        .value_kind:     by_value
      - .offset:         108
        .size:           4
        .value_kind:     by_value
      - .offset:         112
        .size:           4
        .value_kind:     by_value
      - .offset:         116
        .size:           4
        .value_kind:     by_value
      - .offset:         120
        .size:           4
        .value_kind:     by_value
      - .offset:         124
        .size:           4
        .value_kind:     by_value
      - .offset:         128
        .size:           4
        .value_kind:     by_value
      - .offset:         132
        .size:           4
        .value_kind:     by_value
      - .offset:         136
        .size:           4
        .value_kind:     by_value
      - .offset:         140
        .size:           4
        .value_kind:     by_value
      - .offset:         144
        .size:           4
        .value_kind:     by_value
      - .offset:         152
        .size:           8
        .value_kind:     by_value
      - .offset:         160
        .size:           4
        .value_kind:     by_value
      - .offset:         164
        .size:           4
        .value_kind:     by_value
      - .offset:         168
        .size:           8
        .value_kind:     by_value
      - .offset:         176
        .size:           4
        .value_kind:     by_value
      - .offset:         180
        .size:           4
        .value_kind:     by_value
      - .offset:         184
        .size:           4
        .value_kind:     by_value
      - .offset:         188
        .size:           4
        .value_kind:     by_value
      - .offset:         192
        .size:           4
        .value_kind:     by_value
      - .offset:         200
        .size:           8
        .value_kind:     by_value
      - .offset:         208
        .size:           4
        .value_kind:     hidden_block_count_x
      - .offset:         212
        .size:           4
        .value_kind:     hidden_block_count_y
      - .offset:         216
        .size:           4
        .value_kind:     hidden_block_count_z
      - .offset:         220
        .size:           2
        .value_kind:     hidden_group_size_x
      - .offset:         222
        .size:           2
        .value_kind:     hidden_group_size_y
      - .offset:         224
        .size:           2
        .value_kind:     hidden_group_size_z
      - .offset:         226
        .size:           2
        .value_kind:     hidden_remainder_x
      - .offset:         228
        .size:           2
        .value_kind:     hidden_remainder_y
      - .offset:         230
        .size:           2
        .value_kind:     hidden_remainder_z
      - .offset:         248
        .size:           8
        .value_kind:     hidden_global_offset_x
      - .offset:         256
        .size:           8
        .value_kind:     hidden_global_offset_y
      - .offset:         264
        .size:           8
        .value_kind:     hidden_global_offset_z
      - .offset:         272
        .size:           2
        .value_kind:     hidden_grid_dims
      - .offset:         288
        .size:           8
        .value_kind:     hidden_hostcall_buffer
    .group_segment_fixed_size: 0
    .kernarg_segment_align: 8
    .kernarg_segment_size: 464
    .language:       OpenCL C
    .language_version:
      - 2
      - 0
    .max_flat_workgroup_size: 256
    .name:           _ZL15flash_attn_tileILi72ELi72ELi4ELi8ELb1EEvPKcS1_S1_S1_S1_PKiPfP15HIP_vector_typeIfLj2EEffffjfiS5_IjLj3EEiiiiiiiiiiiliiliiiiil
    .private_segment_fixed_size: 16
    .sgpr_count:     36
    .sgpr_spill_count: 0
    .symbol:         _ZL15flash_attn_tileILi72ELi72ELi4ELi8ELb1EEvPKcS1_S1_S1_S1_PKiPfP15HIP_vector_typeIfLj2EEffffjfiS5_IjLj3EEiiiiiiiiiiiliiliiiiil.kd
    .uniform_work_group_size: 1
    .uses_dynamic_stack: false
    .vgpr_count:     40
    .vgpr_spill_count: 0
    .wavefront_size: 32
    .workgroup_processor_mode: 1
  - .args:
      - .address_space:  global
        .offset:         0
        .size:           8
        .value_kind:     global_buffer
      - .address_space:  global
        .offset:         8
        .size:           8
        .value_kind:     global_buffer
      - .address_space:  global
        .offset:         16
        .size:           8
        .value_kind:     global_buffer
      - .address_space:  global
        .offset:         24
        .size:           8
        .value_kind:     global_buffer
      - .address_space:  global
        .offset:         32
        .size:           8
        .value_kind:     global_buffer
      - .address_space:  global
        .offset:         40
        .size:           8
        .value_kind:     global_buffer
      - .address_space:  global
        .offset:         48
        .size:           8
        .value_kind:     global_buffer
      - .address_space:  global
        .offset:         56
        .size:           8
        .value_kind:     global_buffer
      - .offset:         64
        .size:           4
        .value_kind:     by_value
      - .offset:         68
        .size:           4
        .value_kind:     by_value
      - .offset:         72
        .size:           4
        .value_kind:     by_value
      - .offset:         76
        .size:           4
        .value_kind:     by_value
      - .offset:         80
        .size:           4
        .value_kind:     by_value
      - .offset:         84
        .size:           4
        .value_kind:     by_value
      - .offset:         88
        .size:           4
        .value_kind:     by_value
      - .offset:         92
        .size:           12
        .value_kind:     by_value
      - .offset:         104
        .size:           4
        .value_kind:     by_value
      - .offset:         108
        .size:           4
        .value_kind:     by_value
      - .offset:         112
        .size:           4
        .value_kind:     by_value
      - .offset:         116
        .size:           4
        .value_kind:     by_value
      - .offset:         120
        .size:           4
        .value_kind:     by_value
      - .offset:         124
        .size:           4
        .value_kind:     by_value
      - .offset:         128
        .size:           4
        .value_kind:     by_value
      - .offset:         132
        .size:           4
        .value_kind:     by_value
      - .offset:         136
        .size:           4
        .value_kind:     by_value
      - .offset:         140
        .size:           4
        .value_kind:     by_value
      - .offset:         144
        .size:           4
        .value_kind:     by_value
      - .offset:         152
        .size:           8
        .value_kind:     by_value
      - .offset:         160
        .size:           4
        .value_kind:     by_value
      - .offset:         164
        .size:           4
        .value_kind:     by_value
      - .offset:         168
        .size:           8
        .value_kind:     by_value
      - .offset:         176
        .size:           4
        .value_kind:     by_value
      - .offset:         180
        .size:           4
        .value_kind:     by_value
      - .offset:         184
        .size:           4
        .value_kind:     by_value
      - .offset:         188
        .size:           4
        .value_kind:     by_value
      - .offset:         192
        .size:           4
        .value_kind:     by_value
      - .offset:         200
        .size:           8
        .value_kind:     by_value
      - .offset:         208
        .size:           4
        .value_kind:     hidden_block_count_x
      - .offset:         212
        .size:           4
        .value_kind:     hidden_block_count_y
      - .offset:         216
        .size:           4
        .value_kind:     hidden_block_count_z
      - .offset:         220
        .size:           2
        .value_kind:     hidden_group_size_x
      - .offset:         222
        .size:           2
        .value_kind:     hidden_group_size_y
      - .offset:         224
        .size:           2
        .value_kind:     hidden_group_size_z
      - .offset:         226
        .size:           2
        .value_kind:     hidden_remainder_x
      - .offset:         228
        .size:           2
        .value_kind:     hidden_remainder_y
      - .offset:         230
        .size:           2
        .value_kind:     hidden_remainder_z
      - .offset:         248
        .size:           8
        .value_kind:     hidden_global_offset_x
      - .offset:         256
        .size:           8
        .value_kind:     hidden_global_offset_y
      - .offset:         264
        .size:           8
        .value_kind:     hidden_global_offset_z
      - .offset:         272
        .size:           2
        .value_kind:     hidden_grid_dims
      - .offset:         288
        .size:           8
        .value_kind:     hidden_hostcall_buffer
    .group_segment_fixed_size: 0
    .kernarg_segment_align: 8
    .kernarg_segment_size: 464
    .language:       OpenCL C
    .language_version:
      - 2
      - 0
    .max_flat_workgroup_size: 256
    .name:           _ZL15flash_attn_tileILi72ELi72ELi2ELi8ELb1EEvPKcS1_S1_S1_S1_PKiPfP15HIP_vector_typeIfLj2EEffffjfiS5_IjLj3EEiiiiiiiiiiiliiliiiiil
    .private_segment_fixed_size: 16
    .sgpr_count:     36
    .sgpr_spill_count: 0
    .symbol:         _ZL15flash_attn_tileILi72ELi72ELi2ELi8ELb1EEvPKcS1_S1_S1_S1_PKiPfP15HIP_vector_typeIfLj2EEffffjfiS5_IjLj3EEiiiiiiiiiiiliiliiiiil.kd
    .uniform_work_group_size: 1
    .uses_dynamic_stack: false
    .vgpr_count:     40
    .vgpr_spill_count: 0
    .wavefront_size: 32
    .workgroup_processor_mode: 1
  - .args:
      - .address_space:  global
        .offset:         0
        .size:           8
        .value_kind:     global_buffer
      - .address_space:  global
        .offset:         8
        .size:           8
        .value_kind:     global_buffer
      - .address_space:  global
        .offset:         16
        .size:           8
        .value_kind:     global_buffer
      - .address_space:  global
        .offset:         24
        .size:           8
        .value_kind:     global_buffer
      - .address_space:  global
        .offset:         32
        .size:           8
        .value_kind:     global_buffer
      - .address_space:  global
        .offset:         40
        .size:           8
        .value_kind:     global_buffer
      - .address_space:  global
        .offset:         48
        .size:           8
        .value_kind:     global_buffer
      - .address_space:  global
        .offset:         56
        .size:           8
        .value_kind:     global_buffer
      - .offset:         64
        .size:           4
        .value_kind:     by_value
      - .offset:         68
        .size:           4
        .value_kind:     by_value
      - .offset:         72
        .size:           4
        .value_kind:     by_value
      - .offset:         76
        .size:           4
        .value_kind:     by_value
      - .offset:         80
        .size:           4
        .value_kind:     by_value
      - .offset:         84
        .size:           4
        .value_kind:     by_value
      - .offset:         88
        .size:           4
        .value_kind:     by_value
      - .offset:         92
        .size:           12
        .value_kind:     by_value
      - .offset:         104
        .size:           4
        .value_kind:     by_value
      - .offset:         108
        .size:           4
        .value_kind:     by_value
      - .offset:         112
        .size:           4
        .value_kind:     by_value
      - .offset:         116
        .size:           4
        .value_kind:     by_value
      - .offset:         120
        .size:           4
        .value_kind:     by_value
      - .offset:         124
        .size:           4
        .value_kind:     by_value
      - .offset:         128
        .size:           4
        .value_kind:     by_value
      - .offset:         132
        .size:           4
        .value_kind:     by_value
      - .offset:         136
        .size:           4
        .value_kind:     by_value
      - .offset:         140
        .size:           4
        .value_kind:     by_value
      - .offset:         144
        .size:           4
        .value_kind:     by_value
      - .offset:         152
        .size:           8
        .value_kind:     by_value
      - .offset:         160
        .size:           4
        .value_kind:     by_value
      - .offset:         164
        .size:           4
        .value_kind:     by_value
      - .offset:         168
        .size:           8
        .value_kind:     by_value
      - .offset:         176
        .size:           4
        .value_kind:     by_value
      - .offset:         180
        .size:           4
        .value_kind:     by_value
      - .offset:         184
        .size:           4
        .value_kind:     by_value
      - .offset:         188
        .size:           4
        .value_kind:     by_value
      - .offset:         192
        .size:           4
        .value_kind:     by_value
      - .offset:         200
        .size:           8
        .value_kind:     by_value
      - .offset:         208
        .size:           4
        .value_kind:     hidden_block_count_x
      - .offset:         212
        .size:           4
        .value_kind:     hidden_block_count_y
      - .offset:         216
        .size:           4
        .value_kind:     hidden_block_count_z
      - .offset:         220
        .size:           2
        .value_kind:     hidden_group_size_x
      - .offset:         222
        .size:           2
        .value_kind:     hidden_group_size_y
      - .offset:         224
        .size:           2
        .value_kind:     hidden_group_size_z
      - .offset:         226
        .size:           2
        .value_kind:     hidden_remainder_x
      - .offset:         228
        .size:           2
        .value_kind:     hidden_remainder_y
      - .offset:         230
        .size:           2
        .value_kind:     hidden_remainder_z
      - .offset:         248
        .size:           8
        .value_kind:     hidden_global_offset_x
      - .offset:         256
        .size:           8
        .value_kind:     hidden_global_offset_y
      - .offset:         264
        .size:           8
        .value_kind:     hidden_global_offset_z
      - .offset:         272
        .size:           2
        .value_kind:     hidden_grid_dims
      - .offset:         288
        .size:           8
        .value_kind:     hidden_hostcall_buffer
    .group_segment_fixed_size: 0
    .kernarg_segment_align: 8
    .kernarg_segment_size: 464
    .language:       OpenCL C
    .language_version:
      - 2
      - 0
    .max_flat_workgroup_size: 256
    .name:           _ZL15flash_attn_tileILi72ELi72ELi1ELi8ELb1EEvPKcS1_S1_S1_S1_PKiPfP15HIP_vector_typeIfLj2EEffffjfiS5_IjLj3EEiiiiiiiiiiiliiliiiiil
    .private_segment_fixed_size: 16
    .sgpr_count:     36
    .sgpr_spill_count: 0
    .symbol:         _ZL15flash_attn_tileILi72ELi72ELi1ELi8ELb1EEvPKcS1_S1_S1_S1_PKiPfP15HIP_vector_typeIfLj2EEffffjfiS5_IjLj3EEiiiiiiiiiiiliiliiiiil.kd
    .uniform_work_group_size: 1
    .uses_dynamic_stack: false
    .vgpr_count:     40
    .vgpr_spill_count: 0
    .wavefront_size: 32
    .workgroup_processor_mode: 1
  - .args:
      - .address_space:  global
        .offset:         0
        .size:           8
        .value_kind:     global_buffer
      - .address_space:  global
        .offset:         8
        .size:           8
        .value_kind:     global_buffer
      - .address_space:  global
        .offset:         16
        .size:           8
        .value_kind:     global_buffer
      - .address_space:  global
        .offset:         24
        .size:           8
        .value_kind:     global_buffer
      - .address_space:  global
        .offset:         32
        .size:           8
        .value_kind:     global_buffer
      - .address_space:  global
        .offset:         40
        .size:           8
        .value_kind:     global_buffer
      - .address_space:  global
        .offset:         48
        .size:           8
        .value_kind:     global_buffer
      - .address_space:  global
        .offset:         56
        .size:           8
        .value_kind:     global_buffer
      - .offset:         64
        .size:           4
        .value_kind:     by_value
      - .offset:         68
        .size:           4
        .value_kind:     by_value
      - .offset:         72
        .size:           4
        .value_kind:     by_value
      - .offset:         76
        .size:           4
        .value_kind:     by_value
      - .offset:         80
        .size:           4
        .value_kind:     by_value
      - .offset:         84
        .size:           4
        .value_kind:     by_value
      - .offset:         88
        .size:           4
        .value_kind:     by_value
      - .offset:         92
        .size:           12
        .value_kind:     by_value
      - .offset:         104
        .size:           4
        .value_kind:     by_value
      - .offset:         108
        .size:           4
        .value_kind:     by_value
      - .offset:         112
        .size:           4
        .value_kind:     by_value
      - .offset:         116
        .size:           4
        .value_kind:     by_value
      - .offset:         120
        .size:           4
        .value_kind:     by_value
      - .offset:         124
        .size:           4
        .value_kind:     by_value
      - .offset:         128
        .size:           4
        .value_kind:     by_value
      - .offset:         132
        .size:           4
        .value_kind:     by_value
      - .offset:         136
        .size:           4
        .value_kind:     by_value
      - .offset:         140
        .size:           4
        .value_kind:     by_value
      - .offset:         144
        .size:           4
        .value_kind:     by_value
      - .offset:         152
        .size:           8
        .value_kind:     by_value
      - .offset:         160
        .size:           4
        .value_kind:     by_value
      - .offset:         164
        .size:           4
        .value_kind:     by_value
      - .offset:         168
        .size:           8
        .value_kind:     by_value
      - .offset:         176
        .size:           4
        .value_kind:     by_value
      - .offset:         180
        .size:           4
        .value_kind:     by_value
      - .offset:         184
        .size:           4
        .value_kind:     by_value
      - .offset:         188
        .size:           4
        .value_kind:     by_value
      - .offset:         192
        .size:           4
        .value_kind:     by_value
      - .offset:         200
        .size:           8
        .value_kind:     by_value
      - .offset:         208
        .size:           4
        .value_kind:     hidden_block_count_x
      - .offset:         212
        .size:           4
        .value_kind:     hidden_block_count_y
      - .offset:         216
        .size:           4
        .value_kind:     hidden_block_count_z
      - .offset:         220
        .size:           2
        .value_kind:     hidden_group_size_x
      - .offset:         222
        .size:           2
        .value_kind:     hidden_group_size_y
      - .offset:         224
        .size:           2
        .value_kind:     hidden_group_size_z
      - .offset:         226
        .size:           2
        .value_kind:     hidden_remainder_x
      - .offset:         228
        .size:           2
        .value_kind:     hidden_remainder_y
      - .offset:         230
        .size:           2
        .value_kind:     hidden_remainder_z
      - .offset:         248
        .size:           8
        .value_kind:     hidden_global_offset_x
      - .offset:         256
        .size:           8
        .value_kind:     hidden_global_offset_y
      - .offset:         264
        .size:           8
        .value_kind:     hidden_global_offset_z
      - .offset:         272
        .size:           2
        .value_kind:     hidden_grid_dims
      - .offset:         288
        .size:           8
        .value_kind:     hidden_hostcall_buffer
    .group_segment_fixed_size: 0
    .kernarg_segment_align: 8
    .kernarg_segment_size: 464
    .language:       OpenCL C
    .language_version:
      - 2
      - 0
    .max_flat_workgroup_size: 256
    .name:           _ZL15flash_attn_tileILi72ELi72ELi16ELi4ELb1EEvPKcS1_S1_S1_S1_PKiPfP15HIP_vector_typeIfLj2EEffffjfiS5_IjLj3EEiiiiiiiiiiiliiliiiiil
    .private_segment_fixed_size: 16
    .sgpr_count:     36
    .sgpr_spill_count: 0
    .symbol:         _ZL15flash_attn_tileILi72ELi72ELi16ELi4ELb1EEvPKcS1_S1_S1_S1_PKiPfP15HIP_vector_typeIfLj2EEffffjfiS5_IjLj3EEiiiiiiiiiiiliiliiiiil.kd
    .uniform_work_group_size: 1
    .uses_dynamic_stack: false
    .vgpr_count:     40
    .vgpr_spill_count: 0
    .wavefront_size: 32
    .workgroup_processor_mode: 1
  - .args:
      - .address_space:  global
        .offset:         0
        .size:           8
        .value_kind:     global_buffer
      - .address_space:  global
        .offset:         8
        .size:           8
        .value_kind:     global_buffer
      - .address_space:  global
        .offset:         16
        .size:           8
        .value_kind:     global_buffer
      - .address_space:  global
        .offset:         24
        .size:           8
        .value_kind:     global_buffer
      - .address_space:  global
        .offset:         32
        .size:           8
        .value_kind:     global_buffer
      - .address_space:  global
        .offset:         40
        .size:           8
        .value_kind:     global_buffer
      - .address_space:  global
        .offset:         48
        .size:           8
        .value_kind:     global_buffer
      - .address_space:  global
        .offset:         56
        .size:           8
        .value_kind:     global_buffer
      - .offset:         64
        .size:           4
        .value_kind:     by_value
      - .offset:         68
        .size:           4
        .value_kind:     by_value
      - .offset:         72
        .size:           4
        .value_kind:     by_value
      - .offset:         76
        .size:           4
        .value_kind:     by_value
      - .offset:         80
        .size:           4
        .value_kind:     by_value
      - .offset:         84
        .size:           4
        .value_kind:     by_value
      - .offset:         88
        .size:           4
        .value_kind:     by_value
      - .offset:         92
        .size:           12
        .value_kind:     by_value
      - .offset:         104
        .size:           4
        .value_kind:     by_value
      - .offset:         108
        .size:           4
        .value_kind:     by_value
      - .offset:         112
        .size:           4
        .value_kind:     by_value
      - .offset:         116
        .size:           4
        .value_kind:     by_value
      - .offset:         120
        .size:           4
        .value_kind:     by_value
      - .offset:         124
        .size:           4
        .value_kind:     by_value
      - .offset:         128
        .size:           4
        .value_kind:     by_value
      - .offset:         132
        .size:           4
        .value_kind:     by_value
      - .offset:         136
        .size:           4
        .value_kind:     by_value
      - .offset:         140
        .size:           4
        .value_kind:     by_value
      - .offset:         144
        .size:           4
        .value_kind:     by_value
      - .offset:         152
        .size:           8
        .value_kind:     by_value
      - .offset:         160
        .size:           4
        .value_kind:     by_value
      - .offset:         164
        .size:           4
        .value_kind:     by_value
      - .offset:         168
        .size:           8
        .value_kind:     by_value
      - .offset:         176
        .size:           4
        .value_kind:     by_value
      - .offset:         180
        .size:           4
        .value_kind:     by_value
      - .offset:         184
        .size:           4
        .value_kind:     by_value
      - .offset:         188
        .size:           4
        .value_kind:     by_value
      - .offset:         192
        .size:           4
        .value_kind:     by_value
      - .offset:         200
        .size:           8
        .value_kind:     by_value
      - .offset:         208
        .size:           4
        .value_kind:     hidden_block_count_x
      - .offset:         212
        .size:           4
        .value_kind:     hidden_block_count_y
      - .offset:         216
        .size:           4
        .value_kind:     hidden_block_count_z
      - .offset:         220
        .size:           2
        .value_kind:     hidden_group_size_x
      - .offset:         222
        .size:           2
        .value_kind:     hidden_group_size_y
      - .offset:         224
        .size:           2
        .value_kind:     hidden_group_size_z
      - .offset:         226
        .size:           2
        .value_kind:     hidden_remainder_x
      - .offset:         228
        .size:           2
        .value_kind:     hidden_remainder_y
      - .offset:         230
        .size:           2
        .value_kind:     hidden_remainder_z
      - .offset:         248
        .size:           8
        .value_kind:     hidden_global_offset_x
      - .offset:         256
        .size:           8
        .value_kind:     hidden_global_offset_y
      - .offset:         264
        .size:           8
        .value_kind:     hidden_global_offset_z
      - .offset:         272
        .size:           2
        .value_kind:     hidden_grid_dims
      - .offset:         288
        .size:           8
        .value_kind:     hidden_hostcall_buffer
    .group_segment_fixed_size: 0
    .kernarg_segment_align: 8
    .kernarg_segment_size: 464
    .language:       OpenCL C
    .language_version:
      - 2
      - 0
    .max_flat_workgroup_size: 256
    .name:           _ZL15flash_attn_tileILi72ELi72ELi8ELi4ELb1EEvPKcS1_S1_S1_S1_PKiPfP15HIP_vector_typeIfLj2EEffffjfiS5_IjLj3EEiiiiiiiiiiiliiliiiiil
    .private_segment_fixed_size: 16
    .sgpr_count:     36
    .sgpr_spill_count: 0
    .symbol:         _ZL15flash_attn_tileILi72ELi72ELi8ELi4ELb1EEvPKcS1_S1_S1_S1_PKiPfP15HIP_vector_typeIfLj2EEffffjfiS5_IjLj3EEiiiiiiiiiiiliiliiiiil.kd
    .uniform_work_group_size: 1
    .uses_dynamic_stack: false
    .vgpr_count:     40
    .vgpr_spill_count: 0
    .wavefront_size: 32
    .workgroup_processor_mode: 1
  - .args:
      - .address_space:  global
        .offset:         0
        .size:           8
        .value_kind:     global_buffer
      - .address_space:  global
        .offset:         8
        .size:           8
        .value_kind:     global_buffer
      - .address_space:  global
        .offset:         16
        .size:           8
        .value_kind:     global_buffer
      - .address_space:  global
        .offset:         24
        .size:           8
        .value_kind:     global_buffer
      - .address_space:  global
        .offset:         32
        .size:           8
        .value_kind:     global_buffer
      - .address_space:  global
        .offset:         40
        .size:           8
        .value_kind:     global_buffer
      - .address_space:  global
        .offset:         48
        .size:           8
        .value_kind:     global_buffer
      - .address_space:  global
        .offset:         56
        .size:           8
        .value_kind:     global_buffer
      - .offset:         64
        .size:           4
        .value_kind:     by_value
      - .offset:         68
        .size:           4
        .value_kind:     by_value
      - .offset:         72
        .size:           4
        .value_kind:     by_value
      - .offset:         76
        .size:           4
        .value_kind:     by_value
      - .offset:         80
        .size:           4
        .value_kind:     by_value
      - .offset:         84
        .size:           4
        .value_kind:     by_value
      - .offset:         88
        .size:           4
        .value_kind:     by_value
      - .offset:         92
        .size:           12
        .value_kind:     by_value
      - .offset:         104
        .size:           4
        .value_kind:     by_value
      - .offset:         108
        .size:           4
        .value_kind:     by_value
      - .offset:         112
        .size:           4
        .value_kind:     by_value
      - .offset:         116
        .size:           4
        .value_kind:     by_value
      - .offset:         120
        .size:           4
        .value_kind:     by_value
      - .offset:         124
        .size:           4
        .value_kind:     by_value
      - .offset:         128
        .size:           4
        .value_kind:     by_value
      - .offset:         132
        .size:           4
        .value_kind:     by_value
      - .offset:         136
        .size:           4
        .value_kind:     by_value
      - .offset:         140
        .size:           4
        .value_kind:     by_value
      - .offset:         144
        .size:           4
        .value_kind:     by_value
      - .offset:         152
        .size:           8
        .value_kind:     by_value
      - .offset:         160
        .size:           4
        .value_kind:     by_value
      - .offset:         164
        .size:           4
        .value_kind:     by_value
      - .offset:         168
        .size:           8
        .value_kind:     by_value
      - .offset:         176
        .size:           4
        .value_kind:     by_value
      - .offset:         180
        .size:           4
        .value_kind:     by_value
      - .offset:         184
        .size:           4
        .value_kind:     by_value
      - .offset:         188
        .size:           4
        .value_kind:     by_value
      - .offset:         192
        .size:           4
        .value_kind:     by_value
      - .offset:         200
        .size:           8
        .value_kind:     by_value
      - .offset:         208
        .size:           4
        .value_kind:     hidden_block_count_x
      - .offset:         212
        .size:           4
        .value_kind:     hidden_block_count_y
      - .offset:         216
        .size:           4
        .value_kind:     hidden_block_count_z
      - .offset:         220
        .size:           2
        .value_kind:     hidden_group_size_x
      - .offset:         222
        .size:           2
        .value_kind:     hidden_group_size_y
      - .offset:         224
        .size:           2
        .value_kind:     hidden_group_size_z
      - .offset:         226
        .size:           2
        .value_kind:     hidden_remainder_x
      - .offset:         228
        .size:           2
        .value_kind:     hidden_remainder_y
      - .offset:         230
        .size:           2
        .value_kind:     hidden_remainder_z
      - .offset:         248
        .size:           8
        .value_kind:     hidden_global_offset_x
      - .offset:         256
        .size:           8
        .value_kind:     hidden_global_offset_y
      - .offset:         264
        .size:           8
        .value_kind:     hidden_global_offset_z
      - .offset:         272
        .size:           2
        .value_kind:     hidden_grid_dims
      - .offset:         288
        .size:           8
        .value_kind:     hidden_hostcall_buffer
    .group_segment_fixed_size: 0
    .kernarg_segment_align: 8
    .kernarg_segment_size: 464
    .language:       OpenCL C
    .language_version:
      - 2
      - 0
    .max_flat_workgroup_size: 256
    .name:           _ZL15flash_attn_tileILi72ELi72ELi4ELi4ELb1EEvPKcS1_S1_S1_S1_PKiPfP15HIP_vector_typeIfLj2EEffffjfiS5_IjLj3EEiiiiiiiiiiiliiliiiiil
    .private_segment_fixed_size: 16
    .sgpr_count:     36
    .sgpr_spill_count: 0
    .symbol:         _ZL15flash_attn_tileILi72ELi72ELi4ELi4ELb1EEvPKcS1_S1_S1_S1_PKiPfP15HIP_vector_typeIfLj2EEffffjfiS5_IjLj3EEiiiiiiiiiiiliiliiiiil.kd
    .uniform_work_group_size: 1
    .uses_dynamic_stack: false
    .vgpr_count:     40
    .vgpr_spill_count: 0
    .wavefront_size: 32
    .workgroup_processor_mode: 1
  - .args:
      - .address_space:  global
        .offset:         0
        .size:           8
        .value_kind:     global_buffer
      - .address_space:  global
        .offset:         8
        .size:           8
        .value_kind:     global_buffer
      - .address_space:  global
        .offset:         16
        .size:           8
        .value_kind:     global_buffer
      - .address_space:  global
        .offset:         24
        .size:           8
        .value_kind:     global_buffer
      - .address_space:  global
        .offset:         32
        .size:           8
        .value_kind:     global_buffer
      - .address_space:  global
        .offset:         40
        .size:           8
        .value_kind:     global_buffer
      - .address_space:  global
        .offset:         48
        .size:           8
        .value_kind:     global_buffer
      - .address_space:  global
        .offset:         56
        .size:           8
        .value_kind:     global_buffer
      - .offset:         64
        .size:           4
        .value_kind:     by_value
      - .offset:         68
        .size:           4
        .value_kind:     by_value
      - .offset:         72
        .size:           4
        .value_kind:     by_value
      - .offset:         76
        .size:           4
        .value_kind:     by_value
      - .offset:         80
        .size:           4
        .value_kind:     by_value
      - .offset:         84
        .size:           4
        .value_kind:     by_value
      - .offset:         88
        .size:           4
        .value_kind:     by_value
      - .offset:         92
        .size:           12
        .value_kind:     by_value
      - .offset:         104
        .size:           4
        .value_kind:     by_value
      - .offset:         108
        .size:           4
        .value_kind:     by_value
      - .offset:         112
        .size:           4
        .value_kind:     by_value
      - .offset:         116
        .size:           4
        .value_kind:     by_value
      - .offset:         120
        .size:           4
        .value_kind:     by_value
      - .offset:         124
        .size:           4
        .value_kind:     by_value
      - .offset:         128
        .size:           4
        .value_kind:     by_value
      - .offset:         132
        .size:           4
        .value_kind:     by_value
      - .offset:         136
        .size:           4
        .value_kind:     by_value
      - .offset:         140
        .size:           4
        .value_kind:     by_value
      - .offset:         144
        .size:           4
        .value_kind:     by_value
      - .offset:         152
        .size:           8
        .value_kind:     by_value
      - .offset:         160
        .size:           4
        .value_kind:     by_value
      - .offset:         164
        .size:           4
        .value_kind:     by_value
      - .offset:         168
        .size:           8
        .value_kind:     by_value
      - .offset:         176
        .size:           4
        .value_kind:     by_value
      - .offset:         180
        .size:           4
        .value_kind:     by_value
      - .offset:         184
        .size:           4
        .value_kind:     by_value
      - .offset:         188
        .size:           4
        .value_kind:     by_value
      - .offset:         192
        .size:           4
        .value_kind:     by_value
      - .offset:         200
        .size:           8
        .value_kind:     by_value
      - .offset:         208
        .size:           4
        .value_kind:     hidden_block_count_x
      - .offset:         212
        .size:           4
        .value_kind:     hidden_block_count_y
      - .offset:         216
        .size:           4
        .value_kind:     hidden_block_count_z
      - .offset:         220
        .size:           2
        .value_kind:     hidden_group_size_x
      - .offset:         222
        .size:           2
        .value_kind:     hidden_group_size_y
      - .offset:         224
        .size:           2
        .value_kind:     hidden_group_size_z
      - .offset:         226
        .size:           2
        .value_kind:     hidden_remainder_x
      - .offset:         228
        .size:           2
        .value_kind:     hidden_remainder_y
      - .offset:         230
        .size:           2
        .value_kind:     hidden_remainder_z
      - .offset:         248
        .size:           8
        .value_kind:     hidden_global_offset_x
      - .offset:         256
        .size:           8
        .value_kind:     hidden_global_offset_y
      - .offset:         264
        .size:           8
        .value_kind:     hidden_global_offset_z
      - .offset:         272
        .size:           2
        .value_kind:     hidden_grid_dims
      - .offset:         288
        .size:           8
        .value_kind:     hidden_hostcall_buffer
    .group_segment_fixed_size: 0
    .kernarg_segment_align: 8
    .kernarg_segment_size: 464
    .language:       OpenCL C
    .language_version:
      - 2
      - 0
    .max_flat_workgroup_size: 256
    .name:           _ZL15flash_attn_tileILi72ELi72ELi2ELi4ELb1EEvPKcS1_S1_S1_S1_PKiPfP15HIP_vector_typeIfLj2EEffffjfiS5_IjLj3EEiiiiiiiiiiiliiliiiiil
    .private_segment_fixed_size: 16
    .sgpr_count:     36
    .sgpr_spill_count: 0
    .symbol:         _ZL15flash_attn_tileILi72ELi72ELi2ELi4ELb1EEvPKcS1_S1_S1_S1_PKiPfP15HIP_vector_typeIfLj2EEffffjfiS5_IjLj3EEiiiiiiiiiiiliiliiiiil.kd
    .uniform_work_group_size: 1
    .uses_dynamic_stack: false
    .vgpr_count:     40
    .vgpr_spill_count: 0
    .wavefront_size: 32
    .workgroup_processor_mode: 1
  - .args:
      - .address_space:  global
        .offset:         0
        .size:           8
        .value_kind:     global_buffer
      - .address_space:  global
        .offset:         8
        .size:           8
        .value_kind:     global_buffer
      - .address_space:  global
        .offset:         16
        .size:           8
        .value_kind:     global_buffer
      - .address_space:  global
        .offset:         24
        .size:           8
        .value_kind:     global_buffer
      - .address_space:  global
        .offset:         32
        .size:           8
        .value_kind:     global_buffer
      - .address_space:  global
        .offset:         40
        .size:           8
        .value_kind:     global_buffer
      - .address_space:  global
        .offset:         48
        .size:           8
        .value_kind:     global_buffer
      - .address_space:  global
        .offset:         56
        .size:           8
        .value_kind:     global_buffer
      - .offset:         64
        .size:           4
        .value_kind:     by_value
      - .offset:         68
        .size:           4
        .value_kind:     by_value
      - .offset:         72
        .size:           4
        .value_kind:     by_value
      - .offset:         76
        .size:           4
        .value_kind:     by_value
      - .offset:         80
        .size:           4
        .value_kind:     by_value
      - .offset:         84
        .size:           4
        .value_kind:     by_value
      - .offset:         88
        .size:           4
        .value_kind:     by_value
      - .offset:         92
        .size:           12
        .value_kind:     by_value
      - .offset:         104
        .size:           4
        .value_kind:     by_value
      - .offset:         108
        .size:           4
        .value_kind:     by_value
      - .offset:         112
        .size:           4
        .value_kind:     by_value
      - .offset:         116
        .size:           4
        .value_kind:     by_value
      - .offset:         120
        .size:           4
        .value_kind:     by_value
      - .offset:         124
        .size:           4
        .value_kind:     by_value
      - .offset:         128
        .size:           4
        .value_kind:     by_value
      - .offset:         132
        .size:           4
        .value_kind:     by_value
      - .offset:         136
        .size:           4
        .value_kind:     by_value
      - .offset:         140
        .size:           4
        .value_kind:     by_value
      - .offset:         144
        .size:           4
        .value_kind:     by_value
      - .offset:         152
        .size:           8
        .value_kind:     by_value
      - .offset:         160
        .size:           4
        .value_kind:     by_value
      - .offset:         164
        .size:           4
        .value_kind:     by_value
      - .offset:         168
        .size:           8
        .value_kind:     by_value
      - .offset:         176
        .size:           4
        .value_kind:     by_value
      - .offset:         180
        .size:           4
        .value_kind:     by_value
      - .offset:         184
        .size:           4
        .value_kind:     by_value
      - .offset:         188
        .size:           4
        .value_kind:     by_value
      - .offset:         192
        .size:           4
        .value_kind:     by_value
      - .offset:         200
        .size:           8
        .value_kind:     by_value
      - .offset:         208
        .size:           4
        .value_kind:     hidden_block_count_x
      - .offset:         212
        .size:           4
        .value_kind:     hidden_block_count_y
      - .offset:         216
        .size:           4
        .value_kind:     hidden_block_count_z
      - .offset:         220
        .size:           2
        .value_kind:     hidden_group_size_x
      - .offset:         222
        .size:           2
        .value_kind:     hidden_group_size_y
      - .offset:         224
        .size:           2
        .value_kind:     hidden_group_size_z
      - .offset:         226
        .size:           2
        .value_kind:     hidden_remainder_x
      - .offset:         228
        .size:           2
        .value_kind:     hidden_remainder_y
      - .offset:         230
        .size:           2
        .value_kind:     hidden_remainder_z
      - .offset:         248
        .size:           8
        .value_kind:     hidden_global_offset_x
      - .offset:         256
        .size:           8
        .value_kind:     hidden_global_offset_y
      - .offset:         264
        .size:           8
        .value_kind:     hidden_global_offset_z
      - .offset:         272
        .size:           2
        .value_kind:     hidden_grid_dims
      - .offset:         288
        .size:           8
        .value_kind:     hidden_hostcall_buffer
    .group_segment_fixed_size: 0
    .kernarg_segment_align: 8
    .kernarg_segment_size: 464
    .language:       OpenCL C
    .language_version:
      - 2
      - 0
    .max_flat_workgroup_size: 128
    .name:           _ZL15flash_attn_tileILi72ELi72ELi1ELi4ELb1EEvPKcS1_S1_S1_S1_PKiPfP15HIP_vector_typeIfLj2EEffffjfiS5_IjLj3EEiiiiiiiiiiiliiliiiiil
    .private_segment_fixed_size: 16
    .sgpr_count:     36
    .sgpr_spill_count: 0
    .symbol:         _ZL15flash_attn_tileILi72ELi72ELi1ELi4ELb1EEvPKcS1_S1_S1_S1_PKiPfP15HIP_vector_typeIfLj2EEffffjfiS5_IjLj3EEiiiiiiiiiiiliiliiiiil.kd
    .uniform_work_group_size: 1
    .uses_dynamic_stack: false
    .vgpr_count:     40
    .vgpr_spill_count: 0
    .wavefront_size: 32
    .workgroup_processor_mode: 1
  - .args:
      - .address_space:  global
        .offset:         0
        .size:           8
        .value_kind:     global_buffer
      - .address_space:  global
        .offset:         8
        .size:           8
        .value_kind:     global_buffer
      - .address_space:  global
        .offset:         16
        .size:           8
        .value_kind:     global_buffer
      - .address_space:  global
        .offset:         24
        .size:           8
        .value_kind:     global_buffer
      - .address_space:  global
        .offset:         32
        .size:           8
        .value_kind:     global_buffer
      - .address_space:  global
        .offset:         40
        .size:           8
        .value_kind:     global_buffer
      - .address_space:  global
        .offset:         48
        .size:           8
        .value_kind:     global_buffer
      - .address_space:  global
        .offset:         56
        .size:           8
        .value_kind:     global_buffer
      - .offset:         64
        .size:           4
        .value_kind:     by_value
      - .offset:         68
        .size:           4
        .value_kind:     by_value
      - .offset:         72
        .size:           4
        .value_kind:     by_value
      - .offset:         76
        .size:           4
        .value_kind:     by_value
      - .offset:         80
        .size:           4
        .value_kind:     by_value
      - .offset:         84
        .size:           4
        .value_kind:     by_value
      - .offset:         88
        .size:           4
        .value_kind:     by_value
      - .offset:         92
        .size:           12
        .value_kind:     by_value
      - .offset:         104
        .size:           4
        .value_kind:     by_value
      - .offset:         108
        .size:           4
        .value_kind:     by_value
      - .offset:         112
        .size:           4
        .value_kind:     by_value
      - .offset:         116
        .size:           4
        .value_kind:     by_value
      - .offset:         120
        .size:           4
        .value_kind:     by_value
      - .offset:         124
        .size:           4
        .value_kind:     by_value
      - .offset:         128
        .size:           4
        .value_kind:     by_value
      - .offset:         132
        .size:           4
        .value_kind:     by_value
      - .offset:         136
        .size:           4
        .value_kind:     by_value
      - .offset:         140
        .size:           4
        .value_kind:     by_value
      - .offset:         144
        .size:           4
        .value_kind:     by_value
      - .offset:         152
        .size:           8
        .value_kind:     by_value
      - .offset:         160
        .size:           4
        .value_kind:     by_value
      - .offset:         164
        .size:           4
        .value_kind:     by_value
      - .offset:         168
        .size:           8
        .value_kind:     by_value
      - .offset:         176
        .size:           4
        .value_kind:     by_value
      - .offset:         180
        .size:           4
        .value_kind:     by_value
      - .offset:         184
        .size:           4
        .value_kind:     by_value
      - .offset:         188
        .size:           4
        .value_kind:     by_value
      - .offset:         192
        .size:           4
        .value_kind:     by_value
      - .offset:         200
        .size:           8
        .value_kind:     by_value
      - .offset:         208
        .size:           4
        .value_kind:     hidden_block_count_x
      - .offset:         212
        .size:           4
        .value_kind:     hidden_block_count_y
      - .offset:         216
        .size:           4
        .value_kind:     hidden_block_count_z
      - .offset:         220
        .size:           2
        .value_kind:     hidden_group_size_x
      - .offset:         222
        .size:           2
        .value_kind:     hidden_group_size_y
      - .offset:         224
        .size:           2
        .value_kind:     hidden_group_size_z
      - .offset:         226
        .size:           2
        .value_kind:     hidden_remainder_x
      - .offset:         228
        .size:           2
        .value_kind:     hidden_remainder_y
      - .offset:         230
        .size:           2
        .value_kind:     hidden_remainder_z
      - .offset:         248
        .size:           8
        .value_kind:     hidden_global_offset_x
      - .offset:         256
        .size:           8
        .value_kind:     hidden_global_offset_y
      - .offset:         264
        .size:           8
        .value_kind:     hidden_global_offset_z
      - .offset:         272
        .size:           2
        .value_kind:     hidden_grid_dims
      - .offset:         288
        .size:           8
        .value_kind:     hidden_hostcall_buffer
    .group_segment_fixed_size: 0
    .kernarg_segment_align: 8
    .kernarg_segment_size: 464
    .language:       OpenCL C
    .language_version:
      - 2
      - 0
    .max_flat_workgroup_size: 256
    .name:           _ZL15flash_attn_tileILi72ELi72ELi32ELi2ELb1EEvPKcS1_S1_S1_S1_PKiPfP15HIP_vector_typeIfLj2EEffffjfiS5_IjLj3EEiiiiiiiiiiiliiliiiiil
    .private_segment_fixed_size: 16
    .sgpr_count:     36
    .sgpr_spill_count: 0
    .symbol:         _ZL15flash_attn_tileILi72ELi72ELi32ELi2ELb1EEvPKcS1_S1_S1_S1_PKiPfP15HIP_vector_typeIfLj2EEffffjfiS5_IjLj3EEiiiiiiiiiiiliiliiiiil.kd
    .uniform_work_group_size: 1
    .uses_dynamic_stack: false
    .vgpr_count:     40
    .vgpr_spill_count: 0
    .wavefront_size: 32
    .workgroup_processor_mode: 1
  - .args:
      - .address_space:  global
        .offset:         0
        .size:           8
        .value_kind:     global_buffer
      - .address_space:  global
        .offset:         8
        .size:           8
        .value_kind:     global_buffer
      - .address_space:  global
        .offset:         16
        .size:           8
        .value_kind:     global_buffer
      - .address_space:  global
        .offset:         24
        .size:           8
        .value_kind:     global_buffer
      - .address_space:  global
        .offset:         32
        .size:           8
        .value_kind:     global_buffer
      - .address_space:  global
        .offset:         40
        .size:           8
        .value_kind:     global_buffer
      - .address_space:  global
        .offset:         48
        .size:           8
        .value_kind:     global_buffer
      - .address_space:  global
        .offset:         56
        .size:           8
        .value_kind:     global_buffer
      - .offset:         64
        .size:           4
        .value_kind:     by_value
      - .offset:         68
        .size:           4
        .value_kind:     by_value
      - .offset:         72
        .size:           4
        .value_kind:     by_value
      - .offset:         76
        .size:           4
        .value_kind:     by_value
      - .offset:         80
        .size:           4
        .value_kind:     by_value
      - .offset:         84
        .size:           4
        .value_kind:     by_value
      - .offset:         88
        .size:           4
        .value_kind:     by_value
      - .offset:         92
        .size:           12
        .value_kind:     by_value
      - .offset:         104
        .size:           4
        .value_kind:     by_value
      - .offset:         108
        .size:           4
        .value_kind:     by_value
      - .offset:         112
        .size:           4
        .value_kind:     by_value
      - .offset:         116
        .size:           4
        .value_kind:     by_value
      - .offset:         120
        .size:           4
        .value_kind:     by_value
      - .offset:         124
        .size:           4
        .value_kind:     by_value
      - .offset:         128
        .size:           4
        .value_kind:     by_value
      - .offset:         132
        .size:           4
        .value_kind:     by_value
      - .offset:         136
        .size:           4
        .value_kind:     by_value
      - .offset:         140
        .size:           4
        .value_kind:     by_value
      - .offset:         144
        .size:           4
        .value_kind:     by_value
      - .offset:         152
        .size:           8
        .value_kind:     by_value
      - .offset:         160
        .size:           4
        .value_kind:     by_value
      - .offset:         164
        .size:           4
        .value_kind:     by_value
      - .offset:         168
        .size:           8
        .value_kind:     by_value
      - .offset:         176
        .size:           4
        .value_kind:     by_value
      - .offset:         180
        .size:           4
        .value_kind:     by_value
      - .offset:         184
        .size:           4
        .value_kind:     by_value
      - .offset:         188
        .size:           4
        .value_kind:     by_value
      - .offset:         192
        .size:           4
        .value_kind:     by_value
      - .offset:         200
        .size:           8
        .value_kind:     by_value
      - .offset:         208
        .size:           4
        .value_kind:     hidden_block_count_x
      - .offset:         212
        .size:           4
        .value_kind:     hidden_block_count_y
      - .offset:         216
        .size:           4
        .value_kind:     hidden_block_count_z
      - .offset:         220
        .size:           2
        .value_kind:     hidden_group_size_x
      - .offset:         222
        .size:           2
        .value_kind:     hidden_group_size_y
      - .offset:         224
        .size:           2
        .value_kind:     hidden_group_size_z
      - .offset:         226
        .size:           2
        .value_kind:     hidden_remainder_x
      - .offset:         228
        .size:           2
        .value_kind:     hidden_remainder_y
      - .offset:         230
        .size:           2
        .value_kind:     hidden_remainder_z
      - .offset:         248
        .size:           8
        .value_kind:     hidden_global_offset_x
      - .offset:         256
        .size:           8
        .value_kind:     hidden_global_offset_y
      - .offset:         264
        .size:           8
        .value_kind:     hidden_global_offset_z
      - .offset:         272
        .size:           2
        .value_kind:     hidden_grid_dims
      - .offset:         288
        .size:           8
        .value_kind:     hidden_hostcall_buffer
    .group_segment_fixed_size: 0
    .kernarg_segment_align: 8
    .kernarg_segment_size: 464
    .language:       OpenCL C
    .language_version:
      - 2
      - 0
    .max_flat_workgroup_size: 256
    .name:           _ZL15flash_attn_tileILi72ELi72ELi16ELi2ELb1EEvPKcS1_S1_S1_S1_PKiPfP15HIP_vector_typeIfLj2EEffffjfiS5_IjLj3EEiiiiiiiiiiiliiliiiiil
    .private_segment_fixed_size: 16
    .sgpr_count:     36
    .sgpr_spill_count: 0
    .symbol:         _ZL15flash_attn_tileILi72ELi72ELi16ELi2ELb1EEvPKcS1_S1_S1_S1_PKiPfP15HIP_vector_typeIfLj2EEffffjfiS5_IjLj3EEiiiiiiiiiiiliiliiiiil.kd
    .uniform_work_group_size: 1
    .uses_dynamic_stack: false
    .vgpr_count:     40
    .vgpr_spill_count: 0
    .wavefront_size: 32
    .workgroup_processor_mode: 1
  - .args:
      - .address_space:  global
        .offset:         0
        .size:           8
        .value_kind:     global_buffer
      - .address_space:  global
        .offset:         8
        .size:           8
        .value_kind:     global_buffer
      - .address_space:  global
        .offset:         16
        .size:           8
        .value_kind:     global_buffer
      - .address_space:  global
        .offset:         24
        .size:           8
        .value_kind:     global_buffer
      - .address_space:  global
        .offset:         32
        .size:           8
        .value_kind:     global_buffer
      - .address_space:  global
        .offset:         40
        .size:           8
        .value_kind:     global_buffer
      - .address_space:  global
        .offset:         48
        .size:           8
        .value_kind:     global_buffer
      - .address_space:  global
        .offset:         56
        .size:           8
        .value_kind:     global_buffer
      - .offset:         64
        .size:           4
        .value_kind:     by_value
      - .offset:         68
        .size:           4
        .value_kind:     by_value
      - .offset:         72
        .size:           4
        .value_kind:     by_value
      - .offset:         76
        .size:           4
        .value_kind:     by_value
      - .offset:         80
        .size:           4
        .value_kind:     by_value
      - .offset:         84
        .size:           4
        .value_kind:     by_value
      - .offset:         88
        .size:           4
        .value_kind:     by_value
      - .offset:         92
        .size:           12
        .value_kind:     by_value
      - .offset:         104
        .size:           4
        .value_kind:     by_value
      - .offset:         108
        .size:           4
        .value_kind:     by_value
      - .offset:         112
        .size:           4
        .value_kind:     by_value
      - .offset:         116
        .size:           4
        .value_kind:     by_value
      - .offset:         120
        .size:           4
        .value_kind:     by_value
      - .offset:         124
        .size:           4
        .value_kind:     by_value
      - .offset:         128
        .size:           4
        .value_kind:     by_value
      - .offset:         132
        .size:           4
        .value_kind:     by_value
      - .offset:         136
        .size:           4
        .value_kind:     by_value
      - .offset:         140
        .size:           4
        .value_kind:     by_value
      - .offset:         144
        .size:           4
        .value_kind:     by_value
      - .offset:         152
        .size:           8
        .value_kind:     by_value
      - .offset:         160
        .size:           4
        .value_kind:     by_value
      - .offset:         164
        .size:           4
        .value_kind:     by_value
      - .offset:         168
        .size:           8
        .value_kind:     by_value
      - .offset:         176
        .size:           4
        .value_kind:     by_value
      - .offset:         180
        .size:           4
        .value_kind:     by_value
      - .offset:         184
        .size:           4
        .value_kind:     by_value
      - .offset:         188
        .size:           4
        .value_kind:     by_value
      - .offset:         192
        .size:           4
        .value_kind:     by_value
      - .offset:         200
        .size:           8
        .value_kind:     by_value
      - .offset:         208
        .size:           4
        .value_kind:     hidden_block_count_x
      - .offset:         212
        .size:           4
        .value_kind:     hidden_block_count_y
      - .offset:         216
        .size:           4
        .value_kind:     hidden_block_count_z
      - .offset:         220
        .size:           2
        .value_kind:     hidden_group_size_x
      - .offset:         222
        .size:           2
        .value_kind:     hidden_group_size_y
      - .offset:         224
        .size:           2
        .value_kind:     hidden_group_size_z
      - .offset:         226
        .size:           2
        .value_kind:     hidden_remainder_x
      - .offset:         228
        .size:           2
        .value_kind:     hidden_remainder_y
      - .offset:         230
        .size:           2
        .value_kind:     hidden_remainder_z
      - .offset:         248
        .size:           8
        .value_kind:     hidden_global_offset_x
      - .offset:         256
        .size:           8
        .value_kind:     hidden_global_offset_y
      - .offset:         264
        .size:           8
        .value_kind:     hidden_global_offset_z
      - .offset:         272
        .size:           2
        .value_kind:     hidden_grid_dims
      - .offset:         288
        .size:           8
        .value_kind:     hidden_hostcall_buffer
    .group_segment_fixed_size: 0
    .kernarg_segment_align: 8
    .kernarg_segment_size: 464
    .language:       OpenCL C
    .language_version:
      - 2
      - 0
    .max_flat_workgroup_size: 256
    .name:           _ZL15flash_attn_tileILi72ELi72ELi8ELi2ELb1EEvPKcS1_S1_S1_S1_PKiPfP15HIP_vector_typeIfLj2EEffffjfiS5_IjLj3EEiiiiiiiiiiiliiliiiiil
    .private_segment_fixed_size: 16
    .sgpr_count:     36
    .sgpr_spill_count: 0
    .symbol:         _ZL15flash_attn_tileILi72ELi72ELi8ELi2ELb1EEvPKcS1_S1_S1_S1_PKiPfP15HIP_vector_typeIfLj2EEffffjfiS5_IjLj3EEiiiiiiiiiiiliiliiiiil.kd
    .uniform_work_group_size: 1
    .uses_dynamic_stack: false
    .vgpr_count:     40
    .vgpr_spill_count: 0
    .wavefront_size: 32
    .workgroup_processor_mode: 1
  - .args:
      - .address_space:  global
        .offset:         0
        .size:           8
        .value_kind:     global_buffer
      - .address_space:  global
        .offset:         8
        .size:           8
        .value_kind:     global_buffer
      - .address_space:  global
        .offset:         16
        .size:           8
        .value_kind:     global_buffer
      - .address_space:  global
        .offset:         24
        .size:           8
        .value_kind:     global_buffer
      - .address_space:  global
        .offset:         32
        .size:           8
        .value_kind:     global_buffer
      - .address_space:  global
        .offset:         40
        .size:           8
        .value_kind:     global_buffer
      - .address_space:  global
        .offset:         48
        .size:           8
        .value_kind:     global_buffer
      - .address_space:  global
        .offset:         56
        .size:           8
        .value_kind:     global_buffer
      - .offset:         64
        .size:           4
        .value_kind:     by_value
      - .offset:         68
        .size:           4
        .value_kind:     by_value
      - .offset:         72
        .size:           4
        .value_kind:     by_value
      - .offset:         76
        .size:           4
        .value_kind:     by_value
      - .offset:         80
        .size:           4
        .value_kind:     by_value
      - .offset:         84
        .size:           4
        .value_kind:     by_value
      - .offset:         88
        .size:           4
        .value_kind:     by_value
      - .offset:         92
        .size:           12
        .value_kind:     by_value
      - .offset:         104
        .size:           4
        .value_kind:     by_value
      - .offset:         108
        .size:           4
        .value_kind:     by_value
      - .offset:         112
        .size:           4
        .value_kind:     by_value
      - .offset:         116
        .size:           4
        .value_kind:     by_value
      - .offset:         120
        .size:           4
        .value_kind:     by_value
      - .offset:         124
        .size:           4
        .value_kind:     by_value
      - .offset:         128
        .size:           4
        .value_kind:     by_value
      - .offset:         132
        .size:           4
        .value_kind:     by_value
      - .offset:         136
        .size:           4
        .value_kind:     by_value
      - .offset:         140
        .size:           4
        .value_kind:     by_value
      - .offset:         144
        .size:           4
        .value_kind:     by_value
      - .offset:         152
        .size:           8
        .value_kind:     by_value
      - .offset:         160
        .size:           4
        .value_kind:     by_value
      - .offset:         164
        .size:           4
        .value_kind:     by_value
      - .offset:         168
        .size:           8
        .value_kind:     by_value
      - .offset:         176
        .size:           4
        .value_kind:     by_value
      - .offset:         180
        .size:           4
        .value_kind:     by_value
      - .offset:         184
        .size:           4
        .value_kind:     by_value
      - .offset:         188
        .size:           4
        .value_kind:     by_value
      - .offset:         192
        .size:           4
        .value_kind:     by_value
      - .offset:         200
        .size:           8
        .value_kind:     by_value
      - .offset:         208
        .size:           4
        .value_kind:     hidden_block_count_x
      - .offset:         212
        .size:           4
        .value_kind:     hidden_block_count_y
      - .offset:         216
        .size:           4
        .value_kind:     hidden_block_count_z
      - .offset:         220
        .size:           2
        .value_kind:     hidden_group_size_x
      - .offset:         222
        .size:           2
        .value_kind:     hidden_group_size_y
      - .offset:         224
        .size:           2
        .value_kind:     hidden_group_size_z
      - .offset:         226
        .size:           2
        .value_kind:     hidden_remainder_x
      - .offset:         228
        .size:           2
        .value_kind:     hidden_remainder_y
      - .offset:         230
        .size:           2
        .value_kind:     hidden_remainder_z
      - .offset:         248
        .size:           8
        .value_kind:     hidden_global_offset_x
      - .offset:         256
        .size:           8
        .value_kind:     hidden_global_offset_y
      - .offset:         264
        .size:           8
        .value_kind:     hidden_global_offset_z
      - .offset:         272
        .size:           2
        .value_kind:     hidden_grid_dims
      - .offset:         288
        .size:           8
        .value_kind:     hidden_hostcall_buffer
    .group_segment_fixed_size: 0
    .kernarg_segment_align: 8
    .kernarg_segment_size: 464
    .language:       OpenCL C
    .language_version:
      - 2
      - 0
    .max_flat_workgroup_size: 256
    .name:           _ZL15flash_attn_tileILi72ELi72ELi4ELi2ELb1EEvPKcS1_S1_S1_S1_PKiPfP15HIP_vector_typeIfLj2EEffffjfiS5_IjLj3EEiiiiiiiiiiiliiliiiiil
    .private_segment_fixed_size: 16
    .sgpr_count:     36
    .sgpr_spill_count: 0
    .symbol:         _ZL15flash_attn_tileILi72ELi72ELi4ELi2ELb1EEvPKcS1_S1_S1_S1_PKiPfP15HIP_vector_typeIfLj2EEffffjfiS5_IjLj3EEiiiiiiiiiiiliiliiiiil.kd
    .uniform_work_group_size: 1
    .uses_dynamic_stack: false
    .vgpr_count:     40
    .vgpr_spill_count: 0
    .wavefront_size: 32
    .workgroup_processor_mode: 1
  - .args:
      - .address_space:  global
        .offset:         0
        .size:           8
        .value_kind:     global_buffer
      - .address_space:  global
        .offset:         8
        .size:           8
        .value_kind:     global_buffer
      - .address_space:  global
        .offset:         16
        .size:           8
        .value_kind:     global_buffer
      - .address_space:  global
        .offset:         24
        .size:           8
        .value_kind:     global_buffer
      - .address_space:  global
        .offset:         32
        .size:           8
        .value_kind:     global_buffer
      - .address_space:  global
        .offset:         40
        .size:           8
        .value_kind:     global_buffer
      - .address_space:  global
        .offset:         48
        .size:           8
        .value_kind:     global_buffer
      - .address_space:  global
        .offset:         56
        .size:           8
        .value_kind:     global_buffer
      - .offset:         64
        .size:           4
        .value_kind:     by_value
      - .offset:         68
        .size:           4
        .value_kind:     by_value
      - .offset:         72
        .size:           4
        .value_kind:     by_value
      - .offset:         76
        .size:           4
        .value_kind:     by_value
      - .offset:         80
        .size:           4
        .value_kind:     by_value
      - .offset:         84
        .size:           4
        .value_kind:     by_value
      - .offset:         88
        .size:           4
        .value_kind:     by_value
      - .offset:         92
        .size:           12
        .value_kind:     by_value
      - .offset:         104
        .size:           4
        .value_kind:     by_value
      - .offset:         108
        .size:           4
        .value_kind:     by_value
      - .offset:         112
        .size:           4
        .value_kind:     by_value
      - .offset:         116
        .size:           4
        .value_kind:     by_value
      - .offset:         120
        .size:           4
        .value_kind:     by_value
      - .offset:         124
        .size:           4
        .value_kind:     by_value
      - .offset:         128
        .size:           4
        .value_kind:     by_value
      - .offset:         132
        .size:           4
        .value_kind:     by_value
      - .offset:         136
        .size:           4
        .value_kind:     by_value
      - .offset:         140
        .size:           4
        .value_kind:     by_value
      - .offset:         144
        .size:           4
        .value_kind:     by_value
      - .offset:         152
        .size:           8
        .value_kind:     by_value
      - .offset:         160
        .size:           4
        .value_kind:     by_value
      - .offset:         164
        .size:           4
        .value_kind:     by_value
      - .offset:         168
        .size:           8
        .value_kind:     by_value
      - .offset:         176
        .size:           4
        .value_kind:     by_value
      - .offset:         180
        .size:           4
        .value_kind:     by_value
      - .offset:         184
        .size:           4
        .value_kind:     by_value
      - .offset:         188
        .size:           4
        .value_kind:     by_value
      - .offset:         192
        .size:           4
        .value_kind:     by_value
      - .offset:         200
        .size:           8
        .value_kind:     by_value
      - .offset:         208
        .size:           4
        .value_kind:     hidden_block_count_x
      - .offset:         212
        .size:           4
        .value_kind:     hidden_block_count_y
      - .offset:         216
        .size:           4
        .value_kind:     hidden_block_count_z
      - .offset:         220
        .size:           2
        .value_kind:     hidden_group_size_x
      - .offset:         222
        .size:           2
        .value_kind:     hidden_group_size_y
      - .offset:         224
        .size:           2
        .value_kind:     hidden_group_size_z
      - .offset:         226
        .size:           2
        .value_kind:     hidden_remainder_x
      - .offset:         228
        .size:           2
        .value_kind:     hidden_remainder_y
      - .offset:         230
        .size:           2
        .value_kind:     hidden_remainder_z
      - .offset:         248
        .size:           8
        .value_kind:     hidden_global_offset_x
      - .offset:         256
        .size:           8
        .value_kind:     hidden_global_offset_y
      - .offset:         264
        .size:           8
        .value_kind:     hidden_global_offset_z
      - .offset:         272
        .size:           2
        .value_kind:     hidden_grid_dims
      - .offset:         288
        .size:           8
        .value_kind:     hidden_hostcall_buffer
    .group_segment_fixed_size: 0
    .kernarg_segment_align: 8
    .kernarg_segment_size: 464
    .language:       OpenCL C
    .language_version:
      - 2
      - 0
    .max_flat_workgroup_size: 128
    .name:           _ZL15flash_attn_tileILi72ELi72ELi2ELi2ELb1EEvPKcS1_S1_S1_S1_PKiPfP15HIP_vector_typeIfLj2EEffffjfiS5_IjLj3EEiiiiiiiiiiiliiliiiiil
    .private_segment_fixed_size: 16
    .sgpr_count:     36
    .sgpr_spill_count: 0
    .symbol:         _ZL15flash_attn_tileILi72ELi72ELi2ELi2ELb1EEvPKcS1_S1_S1_S1_PKiPfP15HIP_vector_typeIfLj2EEffffjfiS5_IjLj3EEiiiiiiiiiiiliiliiiiil.kd
    .uniform_work_group_size: 1
    .uses_dynamic_stack: false
    .vgpr_count:     40
    .vgpr_spill_count: 0
    .wavefront_size: 32
    .workgroup_processor_mode: 1
  - .args:
      - .address_space:  global
        .offset:         0
        .size:           8
        .value_kind:     global_buffer
      - .address_space:  global
        .offset:         8
        .size:           8
        .value_kind:     global_buffer
      - .address_space:  global
        .offset:         16
        .size:           8
        .value_kind:     global_buffer
      - .address_space:  global
        .offset:         24
        .size:           8
        .value_kind:     global_buffer
      - .address_space:  global
        .offset:         32
        .size:           8
        .value_kind:     global_buffer
      - .address_space:  global
        .offset:         40
        .size:           8
        .value_kind:     global_buffer
      - .address_space:  global
        .offset:         48
        .size:           8
        .value_kind:     global_buffer
      - .address_space:  global
        .offset:         56
        .size:           8
        .value_kind:     global_buffer
      - .offset:         64
        .size:           4
        .value_kind:     by_value
      - .offset:         68
        .size:           4
        .value_kind:     by_value
      - .offset:         72
        .size:           4
        .value_kind:     by_value
      - .offset:         76
        .size:           4
        .value_kind:     by_value
      - .offset:         80
        .size:           4
        .value_kind:     by_value
      - .offset:         84
        .size:           4
        .value_kind:     by_value
      - .offset:         88
        .size:           4
        .value_kind:     by_value
      - .offset:         92
        .size:           12
        .value_kind:     by_value
      - .offset:         104
        .size:           4
        .value_kind:     by_value
      - .offset:         108
        .size:           4
        .value_kind:     by_value
      - .offset:         112
        .size:           4
        .value_kind:     by_value
      - .offset:         116
        .size:           4
        .value_kind:     by_value
      - .offset:         120
        .size:           4
        .value_kind:     by_value
      - .offset:         124
        .size:           4
        .value_kind:     by_value
      - .offset:         128
        .size:           4
        .value_kind:     by_value
      - .offset:         132
        .size:           4
        .value_kind:     by_value
      - .offset:         136
        .size:           4
        .value_kind:     by_value
      - .offset:         140
        .size:           4
        .value_kind:     by_value
      - .offset:         144
        .size:           4
        .value_kind:     by_value
      - .offset:         152
        .size:           8
        .value_kind:     by_value
      - .offset:         160
        .size:           4
        .value_kind:     by_value
      - .offset:         164
        .size:           4
        .value_kind:     by_value
      - .offset:         168
        .size:           8
        .value_kind:     by_value
      - .offset:         176
        .size:           4
        .value_kind:     by_value
      - .offset:         180
        .size:           4
        .value_kind:     by_value
      - .offset:         184
        .size:           4
        .value_kind:     by_value
      - .offset:         188
        .size:           4
        .value_kind:     by_value
      - .offset:         192
        .size:           4
        .value_kind:     by_value
      - .offset:         200
        .size:           8
        .value_kind:     by_value
      - .offset:         208
        .size:           4
        .value_kind:     hidden_block_count_x
      - .offset:         212
        .size:           4
        .value_kind:     hidden_block_count_y
      - .offset:         216
        .size:           4
        .value_kind:     hidden_block_count_z
      - .offset:         220
        .size:           2
        .value_kind:     hidden_group_size_x
      - .offset:         222
        .size:           2
        .value_kind:     hidden_group_size_y
      - .offset:         224
        .size:           2
        .value_kind:     hidden_group_size_z
      - .offset:         226
        .size:           2
        .value_kind:     hidden_remainder_x
      - .offset:         228
        .size:           2
        .value_kind:     hidden_remainder_y
      - .offset:         230
        .size:           2
        .value_kind:     hidden_remainder_z
      - .offset:         248
        .size:           8
        .value_kind:     hidden_global_offset_x
      - .offset:         256
        .size:           8
        .value_kind:     hidden_global_offset_y
      - .offset:         264
        .size:           8
        .value_kind:     hidden_global_offset_z
      - .offset:         272
        .size:           2
        .value_kind:     hidden_grid_dims
      - .offset:         288
        .size:           8
        .value_kind:     hidden_hostcall_buffer
    .group_segment_fixed_size: 0
    .kernarg_segment_align: 8
    .kernarg_segment_size: 464
    .language:       OpenCL C
    .language_version:
      - 2
      - 0
    .max_flat_workgroup_size: 64
    .name:           _ZL15flash_attn_tileILi72ELi72ELi1ELi2ELb1EEvPKcS1_S1_S1_S1_PKiPfP15HIP_vector_typeIfLj2EEffffjfiS5_IjLj3EEiiiiiiiiiiiliiliiiiil
    .private_segment_fixed_size: 16
    .sgpr_count:     36
    .sgpr_spill_count: 0
    .symbol:         _ZL15flash_attn_tileILi72ELi72ELi1ELi2ELb1EEvPKcS1_S1_S1_S1_PKiPfP15HIP_vector_typeIfLj2EEffffjfiS5_IjLj3EEiiiiiiiiiiiliiliiiiil.kd
    .uniform_work_group_size: 1
    .uses_dynamic_stack: false
    .vgpr_count:     40
    .vgpr_spill_count: 0
    .wavefront_size: 32
    .workgroup_processor_mode: 1
  - .args:
      - .address_space:  global
        .offset:         0
        .size:           8
        .value_kind:     global_buffer
      - .address_space:  global
        .offset:         8
        .size:           8
        .value_kind:     global_buffer
      - .address_space:  global
        .offset:         16
        .size:           8
        .value_kind:     global_buffer
      - .address_space:  global
        .offset:         24
        .size:           8
        .value_kind:     global_buffer
      - .address_space:  global
        .offset:         32
        .size:           8
        .value_kind:     global_buffer
      - .address_space:  global
        .offset:         40
        .size:           8
        .value_kind:     global_buffer
      - .address_space:  global
        .offset:         48
        .size:           8
        .value_kind:     global_buffer
      - .address_space:  global
        .offset:         56
        .size:           8
        .value_kind:     global_buffer
      - .offset:         64
        .size:           4
        .value_kind:     by_value
      - .offset:         68
        .size:           4
        .value_kind:     by_value
      - .offset:         72
        .size:           4
        .value_kind:     by_value
      - .offset:         76
        .size:           4
        .value_kind:     by_value
      - .offset:         80
        .size:           4
        .value_kind:     by_value
      - .offset:         84
        .size:           4
        .value_kind:     by_value
      - .offset:         88
        .size:           4
        .value_kind:     by_value
      - .offset:         92
        .size:           12
        .value_kind:     by_value
      - .offset:         104
        .size:           4
        .value_kind:     by_value
      - .offset:         108
        .size:           4
        .value_kind:     by_value
      - .offset:         112
        .size:           4
        .value_kind:     by_value
      - .offset:         116
        .size:           4
        .value_kind:     by_value
      - .offset:         120
        .size:           4
        .value_kind:     by_value
      - .offset:         124
        .size:           4
        .value_kind:     by_value
      - .offset:         128
        .size:           4
        .value_kind:     by_value
      - .offset:         132
        .size:           4
        .value_kind:     by_value
      - .offset:         136
        .size:           4
        .value_kind:     by_value
      - .offset:         140
        .size:           4
        .value_kind:     by_value
      - .offset:         144
        .size:           4
        .value_kind:     by_value
      - .offset:         152
        .size:           8
        .value_kind:     by_value
      - .offset:         160
        .size:           4
        .value_kind:     by_value
      - .offset:         164
        .size:           4
        .value_kind:     by_value
      - .offset:         168
        .size:           8
        .value_kind:     by_value
      - .offset:         176
        .size:           4
        .value_kind:     by_value
      - .offset:         180
        .size:           4
        .value_kind:     by_value
      - .offset:         184
        .size:           4
        .value_kind:     by_value
      - .offset:         188
        .size:           4
        .value_kind:     by_value
      - .offset:         192
        .size:           4
        .value_kind:     by_value
      - .offset:         200
        .size:           8
        .value_kind:     by_value
      - .offset:         208
        .size:           4
        .value_kind:     hidden_block_count_x
      - .offset:         212
        .size:           4
        .value_kind:     hidden_block_count_y
      - .offset:         216
        .size:           4
        .value_kind:     hidden_block_count_z
      - .offset:         220
        .size:           2
        .value_kind:     hidden_group_size_x
      - .offset:         222
        .size:           2
        .value_kind:     hidden_group_size_y
      - .offset:         224
        .size:           2
        .value_kind:     hidden_group_size_z
      - .offset:         226
        .size:           2
        .value_kind:     hidden_remainder_x
      - .offset:         228
        .size:           2
        .value_kind:     hidden_remainder_y
      - .offset:         230
        .size:           2
        .value_kind:     hidden_remainder_z
      - .offset:         248
        .size:           8
        .value_kind:     hidden_global_offset_x
      - .offset:         256
        .size:           8
        .value_kind:     hidden_global_offset_y
      - .offset:         264
        .size:           8
        .value_kind:     hidden_global_offset_z
      - .offset:         272
        .size:           2
        .value_kind:     hidden_grid_dims
      - .offset:         288
        .size:           8
        .value_kind:     hidden_hostcall_buffer
    .group_segment_fixed_size: 0
    .kernarg_segment_align: 8
    .kernarg_segment_size: 464
    .language:       OpenCL C
    .language_version:
      - 2
      - 0
    .max_flat_workgroup_size: 256
    .name:           _ZL15flash_attn_tileILi72ELi72ELi64ELi1ELb1EEvPKcS1_S1_S1_S1_PKiPfP15HIP_vector_typeIfLj2EEffffjfiS5_IjLj3EEiiiiiiiiiiiliiliiiiil
    .private_segment_fixed_size: 16
    .sgpr_count:     36
    .sgpr_spill_count: 0
    .symbol:         _ZL15flash_attn_tileILi72ELi72ELi64ELi1ELb1EEvPKcS1_S1_S1_S1_PKiPfP15HIP_vector_typeIfLj2EEffffjfiS5_IjLj3EEiiiiiiiiiiiliiliiiiil.kd
    .uniform_work_group_size: 1
    .uses_dynamic_stack: false
    .vgpr_count:     40
    .vgpr_spill_count: 0
    .wavefront_size: 32
    .workgroup_processor_mode: 1
  - .args:
      - .address_space:  global
        .offset:         0
        .size:           8
        .value_kind:     global_buffer
      - .address_space:  global
        .offset:         8
        .size:           8
        .value_kind:     global_buffer
      - .address_space:  global
        .offset:         16
        .size:           8
        .value_kind:     global_buffer
      - .address_space:  global
        .offset:         24
        .size:           8
        .value_kind:     global_buffer
      - .address_space:  global
        .offset:         32
        .size:           8
        .value_kind:     global_buffer
      - .address_space:  global
        .offset:         40
        .size:           8
        .value_kind:     global_buffer
      - .address_space:  global
        .offset:         48
        .size:           8
        .value_kind:     global_buffer
      - .address_space:  global
        .offset:         56
        .size:           8
        .value_kind:     global_buffer
      - .offset:         64
        .size:           4
        .value_kind:     by_value
      - .offset:         68
        .size:           4
        .value_kind:     by_value
      - .offset:         72
        .size:           4
        .value_kind:     by_value
      - .offset:         76
        .size:           4
        .value_kind:     by_value
      - .offset:         80
        .size:           4
        .value_kind:     by_value
      - .offset:         84
        .size:           4
        .value_kind:     by_value
      - .offset:         88
        .size:           4
        .value_kind:     by_value
      - .offset:         92
        .size:           12
        .value_kind:     by_value
      - .offset:         104
        .size:           4
        .value_kind:     by_value
      - .offset:         108
        .size:           4
        .value_kind:     by_value
      - .offset:         112
        .size:           4
        .value_kind:     by_value
      - .offset:         116
        .size:           4
        .value_kind:     by_value
      - .offset:         120
        .size:           4
        .value_kind:     by_value
      - .offset:         124
        .size:           4
        .value_kind:     by_value
      - .offset:         128
        .size:           4
        .value_kind:     by_value
      - .offset:         132
        .size:           4
        .value_kind:     by_value
      - .offset:         136
        .size:           4
        .value_kind:     by_value
      - .offset:         140
        .size:           4
        .value_kind:     by_value
      - .offset:         144
        .size:           4
        .value_kind:     by_value
      - .offset:         152
        .size:           8
        .value_kind:     by_value
      - .offset:         160
        .size:           4
        .value_kind:     by_value
      - .offset:         164
        .size:           4
        .value_kind:     by_value
      - .offset:         168
        .size:           8
        .value_kind:     by_value
      - .offset:         176
        .size:           4
        .value_kind:     by_value
      - .offset:         180
        .size:           4
        .value_kind:     by_value
      - .offset:         184
        .size:           4
        .value_kind:     by_value
      - .offset:         188
        .size:           4
        .value_kind:     by_value
      - .offset:         192
        .size:           4
        .value_kind:     by_value
      - .offset:         200
        .size:           8
        .value_kind:     by_value
      - .offset:         208
        .size:           4
        .value_kind:     hidden_block_count_x
      - .offset:         212
        .size:           4
        .value_kind:     hidden_block_count_y
      - .offset:         216
        .size:           4
        .value_kind:     hidden_block_count_z
      - .offset:         220
        .size:           2
        .value_kind:     hidden_group_size_x
      - .offset:         222
        .size:           2
        .value_kind:     hidden_group_size_y
      - .offset:         224
        .size:           2
        .value_kind:     hidden_group_size_z
      - .offset:         226
        .size:           2
        .value_kind:     hidden_remainder_x
      - .offset:         228
        .size:           2
        .value_kind:     hidden_remainder_y
      - .offset:         230
        .size:           2
        .value_kind:     hidden_remainder_z
      - .offset:         248
        .size:           8
        .value_kind:     hidden_global_offset_x
      - .offset:         256
        .size:           8
        .value_kind:     hidden_global_offset_y
      - .offset:         264
        .size:           8
        .value_kind:     hidden_global_offset_z
      - .offset:         272
        .size:           2
        .value_kind:     hidden_grid_dims
      - .offset:         288
        .size:           8
        .value_kind:     hidden_hostcall_buffer
    .group_segment_fixed_size: 0
    .kernarg_segment_align: 8
    .kernarg_segment_size: 464
    .language:       OpenCL C
    .language_version:
      - 2
      - 0
    .max_flat_workgroup_size: 256
    .name:           _ZL15flash_attn_tileILi72ELi72ELi32ELi1ELb1EEvPKcS1_S1_S1_S1_PKiPfP15HIP_vector_typeIfLj2EEffffjfiS5_IjLj3EEiiiiiiiiiiiliiliiiiil
    .private_segment_fixed_size: 16
    .sgpr_count:     36
    .sgpr_spill_count: 0
    .symbol:         _ZL15flash_attn_tileILi72ELi72ELi32ELi1ELb1EEvPKcS1_S1_S1_S1_PKiPfP15HIP_vector_typeIfLj2EEffffjfiS5_IjLj3EEiiiiiiiiiiiliiliiiiil.kd
    .uniform_work_group_size: 1
    .uses_dynamic_stack: false
    .vgpr_count:     40
    .vgpr_spill_count: 0
    .wavefront_size: 32
    .workgroup_processor_mode: 1
  - .args:
      - .address_space:  global
        .offset:         0
        .size:           8
        .value_kind:     global_buffer
      - .address_space:  global
        .offset:         8
        .size:           8
        .value_kind:     global_buffer
      - .address_space:  global
        .offset:         16
        .size:           8
        .value_kind:     global_buffer
      - .address_space:  global
        .offset:         24
        .size:           8
        .value_kind:     global_buffer
      - .address_space:  global
        .offset:         32
        .size:           8
        .value_kind:     global_buffer
      - .address_space:  global
        .offset:         40
        .size:           8
        .value_kind:     global_buffer
      - .address_space:  global
        .offset:         48
        .size:           8
        .value_kind:     global_buffer
      - .address_space:  global
        .offset:         56
        .size:           8
        .value_kind:     global_buffer
      - .offset:         64
        .size:           4
        .value_kind:     by_value
      - .offset:         68
        .size:           4
        .value_kind:     by_value
      - .offset:         72
        .size:           4
        .value_kind:     by_value
      - .offset:         76
        .size:           4
        .value_kind:     by_value
      - .offset:         80
        .size:           4
        .value_kind:     by_value
      - .offset:         84
        .size:           4
        .value_kind:     by_value
      - .offset:         88
        .size:           4
        .value_kind:     by_value
      - .offset:         92
        .size:           12
        .value_kind:     by_value
      - .offset:         104
        .size:           4
        .value_kind:     by_value
      - .offset:         108
        .size:           4
        .value_kind:     by_value
      - .offset:         112
        .size:           4
        .value_kind:     by_value
      - .offset:         116
        .size:           4
        .value_kind:     by_value
      - .offset:         120
        .size:           4
        .value_kind:     by_value
      - .offset:         124
        .size:           4
        .value_kind:     by_value
      - .offset:         128
        .size:           4
        .value_kind:     by_value
      - .offset:         132
        .size:           4
        .value_kind:     by_value
      - .offset:         136
        .size:           4
        .value_kind:     by_value
      - .offset:         140
        .size:           4
        .value_kind:     by_value
      - .offset:         144
        .size:           4
        .value_kind:     by_value
      - .offset:         152
        .size:           8
        .value_kind:     by_value
      - .offset:         160
        .size:           4
        .value_kind:     by_value
      - .offset:         164
        .size:           4
        .value_kind:     by_value
      - .offset:         168
        .size:           8
        .value_kind:     by_value
      - .offset:         176
        .size:           4
        .value_kind:     by_value
      - .offset:         180
        .size:           4
        .value_kind:     by_value
      - .offset:         184
        .size:           4
        .value_kind:     by_value
      - .offset:         188
        .size:           4
        .value_kind:     by_value
      - .offset:         192
        .size:           4
        .value_kind:     by_value
      - .offset:         200
        .size:           8
        .value_kind:     by_value
      - .offset:         208
        .size:           4
        .value_kind:     hidden_block_count_x
      - .offset:         212
        .size:           4
        .value_kind:     hidden_block_count_y
      - .offset:         216
        .size:           4
        .value_kind:     hidden_block_count_z
      - .offset:         220
        .size:           2
        .value_kind:     hidden_group_size_x
      - .offset:         222
        .size:           2
        .value_kind:     hidden_group_size_y
      - .offset:         224
        .size:           2
        .value_kind:     hidden_group_size_z
      - .offset:         226
        .size:           2
        .value_kind:     hidden_remainder_x
      - .offset:         228
        .size:           2
        .value_kind:     hidden_remainder_y
      - .offset:         230
        .size:           2
        .value_kind:     hidden_remainder_z
      - .offset:         248
        .size:           8
        .value_kind:     hidden_global_offset_x
      - .offset:         256
        .size:           8
        .value_kind:     hidden_global_offset_y
      - .offset:         264
        .size:           8
        .value_kind:     hidden_global_offset_z
      - .offset:         272
        .size:           2
        .value_kind:     hidden_grid_dims
      - .offset:         288
        .size:           8
        .value_kind:     hidden_hostcall_buffer
    .group_segment_fixed_size: 0
    .kernarg_segment_align: 8
    .kernarg_segment_size: 464
    .language:       OpenCL C
    .language_version:
      - 2
      - 0
    .max_flat_workgroup_size: 256
    .name:           _ZL15flash_attn_tileILi72ELi72ELi16ELi1ELb1EEvPKcS1_S1_S1_S1_PKiPfP15HIP_vector_typeIfLj2EEffffjfiS5_IjLj3EEiiiiiiiiiiiliiliiiiil
    .private_segment_fixed_size: 16
    .sgpr_count:     36
    .sgpr_spill_count: 0
    .symbol:         _ZL15flash_attn_tileILi72ELi72ELi16ELi1ELb1EEvPKcS1_S1_S1_S1_PKiPfP15HIP_vector_typeIfLj2EEffffjfiS5_IjLj3EEiiiiiiiiiiiliiliiiiil.kd
    .uniform_work_group_size: 1
    .uses_dynamic_stack: false
    .vgpr_count:     40
    .vgpr_spill_count: 0
    .wavefront_size: 32
    .workgroup_processor_mode: 1
  - .args:
      - .address_space:  global
        .offset:         0
        .size:           8
        .value_kind:     global_buffer
      - .address_space:  global
        .offset:         8
        .size:           8
        .value_kind:     global_buffer
      - .address_space:  global
        .offset:         16
        .size:           8
        .value_kind:     global_buffer
      - .address_space:  global
        .offset:         24
        .size:           8
        .value_kind:     global_buffer
      - .address_space:  global
        .offset:         32
        .size:           8
        .value_kind:     global_buffer
      - .address_space:  global
        .offset:         40
        .size:           8
        .value_kind:     global_buffer
      - .address_space:  global
        .offset:         48
        .size:           8
        .value_kind:     global_buffer
      - .address_space:  global
        .offset:         56
        .size:           8
        .value_kind:     global_buffer
      - .offset:         64
        .size:           4
        .value_kind:     by_value
      - .offset:         68
        .size:           4
        .value_kind:     by_value
      - .offset:         72
        .size:           4
        .value_kind:     by_value
      - .offset:         76
        .size:           4
        .value_kind:     by_value
      - .offset:         80
        .size:           4
        .value_kind:     by_value
      - .offset:         84
        .size:           4
        .value_kind:     by_value
      - .offset:         88
        .size:           4
        .value_kind:     by_value
      - .offset:         92
        .size:           12
        .value_kind:     by_value
      - .offset:         104
        .size:           4
        .value_kind:     by_value
      - .offset:         108
        .size:           4
        .value_kind:     by_value
      - .offset:         112
        .size:           4
        .value_kind:     by_value
      - .offset:         116
        .size:           4
        .value_kind:     by_value
      - .offset:         120
        .size:           4
        .value_kind:     by_value
      - .offset:         124
        .size:           4
        .value_kind:     by_value
      - .offset:         128
        .size:           4
        .value_kind:     by_value
      - .offset:         132
        .size:           4
        .value_kind:     by_value
      - .offset:         136
        .size:           4
        .value_kind:     by_value
      - .offset:         140
        .size:           4
        .value_kind:     by_value
      - .offset:         144
        .size:           4
        .value_kind:     by_value
      - .offset:         152
        .size:           8
        .value_kind:     by_value
      - .offset:         160
        .size:           4
        .value_kind:     by_value
      - .offset:         164
        .size:           4
        .value_kind:     by_value
      - .offset:         168
        .size:           8
        .value_kind:     by_value
      - .offset:         176
        .size:           4
        .value_kind:     by_value
      - .offset:         180
        .size:           4
        .value_kind:     by_value
      - .offset:         184
        .size:           4
        .value_kind:     by_value
      - .offset:         188
        .size:           4
        .value_kind:     by_value
      - .offset:         192
        .size:           4
        .value_kind:     by_value
      - .offset:         200
        .size:           8
        .value_kind:     by_value
      - .offset:         208
        .size:           4
        .value_kind:     hidden_block_count_x
      - .offset:         212
        .size:           4
        .value_kind:     hidden_block_count_y
      - .offset:         216
        .size:           4
        .value_kind:     hidden_block_count_z
      - .offset:         220
        .size:           2
        .value_kind:     hidden_group_size_x
      - .offset:         222
        .size:           2
        .value_kind:     hidden_group_size_y
      - .offset:         224
        .size:           2
        .value_kind:     hidden_group_size_z
      - .offset:         226
        .size:           2
        .value_kind:     hidden_remainder_x
      - .offset:         228
        .size:           2
        .value_kind:     hidden_remainder_y
      - .offset:         230
        .size:           2
        .value_kind:     hidden_remainder_z
      - .offset:         248
        .size:           8
        .value_kind:     hidden_global_offset_x
      - .offset:         256
        .size:           8
        .value_kind:     hidden_global_offset_y
      - .offset:         264
        .size:           8
        .value_kind:     hidden_global_offset_z
      - .offset:         272
        .size:           2
        .value_kind:     hidden_grid_dims
      - .offset:         288
        .size:           8
        .value_kind:     hidden_hostcall_buffer
    .group_segment_fixed_size: 0
    .kernarg_segment_align: 8
    .kernarg_segment_size: 464
    .language:       OpenCL C
    .language_version:
      - 2
      - 0
    .max_flat_workgroup_size: 256
    .name:           _ZL15flash_attn_tileILi72ELi72ELi8ELi1ELb1EEvPKcS1_S1_S1_S1_PKiPfP15HIP_vector_typeIfLj2EEffffjfiS5_IjLj3EEiiiiiiiiiiiliiliiiiil
    .private_segment_fixed_size: 16
    .sgpr_count:     36
    .sgpr_spill_count: 0
    .symbol:         _ZL15flash_attn_tileILi72ELi72ELi8ELi1ELb1EEvPKcS1_S1_S1_S1_PKiPfP15HIP_vector_typeIfLj2EEffffjfiS5_IjLj3EEiiiiiiiiiiiliiliiiiil.kd
    .uniform_work_group_size: 1
    .uses_dynamic_stack: false
    .vgpr_count:     40
    .vgpr_spill_count: 0
    .wavefront_size: 32
    .workgroup_processor_mode: 1
  - .args:
      - .address_space:  global
        .offset:         0
        .size:           8
        .value_kind:     global_buffer
      - .address_space:  global
        .offset:         8
        .size:           8
        .value_kind:     global_buffer
      - .address_space:  global
        .offset:         16
        .size:           8
        .value_kind:     global_buffer
      - .address_space:  global
        .offset:         24
        .size:           8
        .value_kind:     global_buffer
      - .address_space:  global
        .offset:         32
        .size:           8
        .value_kind:     global_buffer
      - .address_space:  global
        .offset:         40
        .size:           8
        .value_kind:     global_buffer
      - .address_space:  global
        .offset:         48
        .size:           8
        .value_kind:     global_buffer
      - .address_space:  global
        .offset:         56
        .size:           8
        .value_kind:     global_buffer
      - .offset:         64
        .size:           4
        .value_kind:     by_value
      - .offset:         68
        .size:           4
        .value_kind:     by_value
      - .offset:         72
        .size:           4
        .value_kind:     by_value
      - .offset:         76
        .size:           4
        .value_kind:     by_value
      - .offset:         80
        .size:           4
        .value_kind:     by_value
      - .offset:         84
        .size:           4
        .value_kind:     by_value
      - .offset:         88
        .size:           4
        .value_kind:     by_value
      - .offset:         92
        .size:           12
        .value_kind:     by_value
      - .offset:         104
        .size:           4
        .value_kind:     by_value
      - .offset:         108
        .size:           4
        .value_kind:     by_value
      - .offset:         112
        .size:           4
        .value_kind:     by_value
      - .offset:         116
        .size:           4
        .value_kind:     by_value
      - .offset:         120
        .size:           4
        .value_kind:     by_value
      - .offset:         124
        .size:           4
        .value_kind:     by_value
      - .offset:         128
        .size:           4
        .value_kind:     by_value
      - .offset:         132
        .size:           4
        .value_kind:     by_value
      - .offset:         136
        .size:           4
        .value_kind:     by_value
      - .offset:         140
        .size:           4
        .value_kind:     by_value
      - .offset:         144
        .size:           4
        .value_kind:     by_value
      - .offset:         152
        .size:           8
        .value_kind:     by_value
      - .offset:         160
        .size:           4
        .value_kind:     by_value
      - .offset:         164
        .size:           4
        .value_kind:     by_value
      - .offset:         168
        .size:           8
        .value_kind:     by_value
      - .offset:         176
        .size:           4
        .value_kind:     by_value
      - .offset:         180
        .size:           4
        .value_kind:     by_value
      - .offset:         184
        .size:           4
        .value_kind:     by_value
      - .offset:         188
        .size:           4
        .value_kind:     by_value
      - .offset:         192
        .size:           4
        .value_kind:     by_value
      - .offset:         200
        .size:           8
        .value_kind:     by_value
      - .offset:         208
        .size:           4
        .value_kind:     hidden_block_count_x
      - .offset:         212
        .size:           4
        .value_kind:     hidden_block_count_y
      - .offset:         216
        .size:           4
        .value_kind:     hidden_block_count_z
      - .offset:         220
        .size:           2
        .value_kind:     hidden_group_size_x
      - .offset:         222
        .size:           2
        .value_kind:     hidden_group_size_y
      - .offset:         224
        .size:           2
        .value_kind:     hidden_group_size_z
      - .offset:         226
        .size:           2
        .value_kind:     hidden_remainder_x
      - .offset:         228
        .size:           2
        .value_kind:     hidden_remainder_y
      - .offset:         230
        .size:           2
        .value_kind:     hidden_remainder_z
      - .offset:         248
        .size:           8
        .value_kind:     hidden_global_offset_x
      - .offset:         256
        .size:           8
        .value_kind:     hidden_global_offset_y
      - .offset:         264
        .size:           8
        .value_kind:     hidden_global_offset_z
      - .offset:         272
        .size:           2
        .value_kind:     hidden_grid_dims
      - .offset:         288
        .size:           8
        .value_kind:     hidden_hostcall_buffer
    .group_segment_fixed_size: 0
    .kernarg_segment_align: 8
    .kernarg_segment_size: 464
    .language:       OpenCL C
    .language_version:
      - 2
      - 0
    .max_flat_workgroup_size: 128
    .name:           _ZL15flash_attn_tileILi72ELi72ELi4ELi1ELb1EEvPKcS1_S1_S1_S1_PKiPfP15HIP_vector_typeIfLj2EEffffjfiS5_IjLj3EEiiiiiiiiiiiliiliiiiil
    .private_segment_fixed_size: 16
    .sgpr_count:     36
    .sgpr_spill_count: 0
    .symbol:         _ZL15flash_attn_tileILi72ELi72ELi4ELi1ELb1EEvPKcS1_S1_S1_S1_PKiPfP15HIP_vector_typeIfLj2EEffffjfiS5_IjLj3EEiiiiiiiiiiiliiliiiiil.kd
    .uniform_work_group_size: 1
    .uses_dynamic_stack: false
    .vgpr_count:     40
    .vgpr_spill_count: 0
    .wavefront_size: 32
    .workgroup_processor_mode: 1
  - .args:
      - .address_space:  global
        .offset:         0
        .size:           8
        .value_kind:     global_buffer
      - .address_space:  global
        .offset:         8
        .size:           8
        .value_kind:     global_buffer
      - .address_space:  global
        .offset:         16
        .size:           8
        .value_kind:     global_buffer
      - .address_space:  global
        .offset:         24
        .size:           8
        .value_kind:     global_buffer
      - .address_space:  global
        .offset:         32
        .size:           8
        .value_kind:     global_buffer
      - .address_space:  global
        .offset:         40
        .size:           8
        .value_kind:     global_buffer
      - .address_space:  global
        .offset:         48
        .size:           8
        .value_kind:     global_buffer
      - .address_space:  global
        .offset:         56
        .size:           8
        .value_kind:     global_buffer
      - .offset:         64
        .size:           4
        .value_kind:     by_value
      - .offset:         68
        .size:           4
        .value_kind:     by_value
      - .offset:         72
        .size:           4
        .value_kind:     by_value
      - .offset:         76
        .size:           4
        .value_kind:     by_value
      - .offset:         80
        .size:           4
        .value_kind:     by_value
      - .offset:         84
        .size:           4
        .value_kind:     by_value
      - .offset:         88
        .size:           4
        .value_kind:     by_value
      - .offset:         92
        .size:           12
        .value_kind:     by_value
      - .offset:         104
        .size:           4
        .value_kind:     by_value
      - .offset:         108
        .size:           4
        .value_kind:     by_value
      - .offset:         112
        .size:           4
        .value_kind:     by_value
      - .offset:         116
        .size:           4
        .value_kind:     by_value
      - .offset:         120
        .size:           4
        .value_kind:     by_value
      - .offset:         124
        .size:           4
        .value_kind:     by_value
      - .offset:         128
        .size:           4
        .value_kind:     by_value
      - .offset:         132
        .size:           4
        .value_kind:     by_value
      - .offset:         136
        .size:           4
        .value_kind:     by_value
      - .offset:         140
        .size:           4
        .value_kind:     by_value
      - .offset:         144
        .size:           4
        .value_kind:     by_value
      - .offset:         152
        .size:           8
        .value_kind:     by_value
      - .offset:         160
        .size:           4
        .value_kind:     by_value
      - .offset:         164
        .size:           4
        .value_kind:     by_value
      - .offset:         168
        .size:           8
        .value_kind:     by_value
      - .offset:         176
        .size:           4
        .value_kind:     by_value
      - .offset:         180
        .size:           4
        .value_kind:     by_value
      - .offset:         184
        .size:           4
        .value_kind:     by_value
      - .offset:         188
        .size:           4
        .value_kind:     by_value
      - .offset:         192
        .size:           4
        .value_kind:     by_value
      - .offset:         200
        .size:           8
        .value_kind:     by_value
      - .offset:         208
        .size:           4
        .value_kind:     hidden_block_count_x
      - .offset:         212
        .size:           4
        .value_kind:     hidden_block_count_y
      - .offset:         216
        .size:           4
        .value_kind:     hidden_block_count_z
      - .offset:         220
        .size:           2
        .value_kind:     hidden_group_size_x
      - .offset:         222
        .size:           2
        .value_kind:     hidden_group_size_y
      - .offset:         224
        .size:           2
        .value_kind:     hidden_group_size_z
      - .offset:         226
        .size:           2
        .value_kind:     hidden_remainder_x
      - .offset:         228
        .size:           2
        .value_kind:     hidden_remainder_y
      - .offset:         230
        .size:           2
        .value_kind:     hidden_remainder_z
      - .offset:         248
        .size:           8
        .value_kind:     hidden_global_offset_x
      - .offset:         256
        .size:           8
        .value_kind:     hidden_global_offset_y
      - .offset:         264
        .size:           8
        .value_kind:     hidden_global_offset_z
      - .offset:         272
        .size:           2
        .value_kind:     hidden_grid_dims
      - .offset:         288
        .size:           8
        .value_kind:     hidden_hostcall_buffer
    .group_segment_fixed_size: 0
    .kernarg_segment_align: 8
    .kernarg_segment_size: 464
    .language:       OpenCL C
    .language_version:
      - 2
      - 0
    .max_flat_workgroup_size: 64
    .name:           _ZL15flash_attn_tileILi72ELi72ELi2ELi1ELb1EEvPKcS1_S1_S1_S1_PKiPfP15HIP_vector_typeIfLj2EEffffjfiS5_IjLj3EEiiiiiiiiiiiliiliiiiil
    .private_segment_fixed_size: 16
    .sgpr_count:     36
    .sgpr_spill_count: 0
    .symbol:         _ZL15flash_attn_tileILi72ELi72ELi2ELi1ELb1EEvPKcS1_S1_S1_S1_PKiPfP15HIP_vector_typeIfLj2EEffffjfiS5_IjLj3EEiiiiiiiiiiiliiliiiiil.kd
    .uniform_work_group_size: 1
    .uses_dynamic_stack: false
    .vgpr_count:     40
    .vgpr_spill_count: 0
    .wavefront_size: 32
    .workgroup_processor_mode: 1
amdhsa.target:   amdgcn-amd-amdhsa--gfx1030
amdhsa.version:
  - 1
  - 2
...

	.end_amdgpu_metadata
